;; amdgpu-corpus repo=pytorch/pytorch kind=compiled arch=gfx1250 opt=O3
	.amdgcn_target "amdgcn-amd-amdhsa--gfx1250"
	.amdhsa_code_object_version 6
	.section	.text._ZN2at6native12_GLOBAL__N_133embedding_backward_feature_kernelIddiEEvPKT1_PKT_PS6_ili,"axG",@progbits,_ZN2at6native12_GLOBAL__N_133embedding_backward_feature_kernelIddiEEvPKT1_PKT_PS6_ili,comdat
	.globl	_ZN2at6native12_GLOBAL__N_133embedding_backward_feature_kernelIddiEEvPKT1_PKT_PS6_ili ; -- Begin function _ZN2at6native12_GLOBAL__N_133embedding_backward_feature_kernelIddiEEvPKT1_PKT_PS6_ili
	.p2align	8
	.type	_ZN2at6native12_GLOBAL__N_133embedding_backward_feature_kernelIddiEEvPKT1_PKT_PS6_ili,@function
_ZN2at6native12_GLOBAL__N_133embedding_backward_feature_kernelIddiEEvPKT1_PKT_PS6_ili: ; @_ZN2at6native12_GLOBAL__N_133embedding_backward_feature_kernelIddiEEvPKT1_PKT_PS6_ili
; %bb.0:
	s_load_b32 s11, s[0:1], 0x18
	s_wait_kmcnt 0x0
	s_cmp_lt_i32 s11, 1
	s_cbranch_scc1 .LBB0_18
; %bb.1:
	s_clause 0x1
	s_load_u16 s12, s[0:1], 0x3e
	s_load_b32 s2, s[0:1], 0x3c
	s_bfe_u32 s3, ttmp6, 0x4000c
	s_and_b32 s4, ttmp6, 15
	s_add_co_i32 s3, s3, 1
	s_getreg_b32 s5, hwreg(HW_REG_IB_STS2, 6, 4)
	s_mul_i32 s3, ttmp9, s3
	v_and_b32_e32 v12, 0x3ff, v0
	s_add_co_i32 s4, s4, s3
	v_bfe_u32 v13, v0, 10, 10
	v_lshrrev_b32_e32 v0, 10, v0
	s_delay_alu instid0(VALU_DEP_3) | instskip(NEXT) | instid1(VALU_DEP_2)
	v_lshl_add_u32 v15, v12, 3, 0
	v_lshlrev_b32_e64 v0, v0, 1
	s_delay_alu instid0(VALU_DEP_2)
	v_lshl_add_u32 v18, v13, 8, v15
	s_wait_kmcnt 0x0
	s_lshl_b32 s3, s12, 8
	s_and_b32 s14, s2, 0xffff
	s_add_co_i32 s13, s3, 0
	s_cmp_eq_u32 s5, 0
	v_mad_u32_u24 v14, v13, s14, v12
	s_cselect_b32 s2, ttmp9, s4
	v_lshl_add_u32 v16, v12, 2, s13
	v_mad_u32 v2, s2, s14, v12
	s_clause 0x2
	s_load_b96 s[8:10], s[0:1], 0x20
	s_load_b128 s[4:7], s[0:1], 0x0
	s_load_b64 s[2:3], s[0:1], 0x10
	v_lshl_add_u32 v17, v14, 2, s13
	s_delay_alu instid0(VALU_DEP_2) | instskip(NEXT) | instid1(VALU_DEP_1)
	v_dual_ashrrev_i32 v1, 31, v0 :: v_dual_ashrrev_i32 v3, 31, v2
	v_lshlrev_b64_e32 v[4:5], 3, v[2:3]
	s_wait_kmcnt 0x0
	v_cmp_le_i32_e32 vcc_lo, s8, v2
	v_cmp_gt_i32_e64 s0, s8, v2
	s_delay_alu instid0(VALU_DEP_3)
	v_add_nc_u64_e32 v[2:3], s[6:7], v[4:5]
	v_add_nc_u64_e32 v[4:5], s[2:3], v[4:5]
	s_mov_b32 s3, 0
	s_mul_i32 s6, s14, s12
	s_mov_b32 s14, 0
	s_branch .LBB0_3
.LBB0_2:                                ;   in Loop: Header=BB0_3 Depth=1
	s_cmp_lt_i32 s14, s11
	s_cbranch_scc0 .LBB0_18
.LBB0_3:                                ; =>This Loop Header: Depth=1
                                        ;     Child Loop BB0_7 Depth 2
                                        ;       Child Loop BB0_15 Depth 3
	s_mov_b32 s7, s14
	s_mov_b32 s2, exec_lo
	v_add_nc_u32_e32 v6, s7, v14
	s_delay_alu instid0(VALU_DEP_1)
	v_cmpx_gt_i32_e64 s11, v6
	s_cbranch_execz .LBB0_5
; %bb.4:                                ;   in Loop: Header=BB0_3 Depth=1
	global_load_b32 v6, v6, s[4:5] scale_offset
	s_wait_loadcnt 0x0
	ds_store_b32 v17, v6
.LBB0_5:                                ;   in Loop: Header=BB0_3 Depth=1
	s_wait_xcnt 0x0
	s_or_b32 exec_lo, exec_lo, s2
	s_add_co_i32 s14, s7, s6
	s_mov_b32 s16, s7
	s_min_u32 s15, s14, s11
	s_delay_alu instid0(SALU_CYCLE_1)
	s_cmp_ge_i32 s7, s15
	s_cbranch_scc0 .LBB0_7
	s_branch .LBB0_2
.LBB0_6:                                ;   in Loop: Header=BB0_7 Depth=2
	s_wait_xcnt 0x0
	s_or_b32 exec_lo, exec_lo, s17
	s_add_co_i32 s16, s16, s12
	s_delay_alu instid0(SALU_CYCLE_1)
	s_cmp_ge_i32 s16, s15
	s_cbranch_scc1 .LBB0_2
.LBB0_7:                                ;   Parent Loop BB0_3 Depth=1
                                        ; =>  This Loop Header: Depth=2
                                        ;       Child Loop BB0_15 Depth 3
	v_add_nc_u32_e32 v8, s16, v13
	s_wait_dscnt 0x0
	s_barrier_signal -1
	s_barrier_wait -1
	s_delay_alu instid0(VALU_DEP_1) | instskip(SKIP_1) | instid1(VALU_DEP_2)
	v_subrev_nc_u32_e32 v6, s7, v8
	v_cmp_le_i32_e64 s1, s11, v8
	v_lshl_add_u32 v6, v6, 2, s13
	s_or_b32 s17, vcc_lo, s1
	ds_load_b32 v6, v6
	s_wait_dscnt 0x0
	v_cmp_eq_u32_e64 s2, s10, v6
	s_nor_b32 s18, s17, s2
	s_delay_alu instid0(SALU_CYCLE_1)
	s_and_saveexec_b32 s17, s18
	s_cbranch_execz .LBB0_9
; %bb.8:                                ;   in Loop: Header=BB0_7 Depth=2
	v_ashrrev_i32_e32 v9, 31, v8
	s_delay_alu instid0(VALU_DEP_1) | instskip(NEXT) | instid1(VALU_DEP_1)
	v_mul_u64_e32 v[8:9], s[8:9], v[8:9]
	v_lshl_add_u64 v[8:9], v[8:9], 3, v[2:3]
	global_load_b64 v[8:9], v[8:9], off
	s_wait_loadcnt 0x0
	ds_store_b64 v18, v[8:9]
.LBB0_9:                                ;   in Loop: Header=BB0_7 Depth=2
	s_wait_xcnt 0x0
	s_or_b32 exec_lo, exec_lo, s17
	s_nor_b32 s1, s1, s2
	s_wait_dscnt 0x0
	s_barrier_signal -1
	s_barrier_wait -1
	s_and_saveexec_b32 s17, s1
	s_cbranch_execz .LBB0_6
; %bb.10:                               ;   in Loop: Header=BB0_7 Depth=2
	s_sub_co_i32 s1, s15, s16
	s_mov_b32 s18, 0
	s_min_u32 s1, s1, s12
	s_mov_b32 s2, exec_lo
	v_cmpx_gt_u32_e64 s1, v12
	s_cbranch_execz .LBB0_12
; %bb.11:                               ;   in Loop: Header=BB0_7 Depth=2
	s_sub_co_i32 s1, s16, s7
	s_delay_alu instid0(SALU_CYCLE_1)
	v_lshl_add_u32 v7, s1, 2, v16
	ds_load_b32 v7, v7
	s_wait_dscnt 0x0
	v_cmp_eq_u32_e64 s1, v6, v7
	s_and_b32 s18, s1, exec_lo
.LBB0_12:                               ;   in Loop: Header=BB0_7 Depth=2
	s_or_b32 exec_lo, exec_lo, s2
	v_cndmask_b32_e64 v7, 0, 1, s18
	s_delay_alu instid0(VALU_DEP_1) | instskip(SKIP_4) | instid1(SALU_CYCLE_1)
	v_cmp_ne_u32_e64 s2, 0, v7
	s_ctz_i32_b64 s1, s[2:3]
	s_cmp_lg_u32 s2, 0
	v_cmp_eq_u32_e64 s1, s1, v13
	s_cselect_b32 s18, -1, 0
	s_and_b32 s1, s18, s1
	s_delay_alu instid0(SALU_CYCLE_1)
	s_and_b32 exec_lo, exec_lo, s1
	s_cbranch_execz .LBB0_6
; %bb.13:                               ;   in Loop: Header=BB0_7 Depth=2
	s_mov_b32 s18, exec_lo
	v_cmpx_ne_u64_e64 s[2:3], v[0:1]
	s_cbranch_execz .LBB0_16
; %bb.14:                               ;   in Loop: Header=BB0_7 Depth=2
	ds_load_b64 v[8:9], v18
	v_dual_mov_b32 v11, v1 :: v_dual_bitop2_b32 v10, s2, v0 bitop3:0x14
	s_mov_b32 s2, 0
.LBB0_15:                               ;   Parent Loop BB0_3 Depth=1
                                        ;     Parent Loop BB0_7 Depth=2
                                        ; =>    This Inner Loop Header: Depth=3
	s_delay_alu instid0(VALU_DEP_1) | instskip(NEXT) | instid1(VALU_DEP_2)
	v_ctz_i32_b32_e32 v7, v10
	v_ctz_i32_b32_e32 v19, v11
	s_delay_alu instid0(VALU_DEP_1) | instskip(NEXT) | instid1(VALU_DEP_1)
	v_add_min_u32_e64 v7, v19, 32, v7
	v_lshl_add_u32 v19, v7, 8, v15
	ds_load_b64 v[20:21], v19
	s_wait_dscnt 0x0
	v_add_f64_e32 v[8:9], v[20:21], v[8:9]
	v_lshlrev_b32_e64 v20, v7, 1
	s_delay_alu instid0(VALU_DEP_1) | instskip(NEXT) | instid1(VALU_DEP_1)
	v_dual_ashrrev_i32 v21, 31, v20 :: v_dual_bitop2_b32 v22, v10, v20 bitop3:0x14
	v_xor_b32_e32 v23, v11, v21
	v_cmp_eq_u64_e64 s1, v[10:11], v[20:21]
	s_delay_alu instid0(VALU_DEP_2)
	v_mov_b64_e32 v[10:11], v[22:23]
	s_or_b32 s2, s1, s2
	ds_store_b64 v18, v[8:9]
	s_and_not1_b32 exec_lo, exec_lo, s2
	s_cbranch_execnz .LBB0_15
.LBB0_16:                               ;   in Loop: Header=BB0_7 Depth=2
	s_or_b32 exec_lo, exec_lo, s18
	s_delay_alu instid0(SALU_CYCLE_1)
	s_and_b32 exec_lo, exec_lo, s0
	s_cbranch_execz .LBB0_6
; %bb.17:                               ;   in Loop: Header=BB0_7 Depth=2
	ds_load_b64 v[10:11], v18
	v_ashrrev_i32_e32 v7, 31, v6
	s_delay_alu instid0(VALU_DEP_1) | instskip(NEXT) | instid1(VALU_DEP_1)
	v_mul_u64_e32 v[6:7], s[8:9], v[6:7]
	v_lshl_add_u64 v[6:7], v[6:7], 3, v[4:5]
	global_load_b64 v[8:9], v[6:7], off
	s_wait_loadcnt_dscnt 0x0
	v_add_f64_e32 v[8:9], v[10:11], v[8:9]
	global_store_b64 v[6:7], v[8:9], off
	s_branch .LBB0_6
.LBB0_18:
	s_endpgm
	.section	.rodata,"a",@progbits
	.p2align	6, 0x0
	.amdhsa_kernel _ZN2at6native12_GLOBAL__N_133embedding_backward_feature_kernelIddiEEvPKT1_PKT_PS6_ili
		.amdhsa_group_segment_fixed_size 0
		.amdhsa_private_segment_fixed_size 0
		.amdhsa_kernarg_size 304
		.amdhsa_user_sgpr_count 2
		.amdhsa_user_sgpr_dispatch_ptr 0
		.amdhsa_user_sgpr_queue_ptr 0
		.amdhsa_user_sgpr_kernarg_segment_ptr 1
		.amdhsa_user_sgpr_dispatch_id 0
		.amdhsa_user_sgpr_kernarg_preload_length 0
		.amdhsa_user_sgpr_kernarg_preload_offset 0
		.amdhsa_user_sgpr_private_segment_size 0
		.amdhsa_wavefront_size32 1
		.amdhsa_uses_dynamic_stack 0
		.amdhsa_enable_private_segment 0
		.amdhsa_system_sgpr_workgroup_id_x 1
		.amdhsa_system_sgpr_workgroup_id_y 0
		.amdhsa_system_sgpr_workgroup_id_z 0
		.amdhsa_system_sgpr_workgroup_info 0
		.amdhsa_system_vgpr_workitem_id 1
		.amdhsa_next_free_vgpr 24
		.amdhsa_next_free_sgpr 19
		.amdhsa_named_barrier_count 0
		.amdhsa_reserve_vcc 1
		.amdhsa_float_round_mode_32 0
		.amdhsa_float_round_mode_16_64 0
		.amdhsa_float_denorm_mode_32 3
		.amdhsa_float_denorm_mode_16_64 3
		.amdhsa_fp16_overflow 0
		.amdhsa_memory_ordered 1
		.amdhsa_forward_progress 1
		.amdhsa_inst_pref_size 8
		.amdhsa_round_robin_scheduling 0
		.amdhsa_exception_fp_ieee_invalid_op 0
		.amdhsa_exception_fp_denorm_src 0
		.amdhsa_exception_fp_ieee_div_zero 0
		.amdhsa_exception_fp_ieee_overflow 0
		.amdhsa_exception_fp_ieee_underflow 0
		.amdhsa_exception_fp_ieee_inexact 0
		.amdhsa_exception_int_div_zero 0
	.end_amdhsa_kernel
	.section	.text._ZN2at6native12_GLOBAL__N_133embedding_backward_feature_kernelIddiEEvPKT1_PKT_PS6_ili,"axG",@progbits,_ZN2at6native12_GLOBAL__N_133embedding_backward_feature_kernelIddiEEvPKT1_PKT_PS6_ili,comdat
.Lfunc_end0:
	.size	_ZN2at6native12_GLOBAL__N_133embedding_backward_feature_kernelIddiEEvPKT1_PKT_PS6_ili, .Lfunc_end0-_ZN2at6native12_GLOBAL__N_133embedding_backward_feature_kernelIddiEEvPKT1_PKT_PS6_ili
                                        ; -- End function
	.set _ZN2at6native12_GLOBAL__N_133embedding_backward_feature_kernelIddiEEvPKT1_PKT_PS6_ili.num_vgpr, 24
	.set _ZN2at6native12_GLOBAL__N_133embedding_backward_feature_kernelIddiEEvPKT1_PKT_PS6_ili.num_agpr, 0
	.set _ZN2at6native12_GLOBAL__N_133embedding_backward_feature_kernelIddiEEvPKT1_PKT_PS6_ili.numbered_sgpr, 19
	.set _ZN2at6native12_GLOBAL__N_133embedding_backward_feature_kernelIddiEEvPKT1_PKT_PS6_ili.num_named_barrier, 0
	.set _ZN2at6native12_GLOBAL__N_133embedding_backward_feature_kernelIddiEEvPKT1_PKT_PS6_ili.private_seg_size, 0
	.set _ZN2at6native12_GLOBAL__N_133embedding_backward_feature_kernelIddiEEvPKT1_PKT_PS6_ili.uses_vcc, 1
	.set _ZN2at6native12_GLOBAL__N_133embedding_backward_feature_kernelIddiEEvPKT1_PKT_PS6_ili.uses_flat_scratch, 0
	.set _ZN2at6native12_GLOBAL__N_133embedding_backward_feature_kernelIddiEEvPKT1_PKT_PS6_ili.has_dyn_sized_stack, 0
	.set _ZN2at6native12_GLOBAL__N_133embedding_backward_feature_kernelIddiEEvPKT1_PKT_PS6_ili.has_recursion, 0
	.set _ZN2at6native12_GLOBAL__N_133embedding_backward_feature_kernelIddiEEvPKT1_PKT_PS6_ili.has_indirect_call, 0
	.section	.AMDGPU.csdata,"",@progbits
; Kernel info:
; codeLenInByte = 912
; TotalNumSgprs: 21
; NumVgprs: 24
; ScratchSize: 0
; MemoryBound: 0
; FloatMode: 240
; IeeeMode: 1
; LDSByteSize: 0 bytes/workgroup (compile time only)
; SGPRBlocks: 0
; VGPRBlocks: 1
; NumSGPRsForWavesPerEU: 21
; NumVGPRsForWavesPerEU: 24
; NamedBarCnt: 0
; Occupancy: 16
; WaveLimiterHint : 0
; COMPUTE_PGM_RSRC2:SCRATCH_EN: 0
; COMPUTE_PGM_RSRC2:USER_SGPR: 2
; COMPUTE_PGM_RSRC2:TRAP_HANDLER: 0
; COMPUTE_PGM_RSRC2:TGID_X_EN: 1
; COMPUTE_PGM_RSRC2:TGID_Y_EN: 0
; COMPUTE_PGM_RSRC2:TGID_Z_EN: 0
; COMPUTE_PGM_RSRC2:TIDIG_COMP_CNT: 1
	.section	.text._ZN2at6native12_GLOBAL__N_133embedding_backward_feature_kernelIddlEEvPKT1_PKT_PS6_ili,"axG",@progbits,_ZN2at6native12_GLOBAL__N_133embedding_backward_feature_kernelIddlEEvPKT1_PKT_PS6_ili,comdat
	.globl	_ZN2at6native12_GLOBAL__N_133embedding_backward_feature_kernelIddlEEvPKT1_PKT_PS6_ili ; -- Begin function _ZN2at6native12_GLOBAL__N_133embedding_backward_feature_kernelIddlEEvPKT1_PKT_PS6_ili
	.p2align	8
	.type	_ZN2at6native12_GLOBAL__N_133embedding_backward_feature_kernelIddlEEvPKT1_PKT_PS6_ili,@function
_ZN2at6native12_GLOBAL__N_133embedding_backward_feature_kernelIddlEEvPKT1_PKT_PS6_ili: ; @_ZN2at6native12_GLOBAL__N_133embedding_backward_feature_kernelIddlEEvPKT1_PKT_PS6_ili
; %bb.0:
	s_load_b32 s11, s[0:1], 0x18
	s_wait_kmcnt 0x0
	s_cmp_lt_i32 s11, 1
	s_cbranch_scc1 .LBB1_18
; %bb.1:
	s_clause 0x1
	s_load_u16 s12, s[0:1], 0x3e
	s_load_b32 s2, s[0:1], 0x3c
	s_bfe_u32 s3, ttmp6, 0x4000c
	s_and_b32 s4, ttmp6, 15
	s_add_co_i32 s3, s3, 1
	s_getreg_b32 s5, hwreg(HW_REG_IB_STS2, 6, 4)
	s_mul_i32 s3, ttmp9, s3
	v_and_b32_e32 v12, 0x3ff, v0
	s_add_co_i32 s4, s4, s3
	v_bfe_u32 v13, v0, 10, 10
	v_lshrrev_b32_e32 v0, 10, v0
	s_delay_alu instid0(VALU_DEP_3) | instskip(NEXT) | instid1(VALU_DEP_2)
	v_lshl_add_u32 v15, v12, 3, 0
	v_lshlrev_b32_e64 v0, v0, 1
	s_delay_alu instid0(VALU_DEP_2)
	v_lshl_add_u32 v18, v13, 8, v15
	s_wait_kmcnt 0x0
	s_lshl_b32 s3, s12, 8
	s_and_b32 s14, s2, 0xffff
	s_add_co_i32 s13, s3, 0
	s_cmp_eq_u32 s5, 0
	v_mad_u32_u24 v14, v13, s14, v12
	s_cselect_b32 s2, ttmp9, s4
	v_lshl_add_u32 v16, v12, 2, s13
	v_mad_u32 v2, s2, s14, v12
	s_clause 0x2
	s_load_b96 s[8:10], s[0:1], 0x20
	s_load_b128 s[4:7], s[0:1], 0x0
	s_load_b64 s[2:3], s[0:1], 0x10
	v_lshl_add_u32 v17, v14, 2, s13
	s_delay_alu instid0(VALU_DEP_2) | instskip(NEXT) | instid1(VALU_DEP_1)
	v_dual_ashrrev_i32 v1, 31, v0 :: v_dual_ashrrev_i32 v3, 31, v2
	v_lshlrev_b64_e32 v[4:5], 3, v[2:3]
	s_wait_kmcnt 0x0
	v_cmp_le_i32_e32 vcc_lo, s8, v2
	v_cmp_gt_i32_e64 s0, s8, v2
	s_delay_alu instid0(VALU_DEP_3)
	v_add_nc_u64_e32 v[2:3], s[6:7], v[4:5]
	v_add_nc_u64_e32 v[4:5], s[2:3], v[4:5]
	s_mov_b32 s3, 0
	s_mul_i32 s6, s14, s12
	s_mov_b32 s14, 0
	s_branch .LBB1_3
.LBB1_2:                                ;   in Loop: Header=BB1_3 Depth=1
	s_cmp_lt_i32 s14, s11
	s_cbranch_scc0 .LBB1_18
.LBB1_3:                                ; =>This Loop Header: Depth=1
                                        ;     Child Loop BB1_7 Depth 2
                                        ;       Child Loop BB1_15 Depth 3
	s_mov_b32 s7, s14
	s_mov_b32 s2, exec_lo
	v_add_nc_u32_e32 v6, s7, v14
	s_delay_alu instid0(VALU_DEP_1)
	v_cmpx_gt_i32_e64 s11, v6
	s_cbranch_execz .LBB1_5
; %bb.4:                                ;   in Loop: Header=BB1_3 Depth=1
	v_ashrrev_i32_e32 v7, 31, v6
	s_delay_alu instid0(VALU_DEP_1)
	v_lshl_add_u64 v[6:7], v[6:7], 3, s[4:5]
	global_load_b32 v6, v[6:7], off
	s_wait_loadcnt 0x0
	ds_store_b32 v17, v6
.LBB1_5:                                ;   in Loop: Header=BB1_3 Depth=1
	s_wait_xcnt 0x0
	s_or_b32 exec_lo, exec_lo, s2
	s_add_co_i32 s14, s7, s6
	s_mov_b32 s16, s7
	s_min_u32 s15, s14, s11
	s_delay_alu instid0(SALU_CYCLE_1)
	s_cmp_ge_i32 s7, s15
	s_cbranch_scc0 .LBB1_7
	s_branch .LBB1_2
.LBB1_6:                                ;   in Loop: Header=BB1_7 Depth=2
	s_wait_xcnt 0x0
	s_or_b32 exec_lo, exec_lo, s17
	s_add_co_i32 s16, s16, s12
	s_delay_alu instid0(SALU_CYCLE_1)
	s_cmp_ge_i32 s16, s15
	s_cbranch_scc1 .LBB1_2
.LBB1_7:                                ;   Parent Loop BB1_3 Depth=1
                                        ; =>  This Loop Header: Depth=2
                                        ;       Child Loop BB1_15 Depth 3
	v_add_nc_u32_e32 v8, s16, v13
	s_wait_dscnt 0x0
	s_barrier_signal -1
	s_barrier_wait -1
	s_delay_alu instid0(VALU_DEP_1) | instskip(SKIP_1) | instid1(VALU_DEP_2)
	v_subrev_nc_u32_e32 v6, s7, v8
	v_cmp_le_i32_e64 s1, s11, v8
	v_lshl_add_u32 v6, v6, 2, s13
	s_or_b32 s17, vcc_lo, s1
	ds_load_b32 v6, v6
	s_wait_dscnt 0x0
	v_cmp_eq_u32_e64 s2, s10, v6
	s_nor_b32 s18, s17, s2
	s_delay_alu instid0(SALU_CYCLE_1)
	s_and_saveexec_b32 s17, s18
	s_cbranch_execz .LBB1_9
; %bb.8:                                ;   in Loop: Header=BB1_7 Depth=2
	v_ashrrev_i32_e32 v9, 31, v8
	s_delay_alu instid0(VALU_DEP_1) | instskip(NEXT) | instid1(VALU_DEP_1)
	v_mul_u64_e32 v[8:9], s[8:9], v[8:9]
	v_lshl_add_u64 v[8:9], v[8:9], 3, v[2:3]
	global_load_b64 v[8:9], v[8:9], off
	s_wait_loadcnt 0x0
	ds_store_b64 v18, v[8:9]
.LBB1_9:                                ;   in Loop: Header=BB1_7 Depth=2
	s_wait_xcnt 0x0
	s_or_b32 exec_lo, exec_lo, s17
	s_nor_b32 s1, s1, s2
	s_wait_dscnt 0x0
	s_barrier_signal -1
	s_barrier_wait -1
	s_and_saveexec_b32 s17, s1
	s_cbranch_execz .LBB1_6
; %bb.10:                               ;   in Loop: Header=BB1_7 Depth=2
	s_sub_co_i32 s1, s15, s16
	s_mov_b32 s18, 0
	s_min_u32 s1, s1, s12
	s_mov_b32 s2, exec_lo
	v_cmpx_gt_u32_e64 s1, v12
	s_cbranch_execz .LBB1_12
; %bb.11:                               ;   in Loop: Header=BB1_7 Depth=2
	s_sub_co_i32 s1, s16, s7
	s_delay_alu instid0(SALU_CYCLE_1)
	v_lshl_add_u32 v7, s1, 2, v16
	ds_load_b32 v7, v7
	s_wait_dscnt 0x0
	v_cmp_eq_u32_e64 s1, v6, v7
	s_and_b32 s18, s1, exec_lo
.LBB1_12:                               ;   in Loop: Header=BB1_7 Depth=2
	s_or_b32 exec_lo, exec_lo, s2
	v_cndmask_b32_e64 v7, 0, 1, s18
	s_delay_alu instid0(VALU_DEP_1) | instskip(SKIP_4) | instid1(SALU_CYCLE_1)
	v_cmp_ne_u32_e64 s2, 0, v7
	s_ctz_i32_b64 s1, s[2:3]
	s_cmp_lg_u32 s2, 0
	v_cmp_eq_u32_e64 s1, s1, v13
	s_cselect_b32 s18, -1, 0
	s_and_b32 s1, s18, s1
	s_delay_alu instid0(SALU_CYCLE_1)
	s_and_b32 exec_lo, exec_lo, s1
	s_cbranch_execz .LBB1_6
; %bb.13:                               ;   in Loop: Header=BB1_7 Depth=2
	s_mov_b32 s18, exec_lo
	v_cmpx_ne_u64_e64 s[2:3], v[0:1]
	s_cbranch_execz .LBB1_16
; %bb.14:                               ;   in Loop: Header=BB1_7 Depth=2
	ds_load_b64 v[8:9], v18
	v_dual_mov_b32 v11, v1 :: v_dual_bitop2_b32 v10, s2, v0 bitop3:0x14
	s_mov_b32 s2, 0
.LBB1_15:                               ;   Parent Loop BB1_3 Depth=1
                                        ;     Parent Loop BB1_7 Depth=2
                                        ; =>    This Inner Loop Header: Depth=3
	s_delay_alu instid0(VALU_DEP_1) | instskip(NEXT) | instid1(VALU_DEP_2)
	v_ctz_i32_b32_e32 v7, v10
	v_ctz_i32_b32_e32 v19, v11
	s_delay_alu instid0(VALU_DEP_1) | instskip(NEXT) | instid1(VALU_DEP_1)
	v_add_min_u32_e64 v7, v19, 32, v7
	v_lshl_add_u32 v19, v7, 8, v15
	ds_load_b64 v[20:21], v19
	s_wait_dscnt 0x0
	v_add_f64_e32 v[8:9], v[20:21], v[8:9]
	v_lshlrev_b32_e64 v20, v7, 1
	s_delay_alu instid0(VALU_DEP_1) | instskip(NEXT) | instid1(VALU_DEP_1)
	v_dual_ashrrev_i32 v21, 31, v20 :: v_dual_bitop2_b32 v22, v10, v20 bitop3:0x14
	v_xor_b32_e32 v23, v11, v21
	v_cmp_eq_u64_e64 s1, v[10:11], v[20:21]
	s_delay_alu instid0(VALU_DEP_2)
	v_mov_b64_e32 v[10:11], v[22:23]
	s_or_b32 s2, s1, s2
	ds_store_b64 v18, v[8:9]
	s_and_not1_b32 exec_lo, exec_lo, s2
	s_cbranch_execnz .LBB1_15
.LBB1_16:                               ;   in Loop: Header=BB1_7 Depth=2
	s_or_b32 exec_lo, exec_lo, s18
	s_delay_alu instid0(SALU_CYCLE_1)
	s_and_b32 exec_lo, exec_lo, s0
	s_cbranch_execz .LBB1_6
; %bb.17:                               ;   in Loop: Header=BB1_7 Depth=2
	ds_load_b64 v[10:11], v18
	v_ashrrev_i32_e32 v7, 31, v6
	s_delay_alu instid0(VALU_DEP_1) | instskip(NEXT) | instid1(VALU_DEP_1)
	v_mul_u64_e32 v[6:7], s[8:9], v[6:7]
	v_lshl_add_u64 v[6:7], v[6:7], 3, v[4:5]
	global_load_b64 v[8:9], v[6:7], off
	s_wait_loadcnt_dscnt 0x0
	v_add_f64_e32 v[8:9], v[10:11], v[8:9]
	global_store_b64 v[6:7], v[8:9], off
	s_branch .LBB1_6
.LBB1_18:
	s_endpgm
	.section	.rodata,"a",@progbits
	.p2align	6, 0x0
	.amdhsa_kernel _ZN2at6native12_GLOBAL__N_133embedding_backward_feature_kernelIddlEEvPKT1_PKT_PS6_ili
		.amdhsa_group_segment_fixed_size 0
		.amdhsa_private_segment_fixed_size 0
		.amdhsa_kernarg_size 304
		.amdhsa_user_sgpr_count 2
		.amdhsa_user_sgpr_dispatch_ptr 0
		.amdhsa_user_sgpr_queue_ptr 0
		.amdhsa_user_sgpr_kernarg_segment_ptr 1
		.amdhsa_user_sgpr_dispatch_id 0
		.amdhsa_user_sgpr_kernarg_preload_length 0
		.amdhsa_user_sgpr_kernarg_preload_offset 0
		.amdhsa_user_sgpr_private_segment_size 0
		.amdhsa_wavefront_size32 1
		.amdhsa_uses_dynamic_stack 0
		.amdhsa_enable_private_segment 0
		.amdhsa_system_sgpr_workgroup_id_x 1
		.amdhsa_system_sgpr_workgroup_id_y 0
		.amdhsa_system_sgpr_workgroup_id_z 0
		.amdhsa_system_sgpr_workgroup_info 0
		.amdhsa_system_vgpr_workitem_id 1
		.amdhsa_next_free_vgpr 24
		.amdhsa_next_free_sgpr 19
		.amdhsa_named_barrier_count 0
		.amdhsa_reserve_vcc 1
		.amdhsa_float_round_mode_32 0
		.amdhsa_float_round_mode_16_64 0
		.amdhsa_float_denorm_mode_32 3
		.amdhsa_float_denorm_mode_16_64 3
		.amdhsa_fp16_overflow 0
		.amdhsa_memory_ordered 1
		.amdhsa_forward_progress 1
		.amdhsa_inst_pref_size 8
		.amdhsa_round_robin_scheduling 0
		.amdhsa_exception_fp_ieee_invalid_op 0
		.amdhsa_exception_fp_denorm_src 0
		.amdhsa_exception_fp_ieee_div_zero 0
		.amdhsa_exception_fp_ieee_overflow 0
		.amdhsa_exception_fp_ieee_underflow 0
		.amdhsa_exception_fp_ieee_inexact 0
		.amdhsa_exception_int_div_zero 0
	.end_amdhsa_kernel
	.section	.text._ZN2at6native12_GLOBAL__N_133embedding_backward_feature_kernelIddlEEvPKT1_PKT_PS6_ili,"axG",@progbits,_ZN2at6native12_GLOBAL__N_133embedding_backward_feature_kernelIddlEEvPKT1_PKT_PS6_ili,comdat
.Lfunc_end1:
	.size	_ZN2at6native12_GLOBAL__N_133embedding_backward_feature_kernelIddlEEvPKT1_PKT_PS6_ili, .Lfunc_end1-_ZN2at6native12_GLOBAL__N_133embedding_backward_feature_kernelIddlEEvPKT1_PKT_PS6_ili
                                        ; -- End function
	.set _ZN2at6native12_GLOBAL__N_133embedding_backward_feature_kernelIddlEEvPKT1_PKT_PS6_ili.num_vgpr, 24
	.set _ZN2at6native12_GLOBAL__N_133embedding_backward_feature_kernelIddlEEvPKT1_PKT_PS6_ili.num_agpr, 0
	.set _ZN2at6native12_GLOBAL__N_133embedding_backward_feature_kernelIddlEEvPKT1_PKT_PS6_ili.numbered_sgpr, 19
	.set _ZN2at6native12_GLOBAL__N_133embedding_backward_feature_kernelIddlEEvPKT1_PKT_PS6_ili.num_named_barrier, 0
	.set _ZN2at6native12_GLOBAL__N_133embedding_backward_feature_kernelIddlEEvPKT1_PKT_PS6_ili.private_seg_size, 0
	.set _ZN2at6native12_GLOBAL__N_133embedding_backward_feature_kernelIddlEEvPKT1_PKT_PS6_ili.uses_vcc, 1
	.set _ZN2at6native12_GLOBAL__N_133embedding_backward_feature_kernelIddlEEvPKT1_PKT_PS6_ili.uses_flat_scratch, 0
	.set _ZN2at6native12_GLOBAL__N_133embedding_backward_feature_kernelIddlEEvPKT1_PKT_PS6_ili.has_dyn_sized_stack, 0
	.set _ZN2at6native12_GLOBAL__N_133embedding_backward_feature_kernelIddlEEvPKT1_PKT_PS6_ili.has_recursion, 0
	.set _ZN2at6native12_GLOBAL__N_133embedding_backward_feature_kernelIddlEEvPKT1_PKT_PS6_ili.has_indirect_call, 0
	.section	.AMDGPU.csdata,"",@progbits
; Kernel info:
; codeLenInByte = 928
; TotalNumSgprs: 21
; NumVgprs: 24
; ScratchSize: 0
; MemoryBound: 0
; FloatMode: 240
; IeeeMode: 1
; LDSByteSize: 0 bytes/workgroup (compile time only)
; SGPRBlocks: 0
; VGPRBlocks: 1
; NumSGPRsForWavesPerEU: 21
; NumVGPRsForWavesPerEU: 24
; NamedBarCnt: 0
; Occupancy: 16
; WaveLimiterHint : 0
; COMPUTE_PGM_RSRC2:SCRATCH_EN: 0
; COMPUTE_PGM_RSRC2:USER_SGPR: 2
; COMPUTE_PGM_RSRC2:TRAP_HANDLER: 0
; COMPUTE_PGM_RSRC2:TGID_X_EN: 1
; COMPUTE_PGM_RSRC2:TGID_Y_EN: 0
; COMPUTE_PGM_RSRC2:TGID_Z_EN: 0
; COMPUTE_PGM_RSRC2:TIDIG_COMP_CNT: 1
	.section	.text._ZN2at6native12_GLOBAL__N_133embedding_backward_feature_kernelIffiEEvPKT1_PKT_PS6_ili,"axG",@progbits,_ZN2at6native12_GLOBAL__N_133embedding_backward_feature_kernelIffiEEvPKT1_PKT_PS6_ili,comdat
	.globl	_ZN2at6native12_GLOBAL__N_133embedding_backward_feature_kernelIffiEEvPKT1_PKT_PS6_ili ; -- Begin function _ZN2at6native12_GLOBAL__N_133embedding_backward_feature_kernelIffiEEvPKT1_PKT_PS6_ili
	.p2align	8
	.type	_ZN2at6native12_GLOBAL__N_133embedding_backward_feature_kernelIffiEEvPKT1_PKT_PS6_ili,@function
_ZN2at6native12_GLOBAL__N_133embedding_backward_feature_kernelIffiEEvPKT1_PKT_PS6_ili: ; @_ZN2at6native12_GLOBAL__N_133embedding_backward_feature_kernelIffiEEvPKT1_PKT_PS6_ili
; %bb.0:
	s_load_b32 s11, s[0:1], 0x18
	s_wait_kmcnt 0x0
	s_cmp_lt_i32 s11, 1
	s_cbranch_scc1 .LBB2_18
; %bb.1:
	s_clause 0x1
	s_load_u16 s12, s[0:1], 0x3e
	s_load_b32 s2, s[0:1], 0x3c
	s_bfe_u32 s3, ttmp6, 0x4000c
	s_and_b32 s4, ttmp6, 15
	s_add_co_i32 s3, s3, 1
	s_getreg_b32 s5, hwreg(HW_REG_IB_STS2, 6, 4)
	s_mul_i32 s3, ttmp9, s3
	v_and_b32_e32 v10, 0x3ff, v0
	s_add_co_i32 s4, s4, s3
	v_bfe_u32 v11, v0, 10, 10
	s_delay_alu instid0(VALU_DEP_2) | instskip(NEXT) | instid1(VALU_DEP_1)
	v_dual_lshrrev_b32 v0, 10, v0 :: v_dual_lshlrev_b32 v1, 2, v10
	v_lshlrev_b32_e64 v0, v0, 1
	s_wait_kmcnt 0x0
	s_lshl_b32 s3, s12, 7
	s_and_b32 s14, s2, 0xffff
	s_add_co_i32 s13, s3, 0
	s_cmp_eq_u32 s5, 0
	v_mad_u32_u24 v12, v11, s14, v10
	s_cselect_b32 s2, ttmp9, s4
	v_dual_add_nc_u32 v13, 0, v1 :: v_dual_add_nc_u32 v14, s13, v1
	v_mad_u32 v2, s2, s14, v10
	s_clause 0x2
	s_load_b96 s[8:10], s[0:1], 0x20
	s_load_b128 s[4:7], s[0:1], 0x0
	s_load_b64 s[2:3], s[0:1], 0x10
	v_lshl_add_u32 v15, v12, 2, s13
	v_lshl_add_u32 v16, v11, 7, v13
	s_delay_alu instid0(VALU_DEP_3) | instskip(NEXT) | instid1(VALU_DEP_1)
	v_dual_ashrrev_i32 v1, 31, v0 :: v_dual_ashrrev_i32 v3, 31, v2
	v_lshlrev_b64_e32 v[4:5], 2, v[2:3]
	s_wait_kmcnt 0x0
	v_cmp_le_i32_e32 vcc_lo, s8, v2
	v_cmp_gt_i32_e64 s0, s8, v2
	s_delay_alu instid0(VALU_DEP_3)
	v_add_nc_u64_e32 v[2:3], s[6:7], v[4:5]
	v_add_nc_u64_e32 v[4:5], s[2:3], v[4:5]
	s_mov_b32 s3, 0
	s_mul_i32 s6, s14, s12
	s_mov_b32 s14, 0
	s_branch .LBB2_3
.LBB2_2:                                ;   in Loop: Header=BB2_3 Depth=1
	s_cmp_lt_i32 s14, s11
	s_cbranch_scc0 .LBB2_18
.LBB2_3:                                ; =>This Loop Header: Depth=1
                                        ;     Child Loop BB2_7 Depth 2
                                        ;       Child Loop BB2_15 Depth 3
	s_mov_b32 s7, s14
	s_mov_b32 s2, exec_lo
	v_add_nc_u32_e32 v6, s7, v12
	s_delay_alu instid0(VALU_DEP_1)
	v_cmpx_gt_i32_e64 s11, v6
	s_cbranch_execz .LBB2_5
; %bb.4:                                ;   in Loop: Header=BB2_3 Depth=1
	global_load_b32 v6, v6, s[4:5] scale_offset
	s_wait_loadcnt 0x0
	ds_store_b32 v15, v6
.LBB2_5:                                ;   in Loop: Header=BB2_3 Depth=1
	s_wait_xcnt 0x0
	s_or_b32 exec_lo, exec_lo, s2
	s_add_co_i32 s14, s7, s6
	s_mov_b32 s16, s7
	s_min_u32 s15, s14, s11
	s_delay_alu instid0(SALU_CYCLE_1)
	s_cmp_ge_i32 s7, s15
	s_cbranch_scc0 .LBB2_7
	s_branch .LBB2_2
.LBB2_6:                                ;   in Loop: Header=BB2_7 Depth=2
	s_wait_xcnt 0x0
	s_or_b32 exec_lo, exec_lo, s17
	s_add_co_i32 s16, s16, s12
	s_delay_alu instid0(SALU_CYCLE_1)
	s_cmp_ge_i32 s16, s15
	s_cbranch_scc1 .LBB2_2
.LBB2_7:                                ;   Parent Loop BB2_3 Depth=1
                                        ; =>  This Loop Header: Depth=2
                                        ;       Child Loop BB2_15 Depth 3
	v_add_nc_u32_e32 v8, s16, v11
	s_wait_dscnt 0x0
	s_barrier_signal -1
	s_barrier_wait -1
	s_delay_alu instid0(VALU_DEP_1) | instskip(SKIP_1) | instid1(VALU_DEP_2)
	v_subrev_nc_u32_e32 v6, s7, v8
	v_cmp_le_i32_e64 s1, s11, v8
	v_lshl_add_u32 v6, v6, 2, s13
	s_or_b32 s17, vcc_lo, s1
	ds_load_b32 v6, v6
	s_wait_dscnt 0x0
	v_cmp_eq_u32_e64 s2, s10, v6
	s_nor_b32 s18, s17, s2
	s_delay_alu instid0(SALU_CYCLE_1)
	s_and_saveexec_b32 s17, s18
	s_cbranch_execz .LBB2_9
; %bb.8:                                ;   in Loop: Header=BB2_7 Depth=2
	v_ashrrev_i32_e32 v9, 31, v8
	s_delay_alu instid0(VALU_DEP_1) | instskip(NEXT) | instid1(VALU_DEP_1)
	v_mul_u64_e32 v[8:9], s[8:9], v[8:9]
	v_lshl_add_u64 v[8:9], v[8:9], 2, v[2:3]
	global_load_b32 v7, v[8:9], off
	s_wait_loadcnt 0x0
	ds_store_b32 v16, v7
.LBB2_9:                                ;   in Loop: Header=BB2_7 Depth=2
	s_wait_xcnt 0x0
	s_or_b32 exec_lo, exec_lo, s17
	s_nor_b32 s1, s1, s2
	s_wait_dscnt 0x0
	s_barrier_signal -1
	s_barrier_wait -1
	s_and_saveexec_b32 s17, s1
	s_cbranch_execz .LBB2_6
; %bb.10:                               ;   in Loop: Header=BB2_7 Depth=2
	s_sub_co_i32 s1, s15, s16
	s_mov_b32 s18, 0
	s_min_u32 s1, s1, s12
	s_mov_b32 s2, exec_lo
	v_cmpx_gt_u32_e64 s1, v10
	s_cbranch_execz .LBB2_12
; %bb.11:                               ;   in Loop: Header=BB2_7 Depth=2
	s_sub_co_i32 s1, s16, s7
	s_delay_alu instid0(SALU_CYCLE_1)
	v_lshl_add_u32 v7, s1, 2, v14
	ds_load_b32 v7, v7
	s_wait_dscnt 0x0
	v_cmp_eq_u32_e64 s1, v6, v7
	s_and_b32 s18, s1, exec_lo
.LBB2_12:                               ;   in Loop: Header=BB2_7 Depth=2
	s_or_b32 exec_lo, exec_lo, s2
	v_cndmask_b32_e64 v7, 0, 1, s18
	s_delay_alu instid0(VALU_DEP_1) | instskip(SKIP_4) | instid1(SALU_CYCLE_1)
	v_cmp_ne_u32_e64 s2, 0, v7
	s_ctz_i32_b64 s1, s[2:3]
	s_cmp_lg_u32 s2, 0
	v_cmp_eq_u32_e64 s1, s1, v11
	s_cselect_b32 s18, -1, 0
	s_and_b32 s1, s18, s1
	s_delay_alu instid0(SALU_CYCLE_1)
	s_and_b32 exec_lo, exec_lo, s1
	s_cbranch_execz .LBB2_6
; %bb.13:                               ;   in Loop: Header=BB2_7 Depth=2
	s_mov_b32 s18, exec_lo
	v_cmpx_ne_u64_e64 s[2:3], v[0:1]
	s_cbranch_execz .LBB2_16
; %bb.14:                               ;   in Loop: Header=BB2_7 Depth=2
	ds_load_b32 v7, v16
	v_dual_mov_b32 v9, v1 :: v_dual_bitop2_b32 v8, s2, v0 bitop3:0x14
	s_mov_b32 s2, 0
.LBB2_15:                               ;   Parent Loop BB2_3 Depth=1
                                        ;     Parent Loop BB2_7 Depth=2
                                        ; =>    This Inner Loop Header: Depth=3
	s_delay_alu instid0(VALU_DEP_1) | instskip(NEXT) | instid1(VALU_DEP_2)
	v_ctz_i32_b32_e32 v17, v8
	v_ctz_i32_b32_e32 v18, v9
	s_delay_alu instid0(VALU_DEP_1) | instskip(NEXT) | instid1(VALU_DEP_1)
	v_add_min_u32_e64 v17, v18, 32, v17
	v_lshl_add_u32 v18, v17, 7, v13
	ds_load_b32 v22, v18
	v_lshlrev_b32_e64 v18, v17, 1
	s_delay_alu instid0(VALU_DEP_1) | instskip(NEXT) | instid1(VALU_DEP_1)
	v_dual_ashrrev_i32 v19, 31, v18 :: v_dual_bitop2_b32 v20, v8, v18 bitop3:0x14
	v_xor_b32_e32 v21, v9, v19
	v_cmp_eq_u64_e64 s1, v[8:9], v[18:19]
	s_delay_alu instid0(VALU_DEP_2)
	v_mov_b64_e32 v[8:9], v[20:21]
	s_or_b32 s2, s1, s2
	s_wait_dscnt 0x0
	v_add_f32_e32 v7, v22, v7
	ds_store_b32 v16, v7
	s_and_not1_b32 exec_lo, exec_lo, s2
	s_cbranch_execnz .LBB2_15
.LBB2_16:                               ;   in Loop: Header=BB2_7 Depth=2
	s_or_b32 exec_lo, exec_lo, s18
	s_delay_alu instid0(SALU_CYCLE_1)
	s_and_b32 exec_lo, exec_lo, s0
	s_cbranch_execz .LBB2_6
; %bb.17:                               ;   in Loop: Header=BB2_7 Depth=2
	ds_load_b32 v9, v16
	v_ashrrev_i32_e32 v7, 31, v6
	s_delay_alu instid0(VALU_DEP_1) | instskip(NEXT) | instid1(VALU_DEP_1)
	v_mul_u64_e32 v[6:7], s[8:9], v[6:7]
	v_lshl_add_u64 v[6:7], v[6:7], 2, v[4:5]
	global_load_b32 v8, v[6:7], off
	s_wait_loadcnt_dscnt 0x0
	v_add_f32_e32 v8, v9, v8
	global_store_b32 v[6:7], v8, off
	s_branch .LBB2_6
.LBB2_18:
	s_endpgm
	.section	.rodata,"a",@progbits
	.p2align	6, 0x0
	.amdhsa_kernel _ZN2at6native12_GLOBAL__N_133embedding_backward_feature_kernelIffiEEvPKT1_PKT_PS6_ili
		.amdhsa_group_segment_fixed_size 0
		.amdhsa_private_segment_fixed_size 0
		.amdhsa_kernarg_size 304
		.amdhsa_user_sgpr_count 2
		.amdhsa_user_sgpr_dispatch_ptr 0
		.amdhsa_user_sgpr_queue_ptr 0
		.amdhsa_user_sgpr_kernarg_segment_ptr 1
		.amdhsa_user_sgpr_dispatch_id 0
		.amdhsa_user_sgpr_kernarg_preload_length 0
		.amdhsa_user_sgpr_kernarg_preload_offset 0
		.amdhsa_user_sgpr_private_segment_size 0
		.amdhsa_wavefront_size32 1
		.amdhsa_uses_dynamic_stack 0
		.amdhsa_enable_private_segment 0
		.amdhsa_system_sgpr_workgroup_id_x 1
		.amdhsa_system_sgpr_workgroup_id_y 0
		.amdhsa_system_sgpr_workgroup_id_z 0
		.amdhsa_system_sgpr_workgroup_info 0
		.amdhsa_system_vgpr_workitem_id 1
		.amdhsa_next_free_vgpr 23
		.amdhsa_next_free_sgpr 19
		.amdhsa_named_barrier_count 0
		.amdhsa_reserve_vcc 1
		.amdhsa_float_round_mode_32 0
		.amdhsa_float_round_mode_16_64 0
		.amdhsa_float_denorm_mode_32 3
		.amdhsa_float_denorm_mode_16_64 3
		.amdhsa_fp16_overflow 0
		.amdhsa_memory_ordered 1
		.amdhsa_forward_progress 1
		.amdhsa_inst_pref_size 8
		.amdhsa_round_robin_scheduling 0
		.amdhsa_exception_fp_ieee_invalid_op 0
		.amdhsa_exception_fp_denorm_src 0
		.amdhsa_exception_fp_ieee_div_zero 0
		.amdhsa_exception_fp_ieee_overflow 0
		.amdhsa_exception_fp_ieee_underflow 0
		.amdhsa_exception_fp_ieee_inexact 0
		.amdhsa_exception_int_div_zero 0
	.end_amdhsa_kernel
	.section	.text._ZN2at6native12_GLOBAL__N_133embedding_backward_feature_kernelIffiEEvPKT1_PKT_PS6_ili,"axG",@progbits,_ZN2at6native12_GLOBAL__N_133embedding_backward_feature_kernelIffiEEvPKT1_PKT_PS6_ili,comdat
.Lfunc_end2:
	.size	_ZN2at6native12_GLOBAL__N_133embedding_backward_feature_kernelIffiEEvPKT1_PKT_PS6_ili, .Lfunc_end2-_ZN2at6native12_GLOBAL__N_133embedding_backward_feature_kernelIffiEEvPKT1_PKT_PS6_ili
                                        ; -- End function
	.set _ZN2at6native12_GLOBAL__N_133embedding_backward_feature_kernelIffiEEvPKT1_PKT_PS6_ili.num_vgpr, 23
	.set _ZN2at6native12_GLOBAL__N_133embedding_backward_feature_kernelIffiEEvPKT1_PKT_PS6_ili.num_agpr, 0
	.set _ZN2at6native12_GLOBAL__N_133embedding_backward_feature_kernelIffiEEvPKT1_PKT_PS6_ili.numbered_sgpr, 19
	.set _ZN2at6native12_GLOBAL__N_133embedding_backward_feature_kernelIffiEEvPKT1_PKT_PS6_ili.num_named_barrier, 0
	.set _ZN2at6native12_GLOBAL__N_133embedding_backward_feature_kernelIffiEEvPKT1_PKT_PS6_ili.private_seg_size, 0
	.set _ZN2at6native12_GLOBAL__N_133embedding_backward_feature_kernelIffiEEvPKT1_PKT_PS6_ili.uses_vcc, 1
	.set _ZN2at6native12_GLOBAL__N_133embedding_backward_feature_kernelIffiEEvPKT1_PKT_PS6_ili.uses_flat_scratch, 0
	.set _ZN2at6native12_GLOBAL__N_133embedding_backward_feature_kernelIffiEEvPKT1_PKT_PS6_ili.has_dyn_sized_stack, 0
	.set _ZN2at6native12_GLOBAL__N_133embedding_backward_feature_kernelIffiEEvPKT1_PKT_PS6_ili.has_recursion, 0
	.set _ZN2at6native12_GLOBAL__N_133embedding_backward_feature_kernelIffiEEvPKT1_PKT_PS6_ili.has_indirect_call, 0
	.section	.AMDGPU.csdata,"",@progbits
; Kernel info:
; codeLenInByte = 912
; TotalNumSgprs: 21
; NumVgprs: 23
; ScratchSize: 0
; MemoryBound: 0
; FloatMode: 240
; IeeeMode: 1
; LDSByteSize: 0 bytes/workgroup (compile time only)
; SGPRBlocks: 0
; VGPRBlocks: 1
; NumSGPRsForWavesPerEU: 21
; NumVGPRsForWavesPerEU: 23
; NamedBarCnt: 0
; Occupancy: 16
; WaveLimiterHint : 0
; COMPUTE_PGM_RSRC2:SCRATCH_EN: 0
; COMPUTE_PGM_RSRC2:USER_SGPR: 2
; COMPUTE_PGM_RSRC2:TRAP_HANDLER: 0
; COMPUTE_PGM_RSRC2:TGID_X_EN: 1
; COMPUTE_PGM_RSRC2:TGID_Y_EN: 0
; COMPUTE_PGM_RSRC2:TGID_Z_EN: 0
; COMPUTE_PGM_RSRC2:TIDIG_COMP_CNT: 1
	.section	.text._ZN2at6native12_GLOBAL__N_133embedding_backward_feature_kernelIfflEEvPKT1_PKT_PS6_ili,"axG",@progbits,_ZN2at6native12_GLOBAL__N_133embedding_backward_feature_kernelIfflEEvPKT1_PKT_PS6_ili,comdat
	.globl	_ZN2at6native12_GLOBAL__N_133embedding_backward_feature_kernelIfflEEvPKT1_PKT_PS6_ili ; -- Begin function _ZN2at6native12_GLOBAL__N_133embedding_backward_feature_kernelIfflEEvPKT1_PKT_PS6_ili
	.p2align	8
	.type	_ZN2at6native12_GLOBAL__N_133embedding_backward_feature_kernelIfflEEvPKT1_PKT_PS6_ili,@function
_ZN2at6native12_GLOBAL__N_133embedding_backward_feature_kernelIfflEEvPKT1_PKT_PS6_ili: ; @_ZN2at6native12_GLOBAL__N_133embedding_backward_feature_kernelIfflEEvPKT1_PKT_PS6_ili
; %bb.0:
	s_load_b32 s11, s[0:1], 0x18
	s_wait_kmcnt 0x0
	s_cmp_lt_i32 s11, 1
	s_cbranch_scc1 .LBB3_18
; %bb.1:
	s_clause 0x1
	s_load_u16 s12, s[0:1], 0x3e
	s_load_b32 s2, s[0:1], 0x3c
	s_bfe_u32 s3, ttmp6, 0x4000c
	s_and_b32 s4, ttmp6, 15
	s_add_co_i32 s3, s3, 1
	s_getreg_b32 s5, hwreg(HW_REG_IB_STS2, 6, 4)
	s_mul_i32 s3, ttmp9, s3
	v_and_b32_e32 v10, 0x3ff, v0
	s_add_co_i32 s4, s4, s3
	v_bfe_u32 v11, v0, 10, 10
	s_delay_alu instid0(VALU_DEP_2) | instskip(NEXT) | instid1(VALU_DEP_1)
	v_dual_lshrrev_b32 v0, 10, v0 :: v_dual_lshlrev_b32 v1, 2, v10
	v_lshlrev_b32_e64 v0, v0, 1
	s_wait_kmcnt 0x0
	s_lshl_b32 s3, s12, 7
	s_and_b32 s14, s2, 0xffff
	s_add_co_i32 s13, s3, 0
	s_cmp_eq_u32 s5, 0
	v_mad_u32_u24 v12, v11, s14, v10
	s_cselect_b32 s2, ttmp9, s4
	v_dual_add_nc_u32 v13, 0, v1 :: v_dual_add_nc_u32 v14, s13, v1
	v_mad_u32 v2, s2, s14, v10
	s_clause 0x2
	s_load_b96 s[8:10], s[0:1], 0x20
	s_load_b128 s[4:7], s[0:1], 0x0
	s_load_b64 s[2:3], s[0:1], 0x10
	v_lshl_add_u32 v15, v12, 2, s13
	v_lshl_add_u32 v16, v11, 7, v13
	s_delay_alu instid0(VALU_DEP_3) | instskip(NEXT) | instid1(VALU_DEP_1)
	v_dual_ashrrev_i32 v1, 31, v0 :: v_dual_ashrrev_i32 v3, 31, v2
	v_lshlrev_b64_e32 v[4:5], 2, v[2:3]
	s_wait_kmcnt 0x0
	v_cmp_le_i32_e32 vcc_lo, s8, v2
	v_cmp_gt_i32_e64 s0, s8, v2
	s_delay_alu instid0(VALU_DEP_3)
	v_add_nc_u64_e32 v[2:3], s[6:7], v[4:5]
	v_add_nc_u64_e32 v[4:5], s[2:3], v[4:5]
	s_mov_b32 s3, 0
	s_mul_i32 s6, s14, s12
	s_mov_b32 s14, 0
	s_branch .LBB3_3
.LBB3_2:                                ;   in Loop: Header=BB3_3 Depth=1
	s_cmp_lt_i32 s14, s11
	s_cbranch_scc0 .LBB3_18
.LBB3_3:                                ; =>This Loop Header: Depth=1
                                        ;     Child Loop BB3_7 Depth 2
                                        ;       Child Loop BB3_15 Depth 3
	s_mov_b32 s7, s14
	s_mov_b32 s2, exec_lo
	v_add_nc_u32_e32 v6, s7, v12
	s_delay_alu instid0(VALU_DEP_1)
	v_cmpx_gt_i32_e64 s11, v6
	s_cbranch_execz .LBB3_5
; %bb.4:                                ;   in Loop: Header=BB3_3 Depth=1
	v_ashrrev_i32_e32 v7, 31, v6
	s_delay_alu instid0(VALU_DEP_1)
	v_lshl_add_u64 v[6:7], v[6:7], 3, s[4:5]
	global_load_b32 v6, v[6:7], off
	s_wait_loadcnt 0x0
	ds_store_b32 v15, v6
.LBB3_5:                                ;   in Loop: Header=BB3_3 Depth=1
	s_wait_xcnt 0x0
	s_or_b32 exec_lo, exec_lo, s2
	s_add_co_i32 s14, s7, s6
	s_mov_b32 s16, s7
	s_min_u32 s15, s14, s11
	s_delay_alu instid0(SALU_CYCLE_1)
	s_cmp_ge_i32 s7, s15
	s_cbranch_scc0 .LBB3_7
	s_branch .LBB3_2
.LBB3_6:                                ;   in Loop: Header=BB3_7 Depth=2
	s_wait_xcnt 0x0
	s_or_b32 exec_lo, exec_lo, s17
	s_add_co_i32 s16, s16, s12
	s_delay_alu instid0(SALU_CYCLE_1)
	s_cmp_ge_i32 s16, s15
	s_cbranch_scc1 .LBB3_2
.LBB3_7:                                ;   Parent Loop BB3_3 Depth=1
                                        ; =>  This Loop Header: Depth=2
                                        ;       Child Loop BB3_15 Depth 3
	v_add_nc_u32_e32 v8, s16, v11
	s_wait_dscnt 0x0
	s_barrier_signal -1
	s_barrier_wait -1
	s_delay_alu instid0(VALU_DEP_1) | instskip(SKIP_1) | instid1(VALU_DEP_2)
	v_subrev_nc_u32_e32 v6, s7, v8
	v_cmp_le_i32_e64 s1, s11, v8
	v_lshl_add_u32 v6, v6, 2, s13
	s_or_b32 s17, vcc_lo, s1
	ds_load_b32 v6, v6
	s_wait_dscnt 0x0
	v_cmp_eq_u32_e64 s2, s10, v6
	s_nor_b32 s18, s17, s2
	s_delay_alu instid0(SALU_CYCLE_1)
	s_and_saveexec_b32 s17, s18
	s_cbranch_execz .LBB3_9
; %bb.8:                                ;   in Loop: Header=BB3_7 Depth=2
	v_ashrrev_i32_e32 v9, 31, v8
	s_delay_alu instid0(VALU_DEP_1) | instskip(NEXT) | instid1(VALU_DEP_1)
	v_mul_u64_e32 v[8:9], s[8:9], v[8:9]
	v_lshl_add_u64 v[8:9], v[8:9], 2, v[2:3]
	global_load_b32 v7, v[8:9], off
	s_wait_loadcnt 0x0
	ds_store_b32 v16, v7
.LBB3_9:                                ;   in Loop: Header=BB3_7 Depth=2
	s_wait_xcnt 0x0
	s_or_b32 exec_lo, exec_lo, s17
	s_nor_b32 s1, s1, s2
	s_wait_dscnt 0x0
	s_barrier_signal -1
	s_barrier_wait -1
	s_and_saveexec_b32 s17, s1
	s_cbranch_execz .LBB3_6
; %bb.10:                               ;   in Loop: Header=BB3_7 Depth=2
	s_sub_co_i32 s1, s15, s16
	s_mov_b32 s18, 0
	s_min_u32 s1, s1, s12
	s_mov_b32 s2, exec_lo
	v_cmpx_gt_u32_e64 s1, v10
	s_cbranch_execz .LBB3_12
; %bb.11:                               ;   in Loop: Header=BB3_7 Depth=2
	s_sub_co_i32 s1, s16, s7
	s_delay_alu instid0(SALU_CYCLE_1)
	v_lshl_add_u32 v7, s1, 2, v14
	ds_load_b32 v7, v7
	s_wait_dscnt 0x0
	v_cmp_eq_u32_e64 s1, v6, v7
	s_and_b32 s18, s1, exec_lo
.LBB3_12:                               ;   in Loop: Header=BB3_7 Depth=2
	s_or_b32 exec_lo, exec_lo, s2
	v_cndmask_b32_e64 v7, 0, 1, s18
	s_delay_alu instid0(VALU_DEP_1) | instskip(SKIP_4) | instid1(SALU_CYCLE_1)
	v_cmp_ne_u32_e64 s2, 0, v7
	s_ctz_i32_b64 s1, s[2:3]
	s_cmp_lg_u32 s2, 0
	v_cmp_eq_u32_e64 s1, s1, v11
	s_cselect_b32 s18, -1, 0
	s_and_b32 s1, s18, s1
	s_delay_alu instid0(SALU_CYCLE_1)
	s_and_b32 exec_lo, exec_lo, s1
	s_cbranch_execz .LBB3_6
; %bb.13:                               ;   in Loop: Header=BB3_7 Depth=2
	s_mov_b32 s18, exec_lo
	v_cmpx_ne_u64_e64 s[2:3], v[0:1]
	s_cbranch_execz .LBB3_16
; %bb.14:                               ;   in Loop: Header=BB3_7 Depth=2
	ds_load_b32 v7, v16
	v_dual_mov_b32 v9, v1 :: v_dual_bitop2_b32 v8, s2, v0 bitop3:0x14
	s_mov_b32 s2, 0
.LBB3_15:                               ;   Parent Loop BB3_3 Depth=1
                                        ;     Parent Loop BB3_7 Depth=2
                                        ; =>    This Inner Loop Header: Depth=3
	s_delay_alu instid0(VALU_DEP_1) | instskip(NEXT) | instid1(VALU_DEP_2)
	v_ctz_i32_b32_e32 v17, v8
	v_ctz_i32_b32_e32 v18, v9
	s_delay_alu instid0(VALU_DEP_1) | instskip(NEXT) | instid1(VALU_DEP_1)
	v_add_min_u32_e64 v17, v18, 32, v17
	v_lshl_add_u32 v18, v17, 7, v13
	ds_load_b32 v22, v18
	v_lshlrev_b32_e64 v18, v17, 1
	s_delay_alu instid0(VALU_DEP_1) | instskip(NEXT) | instid1(VALU_DEP_1)
	v_dual_ashrrev_i32 v19, 31, v18 :: v_dual_bitop2_b32 v20, v8, v18 bitop3:0x14
	v_xor_b32_e32 v21, v9, v19
	v_cmp_eq_u64_e64 s1, v[8:9], v[18:19]
	s_delay_alu instid0(VALU_DEP_2)
	v_mov_b64_e32 v[8:9], v[20:21]
	s_or_b32 s2, s1, s2
	s_wait_dscnt 0x0
	v_add_f32_e32 v7, v22, v7
	ds_store_b32 v16, v7
	s_and_not1_b32 exec_lo, exec_lo, s2
	s_cbranch_execnz .LBB3_15
.LBB3_16:                               ;   in Loop: Header=BB3_7 Depth=2
	s_or_b32 exec_lo, exec_lo, s18
	s_delay_alu instid0(SALU_CYCLE_1)
	s_and_b32 exec_lo, exec_lo, s0
	s_cbranch_execz .LBB3_6
; %bb.17:                               ;   in Loop: Header=BB3_7 Depth=2
	ds_load_b32 v9, v16
	v_ashrrev_i32_e32 v7, 31, v6
	s_delay_alu instid0(VALU_DEP_1) | instskip(NEXT) | instid1(VALU_DEP_1)
	v_mul_u64_e32 v[6:7], s[8:9], v[6:7]
	v_lshl_add_u64 v[6:7], v[6:7], 2, v[4:5]
	global_load_b32 v8, v[6:7], off
	s_wait_loadcnt_dscnt 0x0
	v_add_f32_e32 v8, v9, v8
	global_store_b32 v[6:7], v8, off
	s_branch .LBB3_6
.LBB3_18:
	s_endpgm
	.section	.rodata,"a",@progbits
	.p2align	6, 0x0
	.amdhsa_kernel _ZN2at6native12_GLOBAL__N_133embedding_backward_feature_kernelIfflEEvPKT1_PKT_PS6_ili
		.amdhsa_group_segment_fixed_size 0
		.amdhsa_private_segment_fixed_size 0
		.amdhsa_kernarg_size 304
		.amdhsa_user_sgpr_count 2
		.amdhsa_user_sgpr_dispatch_ptr 0
		.amdhsa_user_sgpr_queue_ptr 0
		.amdhsa_user_sgpr_kernarg_segment_ptr 1
		.amdhsa_user_sgpr_dispatch_id 0
		.amdhsa_user_sgpr_kernarg_preload_length 0
		.amdhsa_user_sgpr_kernarg_preload_offset 0
		.amdhsa_user_sgpr_private_segment_size 0
		.amdhsa_wavefront_size32 1
		.amdhsa_uses_dynamic_stack 0
		.amdhsa_enable_private_segment 0
		.amdhsa_system_sgpr_workgroup_id_x 1
		.amdhsa_system_sgpr_workgroup_id_y 0
		.amdhsa_system_sgpr_workgroup_id_z 0
		.amdhsa_system_sgpr_workgroup_info 0
		.amdhsa_system_vgpr_workitem_id 1
		.amdhsa_next_free_vgpr 23
		.amdhsa_next_free_sgpr 19
		.amdhsa_named_barrier_count 0
		.amdhsa_reserve_vcc 1
		.amdhsa_float_round_mode_32 0
		.amdhsa_float_round_mode_16_64 0
		.amdhsa_float_denorm_mode_32 3
		.amdhsa_float_denorm_mode_16_64 3
		.amdhsa_fp16_overflow 0
		.amdhsa_memory_ordered 1
		.amdhsa_forward_progress 1
		.amdhsa_inst_pref_size 8
		.amdhsa_round_robin_scheduling 0
		.amdhsa_exception_fp_ieee_invalid_op 0
		.amdhsa_exception_fp_denorm_src 0
		.amdhsa_exception_fp_ieee_div_zero 0
		.amdhsa_exception_fp_ieee_overflow 0
		.amdhsa_exception_fp_ieee_underflow 0
		.amdhsa_exception_fp_ieee_inexact 0
		.amdhsa_exception_int_div_zero 0
	.end_amdhsa_kernel
	.section	.text._ZN2at6native12_GLOBAL__N_133embedding_backward_feature_kernelIfflEEvPKT1_PKT_PS6_ili,"axG",@progbits,_ZN2at6native12_GLOBAL__N_133embedding_backward_feature_kernelIfflEEvPKT1_PKT_PS6_ili,comdat
.Lfunc_end3:
	.size	_ZN2at6native12_GLOBAL__N_133embedding_backward_feature_kernelIfflEEvPKT1_PKT_PS6_ili, .Lfunc_end3-_ZN2at6native12_GLOBAL__N_133embedding_backward_feature_kernelIfflEEvPKT1_PKT_PS6_ili
                                        ; -- End function
	.set _ZN2at6native12_GLOBAL__N_133embedding_backward_feature_kernelIfflEEvPKT1_PKT_PS6_ili.num_vgpr, 23
	.set _ZN2at6native12_GLOBAL__N_133embedding_backward_feature_kernelIfflEEvPKT1_PKT_PS6_ili.num_agpr, 0
	.set _ZN2at6native12_GLOBAL__N_133embedding_backward_feature_kernelIfflEEvPKT1_PKT_PS6_ili.numbered_sgpr, 19
	.set _ZN2at6native12_GLOBAL__N_133embedding_backward_feature_kernelIfflEEvPKT1_PKT_PS6_ili.num_named_barrier, 0
	.set _ZN2at6native12_GLOBAL__N_133embedding_backward_feature_kernelIfflEEvPKT1_PKT_PS6_ili.private_seg_size, 0
	.set _ZN2at6native12_GLOBAL__N_133embedding_backward_feature_kernelIfflEEvPKT1_PKT_PS6_ili.uses_vcc, 1
	.set _ZN2at6native12_GLOBAL__N_133embedding_backward_feature_kernelIfflEEvPKT1_PKT_PS6_ili.uses_flat_scratch, 0
	.set _ZN2at6native12_GLOBAL__N_133embedding_backward_feature_kernelIfflEEvPKT1_PKT_PS6_ili.has_dyn_sized_stack, 0
	.set _ZN2at6native12_GLOBAL__N_133embedding_backward_feature_kernelIfflEEvPKT1_PKT_PS6_ili.has_recursion, 0
	.set _ZN2at6native12_GLOBAL__N_133embedding_backward_feature_kernelIfflEEvPKT1_PKT_PS6_ili.has_indirect_call, 0
	.section	.AMDGPU.csdata,"",@progbits
; Kernel info:
; codeLenInByte = 928
; TotalNumSgprs: 21
; NumVgprs: 23
; ScratchSize: 0
; MemoryBound: 0
; FloatMode: 240
; IeeeMode: 1
; LDSByteSize: 0 bytes/workgroup (compile time only)
; SGPRBlocks: 0
; VGPRBlocks: 1
; NumSGPRsForWavesPerEU: 21
; NumVGPRsForWavesPerEU: 23
; NamedBarCnt: 0
; Occupancy: 16
; WaveLimiterHint : 0
; COMPUTE_PGM_RSRC2:SCRATCH_EN: 0
; COMPUTE_PGM_RSRC2:USER_SGPR: 2
; COMPUTE_PGM_RSRC2:TRAP_HANDLER: 0
; COMPUTE_PGM_RSRC2:TGID_X_EN: 1
; COMPUTE_PGM_RSRC2:TGID_Y_EN: 0
; COMPUTE_PGM_RSRC2:TGID_Z_EN: 0
; COMPUTE_PGM_RSRC2:TIDIG_COMP_CNT: 1
	.section	.text._ZN2at6native12_GLOBAL__N_133embedding_backward_feature_kernelIN3c104HalfEfiEEvPKT1_PKT_PS8_ili,"axG",@progbits,_ZN2at6native12_GLOBAL__N_133embedding_backward_feature_kernelIN3c104HalfEfiEEvPKT1_PKT_PS8_ili,comdat
	.globl	_ZN2at6native12_GLOBAL__N_133embedding_backward_feature_kernelIN3c104HalfEfiEEvPKT1_PKT_PS8_ili ; -- Begin function _ZN2at6native12_GLOBAL__N_133embedding_backward_feature_kernelIN3c104HalfEfiEEvPKT1_PKT_PS8_ili
	.p2align	8
	.type	_ZN2at6native12_GLOBAL__N_133embedding_backward_feature_kernelIN3c104HalfEfiEEvPKT1_PKT_PS8_ili,@function
_ZN2at6native12_GLOBAL__N_133embedding_backward_feature_kernelIN3c104HalfEfiEEvPKT1_PKT_PS8_ili: ; @_ZN2at6native12_GLOBAL__N_133embedding_backward_feature_kernelIN3c104HalfEfiEEvPKT1_PKT_PS8_ili
; %bb.0:
	s_load_b32 s11, s[0:1], 0x18
	s_wait_kmcnt 0x0
	s_cmp_lt_i32 s11, 1
	s_cbranch_scc1 .LBB4_18
; %bb.1:
	s_clause 0x1
	s_load_u16 s12, s[0:1], 0x3e
	s_load_b32 s2, s[0:1], 0x3c
	s_bfe_u32 s3, ttmp6, 0x4000c
	s_and_b32 s4, ttmp6, 15
	s_add_co_i32 s3, s3, 1
	s_getreg_b32 s5, hwreg(HW_REG_IB_STS2, 6, 4)
	s_mul_i32 s3, ttmp9, s3
	v_and_b32_e32 v10, 0x3ff, v0
	s_add_co_i32 s4, s4, s3
	v_bfe_u32 v11, v0, 10, 10
	s_delay_alu instid0(VALU_DEP_2) | instskip(NEXT) | instid1(VALU_DEP_1)
	v_dual_lshrrev_b32 v0, 10, v0 :: v_dual_lshlrev_b32 v1, 2, v10
	v_lshlrev_b32_e64 v0, v0, 1
	s_wait_kmcnt 0x0
	s_lshl_b32 s3, s12, 7
	s_and_b32 s14, s2, 0xffff
	s_add_co_i32 s13, s3, 0
	s_cmp_eq_u32 s5, 0
	v_mad_u32_u24 v12, v11, s14, v10
	s_cselect_b32 s2, ttmp9, s4
	v_dual_add_nc_u32 v13, 0, v1 :: v_dual_add_nc_u32 v14, s13, v1
	v_mad_u32 v2, s2, s14, v10
	s_clause 0x2
	s_load_b96 s[8:10], s[0:1], 0x20
	s_load_b128 s[4:7], s[0:1], 0x0
	s_load_b64 s[2:3], s[0:1], 0x10
	v_lshl_add_u32 v15, v12, 2, s13
	v_lshl_add_u32 v16, v11, 7, v13
	s_delay_alu instid0(VALU_DEP_3) | instskip(NEXT) | instid1(VALU_DEP_1)
	v_dual_ashrrev_i32 v1, 31, v0 :: v_dual_ashrrev_i32 v3, 31, v2
	v_lshlrev_b64_e32 v[4:5], 1, v[2:3]
	s_wait_kmcnt 0x0
	v_cmp_le_i32_e32 vcc_lo, s8, v2
	v_cmp_gt_i32_e64 s0, s8, v2
	s_delay_alu instid0(VALU_DEP_3)
	v_add_nc_u64_e32 v[2:3], s[6:7], v[4:5]
	v_add_nc_u64_e32 v[4:5], s[2:3], v[4:5]
	s_mov_b32 s3, 0
	s_mul_i32 s6, s14, s12
	s_mov_b32 s14, 0
	s_branch .LBB4_3
.LBB4_2:                                ;   in Loop: Header=BB4_3 Depth=1
	s_cmp_lt_i32 s14, s11
	s_cbranch_scc0 .LBB4_18
.LBB4_3:                                ; =>This Loop Header: Depth=1
                                        ;     Child Loop BB4_7 Depth 2
                                        ;       Child Loop BB4_15 Depth 3
	s_mov_b32 s7, s14
	s_mov_b32 s2, exec_lo
	v_add_nc_u32_e32 v6, s7, v12
	s_delay_alu instid0(VALU_DEP_1)
	v_cmpx_gt_i32_e64 s11, v6
	s_cbranch_execz .LBB4_5
; %bb.4:                                ;   in Loop: Header=BB4_3 Depth=1
	global_load_b32 v6, v6, s[4:5] scale_offset
	s_wait_loadcnt 0x0
	ds_store_b32 v15, v6
.LBB4_5:                                ;   in Loop: Header=BB4_3 Depth=1
	s_wait_xcnt 0x0
	s_or_b32 exec_lo, exec_lo, s2
	s_add_co_i32 s14, s7, s6
	s_mov_b32 s16, s7
	s_min_u32 s15, s14, s11
	s_delay_alu instid0(SALU_CYCLE_1)
	s_cmp_ge_i32 s7, s15
	s_cbranch_scc0 .LBB4_7
	s_branch .LBB4_2
.LBB4_6:                                ;   in Loop: Header=BB4_7 Depth=2
	s_wait_xcnt 0x0
	s_or_b32 exec_lo, exec_lo, s17
	s_add_co_i32 s16, s16, s12
	s_delay_alu instid0(SALU_CYCLE_1)
	s_cmp_ge_i32 s16, s15
	s_cbranch_scc1 .LBB4_2
.LBB4_7:                                ;   Parent Loop BB4_3 Depth=1
                                        ; =>  This Loop Header: Depth=2
                                        ;       Child Loop BB4_15 Depth 3
	v_add_nc_u32_e32 v8, s16, v11
	s_wait_dscnt 0x0
	s_barrier_signal -1
	s_barrier_wait -1
	s_delay_alu instid0(VALU_DEP_1) | instskip(SKIP_1) | instid1(VALU_DEP_2)
	v_subrev_nc_u32_e32 v6, s7, v8
	v_cmp_le_i32_e64 s1, s11, v8
	v_lshl_add_u32 v6, v6, 2, s13
	s_or_b32 s17, vcc_lo, s1
	ds_load_b32 v6, v6
	s_wait_dscnt 0x0
	v_cmp_eq_u32_e64 s2, s10, v6
	s_nor_b32 s18, s17, s2
	s_delay_alu instid0(SALU_CYCLE_1)
	s_and_saveexec_b32 s17, s18
	s_cbranch_execz .LBB4_9
; %bb.8:                                ;   in Loop: Header=BB4_7 Depth=2
	v_ashrrev_i32_e32 v9, 31, v8
	s_delay_alu instid0(VALU_DEP_1) | instskip(NEXT) | instid1(VALU_DEP_1)
	v_mul_u64_e32 v[8:9], s[8:9], v[8:9]
	v_lshl_add_u64 v[8:9], v[8:9], 1, v[2:3]
	global_load_u16 v7, v[8:9], off
	s_wait_loadcnt 0x0
	v_cvt_f32_f16_e32 v7, v7
	ds_store_b32 v16, v7
.LBB4_9:                                ;   in Loop: Header=BB4_7 Depth=2
	s_wait_xcnt 0x0
	s_or_b32 exec_lo, exec_lo, s17
	s_nor_b32 s1, s1, s2
	s_wait_dscnt 0x0
	s_barrier_signal -1
	s_barrier_wait -1
	s_and_saveexec_b32 s17, s1
	s_cbranch_execz .LBB4_6
; %bb.10:                               ;   in Loop: Header=BB4_7 Depth=2
	s_sub_co_i32 s1, s15, s16
	s_mov_b32 s18, 0
	s_min_u32 s1, s1, s12
	s_mov_b32 s2, exec_lo
	v_cmpx_gt_u32_e64 s1, v10
	s_cbranch_execz .LBB4_12
; %bb.11:                               ;   in Loop: Header=BB4_7 Depth=2
	s_sub_co_i32 s1, s16, s7
	s_delay_alu instid0(SALU_CYCLE_1)
	v_lshl_add_u32 v7, s1, 2, v14
	ds_load_b32 v7, v7
	s_wait_dscnt 0x0
	v_cmp_eq_u32_e64 s1, v6, v7
	s_and_b32 s18, s1, exec_lo
.LBB4_12:                               ;   in Loop: Header=BB4_7 Depth=2
	s_or_b32 exec_lo, exec_lo, s2
	v_cndmask_b32_e64 v7, 0, 1, s18
	s_delay_alu instid0(VALU_DEP_1) | instskip(SKIP_4) | instid1(SALU_CYCLE_1)
	v_cmp_ne_u32_e64 s2, 0, v7
	s_ctz_i32_b64 s1, s[2:3]
	s_cmp_lg_u32 s2, 0
	v_cmp_eq_u32_e64 s1, s1, v11
	s_cselect_b32 s18, -1, 0
	s_and_b32 s1, s18, s1
	s_delay_alu instid0(SALU_CYCLE_1)
	s_and_b32 exec_lo, exec_lo, s1
	s_cbranch_execz .LBB4_6
; %bb.13:                               ;   in Loop: Header=BB4_7 Depth=2
	s_mov_b32 s18, exec_lo
	v_cmpx_ne_u64_e64 s[2:3], v[0:1]
	s_cbranch_execz .LBB4_16
; %bb.14:                               ;   in Loop: Header=BB4_7 Depth=2
	ds_load_b32 v7, v16
	v_dual_mov_b32 v9, v1 :: v_dual_bitop2_b32 v8, s2, v0 bitop3:0x14
	s_mov_b32 s2, 0
.LBB4_15:                               ;   Parent Loop BB4_3 Depth=1
                                        ;     Parent Loop BB4_7 Depth=2
                                        ; =>    This Inner Loop Header: Depth=3
	s_delay_alu instid0(VALU_DEP_1) | instskip(NEXT) | instid1(VALU_DEP_2)
	v_ctz_i32_b32_e32 v17, v8
	v_ctz_i32_b32_e32 v18, v9
	s_delay_alu instid0(VALU_DEP_1) | instskip(NEXT) | instid1(VALU_DEP_1)
	v_add_min_u32_e64 v17, v18, 32, v17
	v_lshl_add_u32 v18, v17, 7, v13
	ds_load_b32 v22, v18
	v_lshlrev_b32_e64 v18, v17, 1
	s_delay_alu instid0(VALU_DEP_1) | instskip(NEXT) | instid1(VALU_DEP_1)
	v_dual_ashrrev_i32 v19, 31, v18 :: v_dual_bitop2_b32 v20, v8, v18 bitop3:0x14
	v_xor_b32_e32 v21, v9, v19
	v_cmp_eq_u64_e64 s1, v[8:9], v[18:19]
	s_delay_alu instid0(VALU_DEP_2)
	v_mov_b64_e32 v[8:9], v[20:21]
	s_or_b32 s2, s1, s2
	s_wait_dscnt 0x0
	v_add_f32_e32 v7, v22, v7
	ds_store_b32 v16, v7
	s_and_not1_b32 exec_lo, exec_lo, s2
	s_cbranch_execnz .LBB4_15
.LBB4_16:                               ;   in Loop: Header=BB4_7 Depth=2
	s_or_b32 exec_lo, exec_lo, s18
	s_delay_alu instid0(SALU_CYCLE_1)
	s_and_b32 exec_lo, exec_lo, s0
	s_cbranch_execz .LBB4_6
; %bb.17:                               ;   in Loop: Header=BB4_7 Depth=2
	v_ashrrev_i32_e32 v7, 31, v6
	ds_load_b32 v9, v16
	v_mul_u64_e32 v[6:7], s[8:9], v[6:7]
	s_wait_dscnt 0x0
	v_cvt_f16_f32_e32 v9, v9
	s_delay_alu instid0(VALU_DEP_2)
	v_lshl_add_u64 v[6:7], v[6:7], 1, v[4:5]
	global_load_u16 v8, v[6:7], off
	s_wait_loadcnt 0x0
	v_add_f16_e32 v8, v8, v9
	global_store_b16 v[6:7], v8, off
	s_branch .LBB4_6
.LBB4_18:
	s_endpgm
	.section	.rodata,"a",@progbits
	.p2align	6, 0x0
	.amdhsa_kernel _ZN2at6native12_GLOBAL__N_133embedding_backward_feature_kernelIN3c104HalfEfiEEvPKT1_PKT_PS8_ili
		.amdhsa_group_segment_fixed_size 0
		.amdhsa_private_segment_fixed_size 0
		.amdhsa_kernarg_size 304
		.amdhsa_user_sgpr_count 2
		.amdhsa_user_sgpr_dispatch_ptr 0
		.amdhsa_user_sgpr_queue_ptr 0
		.amdhsa_user_sgpr_kernarg_segment_ptr 1
		.amdhsa_user_sgpr_dispatch_id 0
		.amdhsa_user_sgpr_kernarg_preload_length 0
		.amdhsa_user_sgpr_kernarg_preload_offset 0
		.amdhsa_user_sgpr_private_segment_size 0
		.amdhsa_wavefront_size32 1
		.amdhsa_uses_dynamic_stack 0
		.amdhsa_enable_private_segment 0
		.amdhsa_system_sgpr_workgroup_id_x 1
		.amdhsa_system_sgpr_workgroup_id_y 0
		.amdhsa_system_sgpr_workgroup_id_z 0
		.amdhsa_system_sgpr_workgroup_info 0
		.amdhsa_system_vgpr_workitem_id 1
		.amdhsa_next_free_vgpr 23
		.amdhsa_next_free_sgpr 19
		.amdhsa_named_barrier_count 0
		.amdhsa_reserve_vcc 1
		.amdhsa_float_round_mode_32 0
		.amdhsa_float_round_mode_16_64 0
		.amdhsa_float_denorm_mode_32 3
		.amdhsa_float_denorm_mode_16_64 3
		.amdhsa_fp16_overflow 0
		.amdhsa_memory_ordered 1
		.amdhsa_forward_progress 1
		.amdhsa_inst_pref_size 8
		.amdhsa_round_robin_scheduling 0
		.amdhsa_exception_fp_ieee_invalid_op 0
		.amdhsa_exception_fp_denorm_src 0
		.amdhsa_exception_fp_ieee_div_zero 0
		.amdhsa_exception_fp_ieee_overflow 0
		.amdhsa_exception_fp_ieee_underflow 0
		.amdhsa_exception_fp_ieee_inexact 0
		.amdhsa_exception_int_div_zero 0
	.end_amdhsa_kernel
	.section	.text._ZN2at6native12_GLOBAL__N_133embedding_backward_feature_kernelIN3c104HalfEfiEEvPKT1_PKT_PS8_ili,"axG",@progbits,_ZN2at6native12_GLOBAL__N_133embedding_backward_feature_kernelIN3c104HalfEfiEEvPKT1_PKT_PS8_ili,comdat
.Lfunc_end4:
	.size	_ZN2at6native12_GLOBAL__N_133embedding_backward_feature_kernelIN3c104HalfEfiEEvPKT1_PKT_PS8_ili, .Lfunc_end4-_ZN2at6native12_GLOBAL__N_133embedding_backward_feature_kernelIN3c104HalfEfiEEvPKT1_PKT_PS8_ili
                                        ; -- End function
	.set _ZN2at6native12_GLOBAL__N_133embedding_backward_feature_kernelIN3c104HalfEfiEEvPKT1_PKT_PS8_ili.num_vgpr, 23
	.set _ZN2at6native12_GLOBAL__N_133embedding_backward_feature_kernelIN3c104HalfEfiEEvPKT1_PKT_PS8_ili.num_agpr, 0
	.set _ZN2at6native12_GLOBAL__N_133embedding_backward_feature_kernelIN3c104HalfEfiEEvPKT1_PKT_PS8_ili.numbered_sgpr, 19
	.set _ZN2at6native12_GLOBAL__N_133embedding_backward_feature_kernelIN3c104HalfEfiEEvPKT1_PKT_PS8_ili.num_named_barrier, 0
	.set _ZN2at6native12_GLOBAL__N_133embedding_backward_feature_kernelIN3c104HalfEfiEEvPKT1_PKT_PS8_ili.private_seg_size, 0
	.set _ZN2at6native12_GLOBAL__N_133embedding_backward_feature_kernelIN3c104HalfEfiEEvPKT1_PKT_PS8_ili.uses_vcc, 1
	.set _ZN2at6native12_GLOBAL__N_133embedding_backward_feature_kernelIN3c104HalfEfiEEvPKT1_PKT_PS8_ili.uses_flat_scratch, 0
	.set _ZN2at6native12_GLOBAL__N_133embedding_backward_feature_kernelIN3c104HalfEfiEEvPKT1_PKT_PS8_ili.has_dyn_sized_stack, 0
	.set _ZN2at6native12_GLOBAL__N_133embedding_backward_feature_kernelIN3c104HalfEfiEEvPKT1_PKT_PS8_ili.has_recursion, 0
	.set _ZN2at6native12_GLOBAL__N_133embedding_backward_feature_kernelIN3c104HalfEfiEEvPKT1_PKT_PS8_ili.has_indirect_call, 0
	.section	.AMDGPU.csdata,"",@progbits
; Kernel info:
; codeLenInByte = 924
; TotalNumSgprs: 21
; NumVgprs: 23
; ScratchSize: 0
; MemoryBound: 0
; FloatMode: 240
; IeeeMode: 1
; LDSByteSize: 0 bytes/workgroup (compile time only)
; SGPRBlocks: 0
; VGPRBlocks: 1
; NumSGPRsForWavesPerEU: 21
; NumVGPRsForWavesPerEU: 23
; NamedBarCnt: 0
; Occupancy: 16
; WaveLimiterHint : 0
; COMPUTE_PGM_RSRC2:SCRATCH_EN: 0
; COMPUTE_PGM_RSRC2:USER_SGPR: 2
; COMPUTE_PGM_RSRC2:TRAP_HANDLER: 0
; COMPUTE_PGM_RSRC2:TGID_X_EN: 1
; COMPUTE_PGM_RSRC2:TGID_Y_EN: 0
; COMPUTE_PGM_RSRC2:TGID_Z_EN: 0
; COMPUTE_PGM_RSRC2:TIDIG_COMP_CNT: 1
	.section	.text._ZN2at6native12_GLOBAL__N_133embedding_backward_feature_kernelIN3c104HalfEflEEvPKT1_PKT_PS8_ili,"axG",@progbits,_ZN2at6native12_GLOBAL__N_133embedding_backward_feature_kernelIN3c104HalfEflEEvPKT1_PKT_PS8_ili,comdat
	.globl	_ZN2at6native12_GLOBAL__N_133embedding_backward_feature_kernelIN3c104HalfEflEEvPKT1_PKT_PS8_ili ; -- Begin function _ZN2at6native12_GLOBAL__N_133embedding_backward_feature_kernelIN3c104HalfEflEEvPKT1_PKT_PS8_ili
	.p2align	8
	.type	_ZN2at6native12_GLOBAL__N_133embedding_backward_feature_kernelIN3c104HalfEflEEvPKT1_PKT_PS8_ili,@function
_ZN2at6native12_GLOBAL__N_133embedding_backward_feature_kernelIN3c104HalfEflEEvPKT1_PKT_PS8_ili: ; @_ZN2at6native12_GLOBAL__N_133embedding_backward_feature_kernelIN3c104HalfEflEEvPKT1_PKT_PS8_ili
; %bb.0:
	s_load_b32 s11, s[0:1], 0x18
	s_wait_kmcnt 0x0
	s_cmp_lt_i32 s11, 1
	s_cbranch_scc1 .LBB5_18
; %bb.1:
	s_clause 0x1
	s_load_u16 s12, s[0:1], 0x3e
	s_load_b32 s2, s[0:1], 0x3c
	s_bfe_u32 s3, ttmp6, 0x4000c
	s_and_b32 s4, ttmp6, 15
	s_add_co_i32 s3, s3, 1
	s_getreg_b32 s5, hwreg(HW_REG_IB_STS2, 6, 4)
	s_mul_i32 s3, ttmp9, s3
	v_and_b32_e32 v10, 0x3ff, v0
	s_add_co_i32 s4, s4, s3
	v_bfe_u32 v11, v0, 10, 10
	s_delay_alu instid0(VALU_DEP_2) | instskip(NEXT) | instid1(VALU_DEP_1)
	v_dual_lshrrev_b32 v0, 10, v0 :: v_dual_lshlrev_b32 v1, 2, v10
	v_lshlrev_b32_e64 v0, v0, 1
	s_wait_kmcnt 0x0
	s_lshl_b32 s3, s12, 7
	s_and_b32 s14, s2, 0xffff
	s_add_co_i32 s13, s3, 0
	s_cmp_eq_u32 s5, 0
	v_mad_u32_u24 v12, v11, s14, v10
	s_cselect_b32 s2, ttmp9, s4
	v_dual_add_nc_u32 v13, 0, v1 :: v_dual_add_nc_u32 v14, s13, v1
	v_mad_u32 v2, s2, s14, v10
	s_clause 0x2
	s_load_b96 s[8:10], s[0:1], 0x20
	s_load_b128 s[4:7], s[0:1], 0x0
	s_load_b64 s[2:3], s[0:1], 0x10
	v_lshl_add_u32 v15, v12, 2, s13
	v_lshl_add_u32 v16, v11, 7, v13
	s_delay_alu instid0(VALU_DEP_3) | instskip(NEXT) | instid1(VALU_DEP_1)
	v_dual_ashrrev_i32 v1, 31, v0 :: v_dual_ashrrev_i32 v3, 31, v2
	v_lshlrev_b64_e32 v[4:5], 1, v[2:3]
	s_wait_kmcnt 0x0
	v_cmp_le_i32_e32 vcc_lo, s8, v2
	v_cmp_gt_i32_e64 s0, s8, v2
	s_delay_alu instid0(VALU_DEP_3)
	v_add_nc_u64_e32 v[2:3], s[6:7], v[4:5]
	v_add_nc_u64_e32 v[4:5], s[2:3], v[4:5]
	s_mov_b32 s3, 0
	s_mul_i32 s6, s14, s12
	s_mov_b32 s14, 0
	s_branch .LBB5_3
.LBB5_2:                                ;   in Loop: Header=BB5_3 Depth=1
	s_cmp_lt_i32 s14, s11
	s_cbranch_scc0 .LBB5_18
.LBB5_3:                                ; =>This Loop Header: Depth=1
                                        ;     Child Loop BB5_7 Depth 2
                                        ;       Child Loop BB5_15 Depth 3
	s_mov_b32 s7, s14
	s_mov_b32 s2, exec_lo
	v_add_nc_u32_e32 v6, s7, v12
	s_delay_alu instid0(VALU_DEP_1)
	v_cmpx_gt_i32_e64 s11, v6
	s_cbranch_execz .LBB5_5
; %bb.4:                                ;   in Loop: Header=BB5_3 Depth=1
	v_ashrrev_i32_e32 v7, 31, v6
	s_delay_alu instid0(VALU_DEP_1)
	v_lshl_add_u64 v[6:7], v[6:7], 3, s[4:5]
	global_load_b32 v6, v[6:7], off
	s_wait_loadcnt 0x0
	ds_store_b32 v15, v6
.LBB5_5:                                ;   in Loop: Header=BB5_3 Depth=1
	s_wait_xcnt 0x0
	s_or_b32 exec_lo, exec_lo, s2
	s_add_co_i32 s14, s7, s6
	s_mov_b32 s16, s7
	s_min_u32 s15, s14, s11
	s_delay_alu instid0(SALU_CYCLE_1)
	s_cmp_ge_i32 s7, s15
	s_cbranch_scc0 .LBB5_7
	s_branch .LBB5_2
.LBB5_6:                                ;   in Loop: Header=BB5_7 Depth=2
	s_wait_xcnt 0x0
	s_or_b32 exec_lo, exec_lo, s17
	s_add_co_i32 s16, s16, s12
	s_delay_alu instid0(SALU_CYCLE_1)
	s_cmp_ge_i32 s16, s15
	s_cbranch_scc1 .LBB5_2
.LBB5_7:                                ;   Parent Loop BB5_3 Depth=1
                                        ; =>  This Loop Header: Depth=2
                                        ;       Child Loop BB5_15 Depth 3
	v_add_nc_u32_e32 v8, s16, v11
	s_wait_dscnt 0x0
	s_barrier_signal -1
	s_barrier_wait -1
	s_delay_alu instid0(VALU_DEP_1) | instskip(SKIP_1) | instid1(VALU_DEP_2)
	v_subrev_nc_u32_e32 v6, s7, v8
	v_cmp_le_i32_e64 s1, s11, v8
	v_lshl_add_u32 v6, v6, 2, s13
	s_or_b32 s17, vcc_lo, s1
	ds_load_b32 v6, v6
	s_wait_dscnt 0x0
	v_cmp_eq_u32_e64 s2, s10, v6
	s_nor_b32 s18, s17, s2
	s_delay_alu instid0(SALU_CYCLE_1)
	s_and_saveexec_b32 s17, s18
	s_cbranch_execz .LBB5_9
; %bb.8:                                ;   in Loop: Header=BB5_7 Depth=2
	v_ashrrev_i32_e32 v9, 31, v8
	s_delay_alu instid0(VALU_DEP_1) | instskip(NEXT) | instid1(VALU_DEP_1)
	v_mul_u64_e32 v[8:9], s[8:9], v[8:9]
	v_lshl_add_u64 v[8:9], v[8:9], 1, v[2:3]
	global_load_u16 v7, v[8:9], off
	s_wait_loadcnt 0x0
	v_cvt_f32_f16_e32 v7, v7
	ds_store_b32 v16, v7
.LBB5_9:                                ;   in Loop: Header=BB5_7 Depth=2
	s_wait_xcnt 0x0
	s_or_b32 exec_lo, exec_lo, s17
	s_nor_b32 s1, s1, s2
	s_wait_dscnt 0x0
	s_barrier_signal -1
	s_barrier_wait -1
	s_and_saveexec_b32 s17, s1
	s_cbranch_execz .LBB5_6
; %bb.10:                               ;   in Loop: Header=BB5_7 Depth=2
	s_sub_co_i32 s1, s15, s16
	s_mov_b32 s18, 0
	s_min_u32 s1, s1, s12
	s_mov_b32 s2, exec_lo
	v_cmpx_gt_u32_e64 s1, v10
	s_cbranch_execz .LBB5_12
; %bb.11:                               ;   in Loop: Header=BB5_7 Depth=2
	s_sub_co_i32 s1, s16, s7
	s_delay_alu instid0(SALU_CYCLE_1)
	v_lshl_add_u32 v7, s1, 2, v14
	ds_load_b32 v7, v7
	s_wait_dscnt 0x0
	v_cmp_eq_u32_e64 s1, v6, v7
	s_and_b32 s18, s1, exec_lo
.LBB5_12:                               ;   in Loop: Header=BB5_7 Depth=2
	s_or_b32 exec_lo, exec_lo, s2
	v_cndmask_b32_e64 v7, 0, 1, s18
	s_delay_alu instid0(VALU_DEP_1) | instskip(SKIP_4) | instid1(SALU_CYCLE_1)
	v_cmp_ne_u32_e64 s2, 0, v7
	s_ctz_i32_b64 s1, s[2:3]
	s_cmp_lg_u32 s2, 0
	v_cmp_eq_u32_e64 s1, s1, v11
	s_cselect_b32 s18, -1, 0
	s_and_b32 s1, s18, s1
	s_delay_alu instid0(SALU_CYCLE_1)
	s_and_b32 exec_lo, exec_lo, s1
	s_cbranch_execz .LBB5_6
; %bb.13:                               ;   in Loop: Header=BB5_7 Depth=2
	s_mov_b32 s18, exec_lo
	v_cmpx_ne_u64_e64 s[2:3], v[0:1]
	s_cbranch_execz .LBB5_16
; %bb.14:                               ;   in Loop: Header=BB5_7 Depth=2
	ds_load_b32 v7, v16
	v_dual_mov_b32 v9, v1 :: v_dual_bitop2_b32 v8, s2, v0 bitop3:0x14
	s_mov_b32 s2, 0
.LBB5_15:                               ;   Parent Loop BB5_3 Depth=1
                                        ;     Parent Loop BB5_7 Depth=2
                                        ; =>    This Inner Loop Header: Depth=3
	s_delay_alu instid0(VALU_DEP_1) | instskip(NEXT) | instid1(VALU_DEP_2)
	v_ctz_i32_b32_e32 v17, v8
	v_ctz_i32_b32_e32 v18, v9
	s_delay_alu instid0(VALU_DEP_1) | instskip(NEXT) | instid1(VALU_DEP_1)
	v_add_min_u32_e64 v17, v18, 32, v17
	v_lshl_add_u32 v18, v17, 7, v13
	ds_load_b32 v22, v18
	v_lshlrev_b32_e64 v18, v17, 1
	s_delay_alu instid0(VALU_DEP_1) | instskip(NEXT) | instid1(VALU_DEP_1)
	v_dual_ashrrev_i32 v19, 31, v18 :: v_dual_bitop2_b32 v20, v8, v18 bitop3:0x14
	v_xor_b32_e32 v21, v9, v19
	v_cmp_eq_u64_e64 s1, v[8:9], v[18:19]
	s_delay_alu instid0(VALU_DEP_2)
	v_mov_b64_e32 v[8:9], v[20:21]
	s_or_b32 s2, s1, s2
	s_wait_dscnt 0x0
	v_add_f32_e32 v7, v22, v7
	ds_store_b32 v16, v7
	s_and_not1_b32 exec_lo, exec_lo, s2
	s_cbranch_execnz .LBB5_15
.LBB5_16:                               ;   in Loop: Header=BB5_7 Depth=2
	s_or_b32 exec_lo, exec_lo, s18
	s_delay_alu instid0(SALU_CYCLE_1)
	s_and_b32 exec_lo, exec_lo, s0
	s_cbranch_execz .LBB5_6
; %bb.17:                               ;   in Loop: Header=BB5_7 Depth=2
	v_ashrrev_i32_e32 v7, 31, v6
	ds_load_b32 v9, v16
	v_mul_u64_e32 v[6:7], s[8:9], v[6:7]
	s_wait_dscnt 0x0
	v_cvt_f16_f32_e32 v9, v9
	s_delay_alu instid0(VALU_DEP_2)
	v_lshl_add_u64 v[6:7], v[6:7], 1, v[4:5]
	global_load_u16 v8, v[6:7], off
	s_wait_loadcnt 0x0
	v_add_f16_e32 v8, v8, v9
	global_store_b16 v[6:7], v8, off
	s_branch .LBB5_6
.LBB5_18:
	s_endpgm
	.section	.rodata,"a",@progbits
	.p2align	6, 0x0
	.amdhsa_kernel _ZN2at6native12_GLOBAL__N_133embedding_backward_feature_kernelIN3c104HalfEflEEvPKT1_PKT_PS8_ili
		.amdhsa_group_segment_fixed_size 0
		.amdhsa_private_segment_fixed_size 0
		.amdhsa_kernarg_size 304
		.amdhsa_user_sgpr_count 2
		.amdhsa_user_sgpr_dispatch_ptr 0
		.amdhsa_user_sgpr_queue_ptr 0
		.amdhsa_user_sgpr_kernarg_segment_ptr 1
		.amdhsa_user_sgpr_dispatch_id 0
		.amdhsa_user_sgpr_kernarg_preload_length 0
		.amdhsa_user_sgpr_kernarg_preload_offset 0
		.amdhsa_user_sgpr_private_segment_size 0
		.amdhsa_wavefront_size32 1
		.amdhsa_uses_dynamic_stack 0
		.amdhsa_enable_private_segment 0
		.amdhsa_system_sgpr_workgroup_id_x 1
		.amdhsa_system_sgpr_workgroup_id_y 0
		.amdhsa_system_sgpr_workgroup_id_z 0
		.amdhsa_system_sgpr_workgroup_info 0
		.amdhsa_system_vgpr_workitem_id 1
		.amdhsa_next_free_vgpr 23
		.amdhsa_next_free_sgpr 19
		.amdhsa_named_barrier_count 0
		.amdhsa_reserve_vcc 1
		.amdhsa_float_round_mode_32 0
		.amdhsa_float_round_mode_16_64 0
		.amdhsa_float_denorm_mode_32 3
		.amdhsa_float_denorm_mode_16_64 3
		.amdhsa_fp16_overflow 0
		.amdhsa_memory_ordered 1
		.amdhsa_forward_progress 1
		.amdhsa_inst_pref_size 8
		.amdhsa_round_robin_scheduling 0
		.amdhsa_exception_fp_ieee_invalid_op 0
		.amdhsa_exception_fp_denorm_src 0
		.amdhsa_exception_fp_ieee_div_zero 0
		.amdhsa_exception_fp_ieee_overflow 0
		.amdhsa_exception_fp_ieee_underflow 0
		.amdhsa_exception_fp_ieee_inexact 0
		.amdhsa_exception_int_div_zero 0
	.end_amdhsa_kernel
	.section	.text._ZN2at6native12_GLOBAL__N_133embedding_backward_feature_kernelIN3c104HalfEflEEvPKT1_PKT_PS8_ili,"axG",@progbits,_ZN2at6native12_GLOBAL__N_133embedding_backward_feature_kernelIN3c104HalfEflEEvPKT1_PKT_PS8_ili,comdat
.Lfunc_end5:
	.size	_ZN2at6native12_GLOBAL__N_133embedding_backward_feature_kernelIN3c104HalfEflEEvPKT1_PKT_PS8_ili, .Lfunc_end5-_ZN2at6native12_GLOBAL__N_133embedding_backward_feature_kernelIN3c104HalfEflEEvPKT1_PKT_PS8_ili
                                        ; -- End function
	.set _ZN2at6native12_GLOBAL__N_133embedding_backward_feature_kernelIN3c104HalfEflEEvPKT1_PKT_PS8_ili.num_vgpr, 23
	.set _ZN2at6native12_GLOBAL__N_133embedding_backward_feature_kernelIN3c104HalfEflEEvPKT1_PKT_PS8_ili.num_agpr, 0
	.set _ZN2at6native12_GLOBAL__N_133embedding_backward_feature_kernelIN3c104HalfEflEEvPKT1_PKT_PS8_ili.numbered_sgpr, 19
	.set _ZN2at6native12_GLOBAL__N_133embedding_backward_feature_kernelIN3c104HalfEflEEvPKT1_PKT_PS8_ili.num_named_barrier, 0
	.set _ZN2at6native12_GLOBAL__N_133embedding_backward_feature_kernelIN3c104HalfEflEEvPKT1_PKT_PS8_ili.private_seg_size, 0
	.set _ZN2at6native12_GLOBAL__N_133embedding_backward_feature_kernelIN3c104HalfEflEEvPKT1_PKT_PS8_ili.uses_vcc, 1
	.set _ZN2at6native12_GLOBAL__N_133embedding_backward_feature_kernelIN3c104HalfEflEEvPKT1_PKT_PS8_ili.uses_flat_scratch, 0
	.set _ZN2at6native12_GLOBAL__N_133embedding_backward_feature_kernelIN3c104HalfEflEEvPKT1_PKT_PS8_ili.has_dyn_sized_stack, 0
	.set _ZN2at6native12_GLOBAL__N_133embedding_backward_feature_kernelIN3c104HalfEflEEvPKT1_PKT_PS8_ili.has_recursion, 0
	.set _ZN2at6native12_GLOBAL__N_133embedding_backward_feature_kernelIN3c104HalfEflEEvPKT1_PKT_PS8_ili.has_indirect_call, 0
	.section	.AMDGPU.csdata,"",@progbits
; Kernel info:
; codeLenInByte = 940
; TotalNumSgprs: 21
; NumVgprs: 23
; ScratchSize: 0
; MemoryBound: 0
; FloatMode: 240
; IeeeMode: 1
; LDSByteSize: 0 bytes/workgroup (compile time only)
; SGPRBlocks: 0
; VGPRBlocks: 1
; NumSGPRsForWavesPerEU: 21
; NumVGPRsForWavesPerEU: 23
; NamedBarCnt: 0
; Occupancy: 16
; WaveLimiterHint : 0
; COMPUTE_PGM_RSRC2:SCRATCH_EN: 0
; COMPUTE_PGM_RSRC2:USER_SGPR: 2
; COMPUTE_PGM_RSRC2:TRAP_HANDLER: 0
; COMPUTE_PGM_RSRC2:TGID_X_EN: 1
; COMPUTE_PGM_RSRC2:TGID_Y_EN: 0
; COMPUTE_PGM_RSRC2:TGID_Z_EN: 0
; COMPUTE_PGM_RSRC2:TIDIG_COMP_CNT: 1
	.section	.text._ZN2at6native12_GLOBAL__N_133embedding_backward_feature_kernelIN3c108BFloat16EfiEEvPKT1_PKT_PS8_ili,"axG",@progbits,_ZN2at6native12_GLOBAL__N_133embedding_backward_feature_kernelIN3c108BFloat16EfiEEvPKT1_PKT_PS8_ili,comdat
	.globl	_ZN2at6native12_GLOBAL__N_133embedding_backward_feature_kernelIN3c108BFloat16EfiEEvPKT1_PKT_PS8_ili ; -- Begin function _ZN2at6native12_GLOBAL__N_133embedding_backward_feature_kernelIN3c108BFloat16EfiEEvPKT1_PKT_PS8_ili
	.p2align	8
	.type	_ZN2at6native12_GLOBAL__N_133embedding_backward_feature_kernelIN3c108BFloat16EfiEEvPKT1_PKT_PS8_ili,@function
_ZN2at6native12_GLOBAL__N_133embedding_backward_feature_kernelIN3c108BFloat16EfiEEvPKT1_PKT_PS8_ili: ; @_ZN2at6native12_GLOBAL__N_133embedding_backward_feature_kernelIN3c108BFloat16EfiEEvPKT1_PKT_PS8_ili
; %bb.0:
	s_load_b32 s11, s[0:1], 0x18
	s_wait_kmcnt 0x0
	s_cmp_lt_i32 s11, 1
	s_cbranch_scc1 .LBB6_18
; %bb.1:
	s_clause 0x1
	s_load_u16 s12, s[0:1], 0x3e
	s_load_b32 s2, s[0:1], 0x3c
	s_bfe_u32 s3, ttmp6, 0x4000c
	s_and_b32 s4, ttmp6, 15
	s_add_co_i32 s3, s3, 1
	s_getreg_b32 s5, hwreg(HW_REG_IB_STS2, 6, 4)
	s_mul_i32 s3, ttmp9, s3
	v_and_b32_e32 v10, 0x3ff, v0
	s_add_co_i32 s4, s4, s3
	v_bfe_u32 v11, v0, 10, 10
	s_delay_alu instid0(VALU_DEP_2) | instskip(NEXT) | instid1(VALU_DEP_1)
	v_dual_lshrrev_b32 v0, 10, v0 :: v_dual_lshlrev_b32 v1, 2, v10
	v_lshlrev_b32_e64 v0, v0, 1
	s_wait_kmcnt 0x0
	s_lshl_b32 s3, s12, 7
	s_and_b32 s14, s2, 0xffff
	s_add_co_i32 s13, s3, 0
	s_cmp_eq_u32 s5, 0
	v_mad_u32_u24 v12, v11, s14, v10
	s_cselect_b32 s2, ttmp9, s4
	v_dual_add_nc_u32 v13, 0, v1 :: v_dual_add_nc_u32 v14, s13, v1
	v_mad_u32 v2, s2, s14, v10
	s_clause 0x2
	s_load_b96 s[8:10], s[0:1], 0x20
	s_load_b128 s[4:7], s[0:1], 0x0
	s_load_b64 s[2:3], s[0:1], 0x10
	v_lshl_add_u32 v15, v12, 2, s13
	v_lshl_add_u32 v16, v11, 7, v13
	s_delay_alu instid0(VALU_DEP_3) | instskip(NEXT) | instid1(VALU_DEP_1)
	v_dual_ashrrev_i32 v1, 31, v0 :: v_dual_ashrrev_i32 v3, 31, v2
	v_lshlrev_b64_e32 v[4:5], 1, v[2:3]
	s_wait_kmcnt 0x0
	v_cmp_le_i32_e32 vcc_lo, s8, v2
	v_cmp_gt_i32_e64 s0, s8, v2
	s_delay_alu instid0(VALU_DEP_3)
	v_add_nc_u64_e32 v[2:3], s[6:7], v[4:5]
	v_add_nc_u64_e32 v[4:5], s[2:3], v[4:5]
	s_mov_b32 s3, 0
	s_mul_i32 s6, s14, s12
	s_mov_b32 s14, 0
	s_branch .LBB6_3
.LBB6_2:                                ;   in Loop: Header=BB6_3 Depth=1
	s_cmp_lt_i32 s14, s11
	s_cbranch_scc0 .LBB6_18
.LBB6_3:                                ; =>This Loop Header: Depth=1
                                        ;     Child Loop BB6_7 Depth 2
                                        ;       Child Loop BB6_15 Depth 3
	s_mov_b32 s7, s14
	s_mov_b32 s2, exec_lo
	v_add_nc_u32_e32 v6, s7, v12
	s_delay_alu instid0(VALU_DEP_1)
	v_cmpx_gt_i32_e64 s11, v6
	s_cbranch_execz .LBB6_5
; %bb.4:                                ;   in Loop: Header=BB6_3 Depth=1
	global_load_b32 v6, v6, s[4:5] scale_offset
	s_wait_loadcnt 0x0
	ds_store_b32 v15, v6
.LBB6_5:                                ;   in Loop: Header=BB6_3 Depth=1
	s_wait_xcnt 0x0
	s_or_b32 exec_lo, exec_lo, s2
	s_add_co_i32 s14, s7, s6
	s_mov_b32 s16, s7
	s_min_u32 s15, s14, s11
	s_delay_alu instid0(SALU_CYCLE_1)
	s_cmp_ge_i32 s7, s15
	s_cbranch_scc0 .LBB6_7
	s_branch .LBB6_2
.LBB6_6:                                ;   in Loop: Header=BB6_7 Depth=2
	s_wait_xcnt 0x0
	s_or_b32 exec_lo, exec_lo, s17
	s_add_co_i32 s16, s16, s12
	s_delay_alu instid0(SALU_CYCLE_1)
	s_cmp_ge_i32 s16, s15
	s_cbranch_scc1 .LBB6_2
.LBB6_7:                                ;   Parent Loop BB6_3 Depth=1
                                        ; =>  This Loop Header: Depth=2
                                        ;       Child Loop BB6_15 Depth 3
	v_add_nc_u32_e32 v8, s16, v11
	s_wait_dscnt 0x0
	s_barrier_signal -1
	s_barrier_wait -1
	s_delay_alu instid0(VALU_DEP_1) | instskip(SKIP_1) | instid1(VALU_DEP_2)
	v_subrev_nc_u32_e32 v6, s7, v8
	v_cmp_le_i32_e64 s1, s11, v8
	v_lshl_add_u32 v6, v6, 2, s13
	s_or_b32 s17, vcc_lo, s1
	ds_load_b32 v6, v6
	s_wait_dscnt 0x0
	v_cmp_eq_u32_e64 s2, s10, v6
	s_nor_b32 s18, s17, s2
	s_delay_alu instid0(SALU_CYCLE_1)
	s_and_saveexec_b32 s17, s18
	s_cbranch_execz .LBB6_9
; %bb.8:                                ;   in Loop: Header=BB6_7 Depth=2
	v_ashrrev_i32_e32 v9, 31, v8
	s_delay_alu instid0(VALU_DEP_1) | instskip(NEXT) | instid1(VALU_DEP_1)
	v_mul_u64_e32 v[8:9], s[8:9], v[8:9]
	v_lshl_add_u64 v[8:9], v[8:9], 1, v[2:3]
	global_load_u16 v7, v[8:9], off
	s_wait_loadcnt 0x0
	v_lshlrev_b32_e32 v7, 16, v7
	ds_store_b32 v16, v7
.LBB6_9:                                ;   in Loop: Header=BB6_7 Depth=2
	s_wait_xcnt 0x0
	s_or_b32 exec_lo, exec_lo, s17
	s_nor_b32 s1, s1, s2
	s_wait_dscnt 0x0
	s_barrier_signal -1
	s_barrier_wait -1
	s_and_saveexec_b32 s17, s1
	s_cbranch_execz .LBB6_6
; %bb.10:                               ;   in Loop: Header=BB6_7 Depth=2
	s_sub_co_i32 s1, s15, s16
	s_mov_b32 s18, 0
	s_min_u32 s1, s1, s12
	s_mov_b32 s2, exec_lo
	v_cmpx_gt_u32_e64 s1, v10
	s_cbranch_execz .LBB6_12
; %bb.11:                               ;   in Loop: Header=BB6_7 Depth=2
	s_sub_co_i32 s1, s16, s7
	s_delay_alu instid0(SALU_CYCLE_1)
	v_lshl_add_u32 v7, s1, 2, v14
	ds_load_b32 v7, v7
	s_wait_dscnt 0x0
	v_cmp_eq_u32_e64 s1, v6, v7
	s_and_b32 s18, s1, exec_lo
.LBB6_12:                               ;   in Loop: Header=BB6_7 Depth=2
	s_or_b32 exec_lo, exec_lo, s2
	v_cndmask_b32_e64 v7, 0, 1, s18
	s_delay_alu instid0(VALU_DEP_1) | instskip(SKIP_4) | instid1(SALU_CYCLE_1)
	v_cmp_ne_u32_e64 s2, 0, v7
	s_ctz_i32_b64 s1, s[2:3]
	s_cmp_lg_u32 s2, 0
	v_cmp_eq_u32_e64 s1, s1, v11
	s_cselect_b32 s18, -1, 0
	s_and_b32 s1, s18, s1
	s_delay_alu instid0(SALU_CYCLE_1)
	s_and_b32 exec_lo, exec_lo, s1
	s_cbranch_execz .LBB6_6
; %bb.13:                               ;   in Loop: Header=BB6_7 Depth=2
	s_mov_b32 s18, exec_lo
	v_cmpx_ne_u64_e64 s[2:3], v[0:1]
	s_cbranch_execz .LBB6_16
; %bb.14:                               ;   in Loop: Header=BB6_7 Depth=2
	ds_load_b32 v7, v16
	v_dual_mov_b32 v9, v1 :: v_dual_bitop2_b32 v8, s2, v0 bitop3:0x14
	s_mov_b32 s2, 0
.LBB6_15:                               ;   Parent Loop BB6_3 Depth=1
                                        ;     Parent Loop BB6_7 Depth=2
                                        ; =>    This Inner Loop Header: Depth=3
	s_delay_alu instid0(VALU_DEP_1) | instskip(NEXT) | instid1(VALU_DEP_2)
	v_ctz_i32_b32_e32 v17, v8
	v_ctz_i32_b32_e32 v18, v9
	s_delay_alu instid0(VALU_DEP_1) | instskip(NEXT) | instid1(VALU_DEP_1)
	v_add_min_u32_e64 v17, v18, 32, v17
	v_lshl_add_u32 v18, v17, 7, v13
	ds_load_b32 v22, v18
	v_lshlrev_b32_e64 v18, v17, 1
	s_delay_alu instid0(VALU_DEP_1) | instskip(NEXT) | instid1(VALU_DEP_1)
	v_dual_ashrrev_i32 v19, 31, v18 :: v_dual_bitop2_b32 v20, v8, v18 bitop3:0x14
	v_xor_b32_e32 v21, v9, v19
	v_cmp_eq_u64_e64 s1, v[8:9], v[18:19]
	s_delay_alu instid0(VALU_DEP_2)
	v_mov_b64_e32 v[8:9], v[20:21]
	s_or_b32 s2, s1, s2
	s_wait_dscnt 0x0
	v_add_f32_e32 v7, v22, v7
	ds_store_b32 v16, v7
	s_and_not1_b32 exec_lo, exec_lo, s2
	s_cbranch_execnz .LBB6_15
.LBB6_16:                               ;   in Loop: Header=BB6_7 Depth=2
	s_or_b32 exec_lo, exec_lo, s18
	s_delay_alu instid0(SALU_CYCLE_1)
	s_and_b32 exec_lo, exec_lo, s0
	s_cbranch_execz .LBB6_6
; %bb.17:                               ;   in Loop: Header=BB6_7 Depth=2
	v_ashrrev_i32_e32 v7, 31, v6
	ds_load_b32 v9, v16
	v_mul_u64_e32 v[6:7], s[8:9], v[6:7]
	s_wait_dscnt 0x0
	v_bfe_u32 v17, v9, 16, 1
	v_cmp_o_f32_e64 s1, v9, v9
	s_delay_alu instid0(VALU_DEP_2) | instskip(NEXT) | instid1(VALU_DEP_1)
	v_add3_u32 v17, v9, v17, 0x7fff
	v_and_b32_e32 v17, 0xffff0000, v17
	s_delay_alu instid0(VALU_DEP_1) | instskip(SKIP_4) | instid1(VALU_DEP_1)
	v_cndmask_b32_e64 v9, 0x7fc00000, v17, s1
	v_lshl_add_u64 v[6:7], v[6:7], 1, v[4:5]
	global_load_u16 v8, v[6:7], off
	s_wait_loadcnt 0x0
	v_lshlrev_b32_e32 v8, 16, v8
	v_add_f32_e32 v8, v9, v8
	s_delay_alu instid0(VALU_DEP_1) | instskip(NEXT) | instid1(VALU_DEP_1)
	v_bfe_u32 v9, v8, 16, 1
	v_add3_u32 v9, v8, v9, 0x7fff
	s_delay_alu instid0(VALU_DEP_1) | instskip(SKIP_1) | instid1(VALU_DEP_1)
	v_lshrrev_b32_e32 v9, 16, v9
	v_cmp_o_f32_e64 s1, v8, v8
	v_cndmask_b32_e64 v8, 0x7fc0, v9, s1
	global_store_b16 v[6:7], v8, off
	s_branch .LBB6_6
.LBB6_18:
	s_endpgm
	.section	.rodata,"a",@progbits
	.p2align	6, 0x0
	.amdhsa_kernel _ZN2at6native12_GLOBAL__N_133embedding_backward_feature_kernelIN3c108BFloat16EfiEEvPKT1_PKT_PS8_ili
		.amdhsa_group_segment_fixed_size 0
		.amdhsa_private_segment_fixed_size 0
		.amdhsa_kernarg_size 304
		.amdhsa_user_sgpr_count 2
		.amdhsa_user_sgpr_dispatch_ptr 0
		.amdhsa_user_sgpr_queue_ptr 0
		.amdhsa_user_sgpr_kernarg_segment_ptr 1
		.amdhsa_user_sgpr_dispatch_id 0
		.amdhsa_user_sgpr_kernarg_preload_length 0
		.amdhsa_user_sgpr_kernarg_preload_offset 0
		.amdhsa_user_sgpr_private_segment_size 0
		.amdhsa_wavefront_size32 1
		.amdhsa_uses_dynamic_stack 0
		.amdhsa_enable_private_segment 0
		.amdhsa_system_sgpr_workgroup_id_x 1
		.amdhsa_system_sgpr_workgroup_id_y 0
		.amdhsa_system_sgpr_workgroup_id_z 0
		.amdhsa_system_sgpr_workgroup_info 0
		.amdhsa_system_vgpr_workitem_id 1
		.amdhsa_next_free_vgpr 23
		.amdhsa_next_free_sgpr 19
		.amdhsa_named_barrier_count 0
		.amdhsa_reserve_vcc 1
		.amdhsa_float_round_mode_32 0
		.amdhsa_float_round_mode_16_64 0
		.amdhsa_float_denorm_mode_32 3
		.amdhsa_float_denorm_mode_16_64 3
		.amdhsa_fp16_overflow 0
		.amdhsa_memory_ordered 1
		.amdhsa_forward_progress 1
		.amdhsa_inst_pref_size 9
		.amdhsa_round_robin_scheduling 0
		.amdhsa_exception_fp_ieee_invalid_op 0
		.amdhsa_exception_fp_denorm_src 0
		.amdhsa_exception_fp_ieee_div_zero 0
		.amdhsa_exception_fp_ieee_overflow 0
		.amdhsa_exception_fp_ieee_underflow 0
		.amdhsa_exception_fp_ieee_inexact 0
		.amdhsa_exception_int_div_zero 0
	.end_amdhsa_kernel
	.section	.text._ZN2at6native12_GLOBAL__N_133embedding_backward_feature_kernelIN3c108BFloat16EfiEEvPKT1_PKT_PS8_ili,"axG",@progbits,_ZN2at6native12_GLOBAL__N_133embedding_backward_feature_kernelIN3c108BFloat16EfiEEvPKT1_PKT_PS8_ili,comdat
.Lfunc_end6:
	.size	_ZN2at6native12_GLOBAL__N_133embedding_backward_feature_kernelIN3c108BFloat16EfiEEvPKT1_PKT_PS8_ili, .Lfunc_end6-_ZN2at6native12_GLOBAL__N_133embedding_backward_feature_kernelIN3c108BFloat16EfiEEvPKT1_PKT_PS8_ili
                                        ; -- End function
	.set _ZN2at6native12_GLOBAL__N_133embedding_backward_feature_kernelIN3c108BFloat16EfiEEvPKT1_PKT_PS8_ili.num_vgpr, 23
	.set _ZN2at6native12_GLOBAL__N_133embedding_backward_feature_kernelIN3c108BFloat16EfiEEvPKT1_PKT_PS8_ili.num_agpr, 0
	.set _ZN2at6native12_GLOBAL__N_133embedding_backward_feature_kernelIN3c108BFloat16EfiEEvPKT1_PKT_PS8_ili.numbered_sgpr, 19
	.set _ZN2at6native12_GLOBAL__N_133embedding_backward_feature_kernelIN3c108BFloat16EfiEEvPKT1_PKT_PS8_ili.num_named_barrier, 0
	.set _ZN2at6native12_GLOBAL__N_133embedding_backward_feature_kernelIN3c108BFloat16EfiEEvPKT1_PKT_PS8_ili.private_seg_size, 0
	.set _ZN2at6native12_GLOBAL__N_133embedding_backward_feature_kernelIN3c108BFloat16EfiEEvPKT1_PKT_PS8_ili.uses_vcc, 1
	.set _ZN2at6native12_GLOBAL__N_133embedding_backward_feature_kernelIN3c108BFloat16EfiEEvPKT1_PKT_PS8_ili.uses_flat_scratch, 0
	.set _ZN2at6native12_GLOBAL__N_133embedding_backward_feature_kernelIN3c108BFloat16EfiEEvPKT1_PKT_PS8_ili.has_dyn_sized_stack, 0
	.set _ZN2at6native12_GLOBAL__N_133embedding_backward_feature_kernelIN3c108BFloat16EfiEEvPKT1_PKT_PS8_ili.has_recursion, 0
	.set _ZN2at6native12_GLOBAL__N_133embedding_backward_feature_kernelIN3c108BFloat16EfiEEvPKT1_PKT_PS8_ili.has_indirect_call, 0
	.section	.AMDGPU.csdata,"",@progbits
; Kernel info:
; codeLenInByte = 1028
; TotalNumSgprs: 21
; NumVgprs: 23
; ScratchSize: 0
; MemoryBound: 0
; FloatMode: 240
; IeeeMode: 1
; LDSByteSize: 0 bytes/workgroup (compile time only)
; SGPRBlocks: 0
; VGPRBlocks: 1
; NumSGPRsForWavesPerEU: 21
; NumVGPRsForWavesPerEU: 23
; NamedBarCnt: 0
; Occupancy: 16
; WaveLimiterHint : 0
; COMPUTE_PGM_RSRC2:SCRATCH_EN: 0
; COMPUTE_PGM_RSRC2:USER_SGPR: 2
; COMPUTE_PGM_RSRC2:TRAP_HANDLER: 0
; COMPUTE_PGM_RSRC2:TGID_X_EN: 1
; COMPUTE_PGM_RSRC2:TGID_Y_EN: 0
; COMPUTE_PGM_RSRC2:TGID_Z_EN: 0
; COMPUTE_PGM_RSRC2:TIDIG_COMP_CNT: 1
	.section	.text._ZN2at6native12_GLOBAL__N_133embedding_backward_feature_kernelIN3c108BFloat16EflEEvPKT1_PKT_PS8_ili,"axG",@progbits,_ZN2at6native12_GLOBAL__N_133embedding_backward_feature_kernelIN3c108BFloat16EflEEvPKT1_PKT_PS8_ili,comdat
	.globl	_ZN2at6native12_GLOBAL__N_133embedding_backward_feature_kernelIN3c108BFloat16EflEEvPKT1_PKT_PS8_ili ; -- Begin function _ZN2at6native12_GLOBAL__N_133embedding_backward_feature_kernelIN3c108BFloat16EflEEvPKT1_PKT_PS8_ili
	.p2align	8
	.type	_ZN2at6native12_GLOBAL__N_133embedding_backward_feature_kernelIN3c108BFloat16EflEEvPKT1_PKT_PS8_ili,@function
_ZN2at6native12_GLOBAL__N_133embedding_backward_feature_kernelIN3c108BFloat16EflEEvPKT1_PKT_PS8_ili: ; @_ZN2at6native12_GLOBAL__N_133embedding_backward_feature_kernelIN3c108BFloat16EflEEvPKT1_PKT_PS8_ili
; %bb.0:
	s_load_b32 s11, s[0:1], 0x18
	s_wait_kmcnt 0x0
	s_cmp_lt_i32 s11, 1
	s_cbranch_scc1 .LBB7_18
; %bb.1:
	s_clause 0x1
	s_load_u16 s12, s[0:1], 0x3e
	s_load_b32 s2, s[0:1], 0x3c
	s_bfe_u32 s3, ttmp6, 0x4000c
	s_and_b32 s4, ttmp6, 15
	s_add_co_i32 s3, s3, 1
	s_getreg_b32 s5, hwreg(HW_REG_IB_STS2, 6, 4)
	s_mul_i32 s3, ttmp9, s3
	v_and_b32_e32 v10, 0x3ff, v0
	s_add_co_i32 s4, s4, s3
	v_bfe_u32 v11, v0, 10, 10
	s_delay_alu instid0(VALU_DEP_2) | instskip(NEXT) | instid1(VALU_DEP_1)
	v_dual_lshrrev_b32 v0, 10, v0 :: v_dual_lshlrev_b32 v1, 2, v10
	v_lshlrev_b32_e64 v0, v0, 1
	s_wait_kmcnt 0x0
	s_lshl_b32 s3, s12, 7
	s_and_b32 s14, s2, 0xffff
	s_add_co_i32 s13, s3, 0
	s_cmp_eq_u32 s5, 0
	v_mad_u32_u24 v12, v11, s14, v10
	s_cselect_b32 s2, ttmp9, s4
	v_dual_add_nc_u32 v13, 0, v1 :: v_dual_add_nc_u32 v14, s13, v1
	v_mad_u32 v2, s2, s14, v10
	s_clause 0x2
	s_load_b96 s[8:10], s[0:1], 0x20
	s_load_b128 s[4:7], s[0:1], 0x0
	s_load_b64 s[2:3], s[0:1], 0x10
	v_lshl_add_u32 v15, v12, 2, s13
	v_lshl_add_u32 v16, v11, 7, v13
	s_delay_alu instid0(VALU_DEP_3) | instskip(NEXT) | instid1(VALU_DEP_1)
	v_dual_ashrrev_i32 v1, 31, v0 :: v_dual_ashrrev_i32 v3, 31, v2
	v_lshlrev_b64_e32 v[4:5], 1, v[2:3]
	s_wait_kmcnt 0x0
	v_cmp_le_i32_e32 vcc_lo, s8, v2
	v_cmp_gt_i32_e64 s0, s8, v2
	s_delay_alu instid0(VALU_DEP_3)
	v_add_nc_u64_e32 v[2:3], s[6:7], v[4:5]
	v_add_nc_u64_e32 v[4:5], s[2:3], v[4:5]
	s_mov_b32 s3, 0
	s_mul_i32 s6, s14, s12
	s_mov_b32 s14, 0
	s_branch .LBB7_3
.LBB7_2:                                ;   in Loop: Header=BB7_3 Depth=1
	s_cmp_lt_i32 s14, s11
	s_cbranch_scc0 .LBB7_18
.LBB7_3:                                ; =>This Loop Header: Depth=1
                                        ;     Child Loop BB7_7 Depth 2
                                        ;       Child Loop BB7_15 Depth 3
	s_mov_b32 s7, s14
	s_mov_b32 s2, exec_lo
	v_add_nc_u32_e32 v6, s7, v12
	s_delay_alu instid0(VALU_DEP_1)
	v_cmpx_gt_i32_e64 s11, v6
	s_cbranch_execz .LBB7_5
; %bb.4:                                ;   in Loop: Header=BB7_3 Depth=1
	v_ashrrev_i32_e32 v7, 31, v6
	s_delay_alu instid0(VALU_DEP_1)
	v_lshl_add_u64 v[6:7], v[6:7], 3, s[4:5]
	global_load_b32 v6, v[6:7], off
	s_wait_loadcnt 0x0
	ds_store_b32 v15, v6
.LBB7_5:                                ;   in Loop: Header=BB7_3 Depth=1
	s_wait_xcnt 0x0
	s_or_b32 exec_lo, exec_lo, s2
	s_add_co_i32 s14, s7, s6
	s_mov_b32 s16, s7
	s_min_u32 s15, s14, s11
	s_delay_alu instid0(SALU_CYCLE_1)
	s_cmp_ge_i32 s7, s15
	s_cbranch_scc0 .LBB7_7
	s_branch .LBB7_2
.LBB7_6:                                ;   in Loop: Header=BB7_7 Depth=2
	s_wait_xcnt 0x0
	s_or_b32 exec_lo, exec_lo, s17
	s_add_co_i32 s16, s16, s12
	s_delay_alu instid0(SALU_CYCLE_1)
	s_cmp_ge_i32 s16, s15
	s_cbranch_scc1 .LBB7_2
.LBB7_7:                                ;   Parent Loop BB7_3 Depth=1
                                        ; =>  This Loop Header: Depth=2
                                        ;       Child Loop BB7_15 Depth 3
	v_add_nc_u32_e32 v8, s16, v11
	s_wait_dscnt 0x0
	s_barrier_signal -1
	s_barrier_wait -1
	s_delay_alu instid0(VALU_DEP_1) | instskip(SKIP_1) | instid1(VALU_DEP_2)
	v_subrev_nc_u32_e32 v6, s7, v8
	v_cmp_le_i32_e64 s1, s11, v8
	v_lshl_add_u32 v6, v6, 2, s13
	s_or_b32 s17, vcc_lo, s1
	ds_load_b32 v6, v6
	s_wait_dscnt 0x0
	v_cmp_eq_u32_e64 s2, s10, v6
	s_nor_b32 s18, s17, s2
	s_delay_alu instid0(SALU_CYCLE_1)
	s_and_saveexec_b32 s17, s18
	s_cbranch_execz .LBB7_9
; %bb.8:                                ;   in Loop: Header=BB7_7 Depth=2
	v_ashrrev_i32_e32 v9, 31, v8
	s_delay_alu instid0(VALU_DEP_1) | instskip(NEXT) | instid1(VALU_DEP_1)
	v_mul_u64_e32 v[8:9], s[8:9], v[8:9]
	v_lshl_add_u64 v[8:9], v[8:9], 1, v[2:3]
	global_load_u16 v7, v[8:9], off
	s_wait_loadcnt 0x0
	v_lshlrev_b32_e32 v7, 16, v7
	ds_store_b32 v16, v7
.LBB7_9:                                ;   in Loop: Header=BB7_7 Depth=2
	s_wait_xcnt 0x0
	s_or_b32 exec_lo, exec_lo, s17
	s_nor_b32 s1, s1, s2
	s_wait_dscnt 0x0
	s_barrier_signal -1
	s_barrier_wait -1
	s_and_saveexec_b32 s17, s1
	s_cbranch_execz .LBB7_6
; %bb.10:                               ;   in Loop: Header=BB7_7 Depth=2
	s_sub_co_i32 s1, s15, s16
	s_mov_b32 s18, 0
	s_min_u32 s1, s1, s12
	s_mov_b32 s2, exec_lo
	v_cmpx_gt_u32_e64 s1, v10
	s_cbranch_execz .LBB7_12
; %bb.11:                               ;   in Loop: Header=BB7_7 Depth=2
	s_sub_co_i32 s1, s16, s7
	s_delay_alu instid0(SALU_CYCLE_1)
	v_lshl_add_u32 v7, s1, 2, v14
	ds_load_b32 v7, v7
	s_wait_dscnt 0x0
	v_cmp_eq_u32_e64 s1, v6, v7
	s_and_b32 s18, s1, exec_lo
.LBB7_12:                               ;   in Loop: Header=BB7_7 Depth=2
	s_or_b32 exec_lo, exec_lo, s2
	v_cndmask_b32_e64 v7, 0, 1, s18
	s_delay_alu instid0(VALU_DEP_1) | instskip(SKIP_4) | instid1(SALU_CYCLE_1)
	v_cmp_ne_u32_e64 s2, 0, v7
	s_ctz_i32_b64 s1, s[2:3]
	s_cmp_lg_u32 s2, 0
	v_cmp_eq_u32_e64 s1, s1, v11
	s_cselect_b32 s18, -1, 0
	s_and_b32 s1, s18, s1
	s_delay_alu instid0(SALU_CYCLE_1)
	s_and_b32 exec_lo, exec_lo, s1
	s_cbranch_execz .LBB7_6
; %bb.13:                               ;   in Loop: Header=BB7_7 Depth=2
	s_mov_b32 s18, exec_lo
	v_cmpx_ne_u64_e64 s[2:3], v[0:1]
	s_cbranch_execz .LBB7_16
; %bb.14:                               ;   in Loop: Header=BB7_7 Depth=2
	ds_load_b32 v7, v16
	v_dual_mov_b32 v9, v1 :: v_dual_bitop2_b32 v8, s2, v0 bitop3:0x14
	s_mov_b32 s2, 0
.LBB7_15:                               ;   Parent Loop BB7_3 Depth=1
                                        ;     Parent Loop BB7_7 Depth=2
                                        ; =>    This Inner Loop Header: Depth=3
	s_delay_alu instid0(VALU_DEP_1) | instskip(NEXT) | instid1(VALU_DEP_2)
	v_ctz_i32_b32_e32 v17, v8
	v_ctz_i32_b32_e32 v18, v9
	s_delay_alu instid0(VALU_DEP_1) | instskip(NEXT) | instid1(VALU_DEP_1)
	v_add_min_u32_e64 v17, v18, 32, v17
	v_lshl_add_u32 v18, v17, 7, v13
	ds_load_b32 v22, v18
	v_lshlrev_b32_e64 v18, v17, 1
	s_delay_alu instid0(VALU_DEP_1) | instskip(NEXT) | instid1(VALU_DEP_1)
	v_dual_ashrrev_i32 v19, 31, v18 :: v_dual_bitop2_b32 v20, v8, v18 bitop3:0x14
	v_xor_b32_e32 v21, v9, v19
	v_cmp_eq_u64_e64 s1, v[8:9], v[18:19]
	s_delay_alu instid0(VALU_DEP_2)
	v_mov_b64_e32 v[8:9], v[20:21]
	s_or_b32 s2, s1, s2
	s_wait_dscnt 0x0
	v_add_f32_e32 v7, v22, v7
	ds_store_b32 v16, v7
	s_and_not1_b32 exec_lo, exec_lo, s2
	s_cbranch_execnz .LBB7_15
.LBB7_16:                               ;   in Loop: Header=BB7_7 Depth=2
	s_or_b32 exec_lo, exec_lo, s18
	s_delay_alu instid0(SALU_CYCLE_1)
	s_and_b32 exec_lo, exec_lo, s0
	s_cbranch_execz .LBB7_6
; %bb.17:                               ;   in Loop: Header=BB7_7 Depth=2
	v_ashrrev_i32_e32 v7, 31, v6
	ds_load_b32 v9, v16
	v_mul_u64_e32 v[6:7], s[8:9], v[6:7]
	s_wait_dscnt 0x0
	v_bfe_u32 v17, v9, 16, 1
	v_cmp_o_f32_e64 s1, v9, v9
	s_delay_alu instid0(VALU_DEP_2) | instskip(NEXT) | instid1(VALU_DEP_1)
	v_add3_u32 v17, v9, v17, 0x7fff
	v_and_b32_e32 v17, 0xffff0000, v17
	s_delay_alu instid0(VALU_DEP_1) | instskip(SKIP_4) | instid1(VALU_DEP_1)
	v_cndmask_b32_e64 v9, 0x7fc00000, v17, s1
	v_lshl_add_u64 v[6:7], v[6:7], 1, v[4:5]
	global_load_u16 v8, v[6:7], off
	s_wait_loadcnt 0x0
	v_lshlrev_b32_e32 v8, 16, v8
	v_add_f32_e32 v8, v9, v8
	s_delay_alu instid0(VALU_DEP_1) | instskip(NEXT) | instid1(VALU_DEP_1)
	v_bfe_u32 v9, v8, 16, 1
	v_add3_u32 v9, v8, v9, 0x7fff
	s_delay_alu instid0(VALU_DEP_1) | instskip(SKIP_1) | instid1(VALU_DEP_1)
	v_lshrrev_b32_e32 v9, 16, v9
	v_cmp_o_f32_e64 s1, v8, v8
	v_cndmask_b32_e64 v8, 0x7fc0, v9, s1
	global_store_b16 v[6:7], v8, off
	s_branch .LBB7_6
.LBB7_18:
	s_endpgm
	.section	.rodata,"a",@progbits
	.p2align	6, 0x0
	.amdhsa_kernel _ZN2at6native12_GLOBAL__N_133embedding_backward_feature_kernelIN3c108BFloat16EflEEvPKT1_PKT_PS8_ili
		.amdhsa_group_segment_fixed_size 0
		.amdhsa_private_segment_fixed_size 0
		.amdhsa_kernarg_size 304
		.amdhsa_user_sgpr_count 2
		.amdhsa_user_sgpr_dispatch_ptr 0
		.amdhsa_user_sgpr_queue_ptr 0
		.amdhsa_user_sgpr_kernarg_segment_ptr 1
		.amdhsa_user_sgpr_dispatch_id 0
		.amdhsa_user_sgpr_kernarg_preload_length 0
		.amdhsa_user_sgpr_kernarg_preload_offset 0
		.amdhsa_user_sgpr_private_segment_size 0
		.amdhsa_wavefront_size32 1
		.amdhsa_uses_dynamic_stack 0
		.amdhsa_enable_private_segment 0
		.amdhsa_system_sgpr_workgroup_id_x 1
		.amdhsa_system_sgpr_workgroup_id_y 0
		.amdhsa_system_sgpr_workgroup_id_z 0
		.amdhsa_system_sgpr_workgroup_info 0
		.amdhsa_system_vgpr_workitem_id 1
		.amdhsa_next_free_vgpr 23
		.amdhsa_next_free_sgpr 19
		.amdhsa_named_barrier_count 0
		.amdhsa_reserve_vcc 1
		.amdhsa_float_round_mode_32 0
		.amdhsa_float_round_mode_16_64 0
		.amdhsa_float_denorm_mode_32 3
		.amdhsa_float_denorm_mode_16_64 3
		.amdhsa_fp16_overflow 0
		.amdhsa_memory_ordered 1
		.amdhsa_forward_progress 1
		.amdhsa_inst_pref_size 9
		.amdhsa_round_robin_scheduling 0
		.amdhsa_exception_fp_ieee_invalid_op 0
		.amdhsa_exception_fp_denorm_src 0
		.amdhsa_exception_fp_ieee_div_zero 0
		.amdhsa_exception_fp_ieee_overflow 0
		.amdhsa_exception_fp_ieee_underflow 0
		.amdhsa_exception_fp_ieee_inexact 0
		.amdhsa_exception_int_div_zero 0
	.end_amdhsa_kernel
	.section	.text._ZN2at6native12_GLOBAL__N_133embedding_backward_feature_kernelIN3c108BFloat16EflEEvPKT1_PKT_PS8_ili,"axG",@progbits,_ZN2at6native12_GLOBAL__N_133embedding_backward_feature_kernelIN3c108BFloat16EflEEvPKT1_PKT_PS8_ili,comdat
.Lfunc_end7:
	.size	_ZN2at6native12_GLOBAL__N_133embedding_backward_feature_kernelIN3c108BFloat16EflEEvPKT1_PKT_PS8_ili, .Lfunc_end7-_ZN2at6native12_GLOBAL__N_133embedding_backward_feature_kernelIN3c108BFloat16EflEEvPKT1_PKT_PS8_ili
                                        ; -- End function
	.set _ZN2at6native12_GLOBAL__N_133embedding_backward_feature_kernelIN3c108BFloat16EflEEvPKT1_PKT_PS8_ili.num_vgpr, 23
	.set _ZN2at6native12_GLOBAL__N_133embedding_backward_feature_kernelIN3c108BFloat16EflEEvPKT1_PKT_PS8_ili.num_agpr, 0
	.set _ZN2at6native12_GLOBAL__N_133embedding_backward_feature_kernelIN3c108BFloat16EflEEvPKT1_PKT_PS8_ili.numbered_sgpr, 19
	.set _ZN2at6native12_GLOBAL__N_133embedding_backward_feature_kernelIN3c108BFloat16EflEEvPKT1_PKT_PS8_ili.num_named_barrier, 0
	.set _ZN2at6native12_GLOBAL__N_133embedding_backward_feature_kernelIN3c108BFloat16EflEEvPKT1_PKT_PS8_ili.private_seg_size, 0
	.set _ZN2at6native12_GLOBAL__N_133embedding_backward_feature_kernelIN3c108BFloat16EflEEvPKT1_PKT_PS8_ili.uses_vcc, 1
	.set _ZN2at6native12_GLOBAL__N_133embedding_backward_feature_kernelIN3c108BFloat16EflEEvPKT1_PKT_PS8_ili.uses_flat_scratch, 0
	.set _ZN2at6native12_GLOBAL__N_133embedding_backward_feature_kernelIN3c108BFloat16EflEEvPKT1_PKT_PS8_ili.has_dyn_sized_stack, 0
	.set _ZN2at6native12_GLOBAL__N_133embedding_backward_feature_kernelIN3c108BFloat16EflEEvPKT1_PKT_PS8_ili.has_recursion, 0
	.set _ZN2at6native12_GLOBAL__N_133embedding_backward_feature_kernelIN3c108BFloat16EflEEvPKT1_PKT_PS8_ili.has_indirect_call, 0
	.section	.AMDGPU.csdata,"",@progbits
; Kernel info:
; codeLenInByte = 1044
; TotalNumSgprs: 21
; NumVgprs: 23
; ScratchSize: 0
; MemoryBound: 0
; FloatMode: 240
; IeeeMode: 1
; LDSByteSize: 0 bytes/workgroup (compile time only)
; SGPRBlocks: 0
; VGPRBlocks: 1
; NumSGPRsForWavesPerEU: 21
; NumVGPRsForWavesPerEU: 23
; NamedBarCnt: 0
; Occupancy: 16
; WaveLimiterHint : 0
; COMPUTE_PGM_RSRC2:SCRATCH_EN: 0
; COMPUTE_PGM_RSRC2:USER_SGPR: 2
; COMPUTE_PGM_RSRC2:TRAP_HANDLER: 0
; COMPUTE_PGM_RSRC2:TGID_X_EN: 1
; COMPUTE_PGM_RSRC2:TGID_Y_EN: 0
; COMPUTE_PGM_RSRC2:TGID_Z_EN: 0
; COMPUTE_PGM_RSRC2:TIDIG_COMP_CNT: 1
	.section	.text._ZN7rocprim17ROCPRIM_400000_NS6detail30init_device_scan_by_key_kernelINS1_19lookback_scan_stateINS0_5tupleIJibEEELb0ELb1EEEPKijNS1_16block_id_wrapperIjLb0EEEEEvT_jjPNSB_10value_typeET0_PNSt15iterator_traitsISE_E10value_typeEmT1_T2_,"axG",@progbits,_ZN7rocprim17ROCPRIM_400000_NS6detail30init_device_scan_by_key_kernelINS1_19lookback_scan_stateINS0_5tupleIJibEEELb0ELb1EEEPKijNS1_16block_id_wrapperIjLb0EEEEEvT_jjPNSB_10value_typeET0_PNSt15iterator_traitsISE_E10value_typeEmT1_T2_,comdat
	.protected	_ZN7rocprim17ROCPRIM_400000_NS6detail30init_device_scan_by_key_kernelINS1_19lookback_scan_stateINS0_5tupleIJibEEELb0ELb1EEEPKijNS1_16block_id_wrapperIjLb0EEEEEvT_jjPNSB_10value_typeET0_PNSt15iterator_traitsISE_E10value_typeEmT1_T2_ ; -- Begin function _ZN7rocprim17ROCPRIM_400000_NS6detail30init_device_scan_by_key_kernelINS1_19lookback_scan_stateINS0_5tupleIJibEEELb0ELb1EEEPKijNS1_16block_id_wrapperIjLb0EEEEEvT_jjPNSB_10value_typeET0_PNSt15iterator_traitsISE_E10value_typeEmT1_T2_
	.globl	_ZN7rocprim17ROCPRIM_400000_NS6detail30init_device_scan_by_key_kernelINS1_19lookback_scan_stateINS0_5tupleIJibEEELb0ELb1EEEPKijNS1_16block_id_wrapperIjLb0EEEEEvT_jjPNSB_10value_typeET0_PNSt15iterator_traitsISE_E10value_typeEmT1_T2_
	.p2align	8
	.type	_ZN7rocprim17ROCPRIM_400000_NS6detail30init_device_scan_by_key_kernelINS1_19lookback_scan_stateINS0_5tupleIJibEEELb0ELb1EEEPKijNS1_16block_id_wrapperIjLb0EEEEEvT_jjPNSB_10value_typeET0_PNSt15iterator_traitsISE_E10value_typeEmT1_T2_,@function
_ZN7rocprim17ROCPRIM_400000_NS6detail30init_device_scan_by_key_kernelINS1_19lookback_scan_stateINS0_5tupleIJibEEELb0ELb1EEEPKijNS1_16block_id_wrapperIjLb0EEEEEvT_jjPNSB_10value_typeET0_PNSt15iterator_traitsISE_E10value_typeEmT1_T2_: ; @_ZN7rocprim17ROCPRIM_400000_NS6detail30init_device_scan_by_key_kernelINS1_19lookback_scan_stateINS0_5tupleIJibEEELb0ELb1EEEPKijNS1_16block_id_wrapperIjLb0EEEEEvT_jjPNSB_10value_typeET0_PNSt15iterator_traitsISE_E10value_typeEmT1_T2_
; %bb.0:
	s_clause 0x2
	s_load_b32 s2, s[0:1], 0x44
	s_load_b32 s14, s[0:1], 0x38
	s_load_b256 s[4:11], s[0:1], 0x0
	s_bfe_u32 s3, ttmp6, 0x4000c
	s_and_b32 s12, ttmp6, 15
	s_add_co_i32 s3, s3, 1
	s_getreg_b32 s13, hwreg(HW_REG_IB_STS2, 6, 4)
	s_mul_i32 s3, ttmp9, s3
	s_delay_alu instid0(SALU_CYCLE_1)
	s_add_co_i32 s12, s12, s3
	s_wait_kmcnt 0x0
	s_and_b32 s15, s2, 0xffff
	s_cmp_eq_u32 s13, 0
	s_cselect_b32 s2, ttmp9, s12
	s_cmp_eq_u64 s[8:9], 0
	v_mad_u32 v4, s2, s15, v0
	s_cbranch_scc1 .LBB8_8
; %bb.1:
	s_cmp_lt_u32 s7, s6
	s_mov_b32 s16, exec_lo
	s_cselect_b32 s2, s7, 0
	s_delay_alu instid0(VALU_DEP_1) | instid1(SALU_CYCLE_1)
	v_cmpx_eq_u32_e64 s2, v4
	s_cbranch_execz .LBB8_7
; %bb.2:
	s_add_co_i32 s2, s7, 32
	s_mov_b32 s3, 0
	v_mov_b32_e32 v7, 0
	s_lshl_b64 s[12:13], s[2:3], 4
	s_mov_b32 s2, exec_lo
	s_add_nc_u64 s[12:13], s[4:5], s[12:13]
	s_delay_alu instid0(SALU_CYCLE_1) | instskip(SKIP_2) | instid1(VALU_DEP_1)
	v_mov_b64_e32 v[0:1], s[12:13]
	;;#ASMSTART
	global_load_b128 v[0:3], v[0:1] off scope:SCOPE_DEV	
s_wait_loadcnt 0x0
	;;#ASMEND
	v_and_b32_e32 v6, 0xff, v2
	v_cmpx_eq_u64_e32 0, v[6:7]
	s_cbranch_execz .LBB8_6
; %bb.3:
	v_mov_b64_e32 v[8:9], s[12:13]
.LBB8_4:                                ; =>This Inner Loop Header: Depth=1
	;;#ASMSTART
	global_load_b128 v[0:3], v[8:9] off scope:SCOPE_DEV	
s_wait_loadcnt 0x0
	;;#ASMEND
	v_and_b32_e32 v6, 0xff, v2
	s_delay_alu instid0(VALU_DEP_1) | instskip(SKIP_1) | instid1(SALU_CYCLE_1)
	v_cmp_ne_u64_e32 vcc_lo, 0, v[6:7]
	s_or_b32 s3, vcc_lo, s3
	s_and_not1_b32 exec_lo, exec_lo, s3
	s_cbranch_execnz .LBB8_4
; %bb.5:
	s_or_b32 exec_lo, exec_lo, s3
.LBB8_6:
	s_delay_alu instid0(SALU_CYCLE_1)
	s_or_b32 exec_lo, exec_lo, s2
	v_mov_b32_e32 v2, 0
	s_clause 0x1
	global_store_b32 v2, v0, s[8:9]
	global_store_b8 v2, v1, s[8:9] offset:4
.LBB8_7:
	s_wait_xcnt 0x0
	s_or_b32 exec_lo, exec_lo, s16
.LBB8_8:
	s_delay_alu instid0(SALU_CYCLE_1) | instskip(NEXT) | instid1(VALU_DEP_1)
	s_mov_b32 s2, exec_lo
	v_cmpx_gt_u32_e64 s6, v4
	s_cbranch_execz .LBB8_10
; %bb.9:
	v_dual_mov_b32 v0, 0 :: v_dual_add_nc_u32 v5, 32, v4
	s_delay_alu instid0(VALU_DEP_1)
	v_dual_mov_b32 v1, v0 :: v_dual_mov_b32 v2, v0
	v_mov_b32_e32 v3, v0
	global_store_b128 v5, v[0:3], s[4:5] scale_offset
.LBB8_10:
	s_wait_xcnt 0x0
	s_or_b32 exec_lo, exec_lo, s2
	v_mov_b32_e32 v5, 0
	s_mov_b32 s2, exec_lo
	v_cmpx_gt_u32_e32 32, v4
	s_cbranch_execz .LBB8_12
; %bb.11:
	s_delay_alu instid0(VALU_DEP_2)
	v_lshl_add_u64 v[6:7], v[4:5], 4, s[4:5]
	v_dual_mov_b32 v2, 0xff :: v_dual_mov_b32 v1, v5
	v_dual_mov_b32 v0, v5 :: v_dual_mov_b32 v3, v5
	global_store_b128 v[6:7], v[0:3], off
.LBB8_12:
	s_wait_xcnt 0x0
	s_or_b32 exec_lo, exec_lo, s2
	s_load_b64 s[2:3], s[0:1], 0x28
	s_mov_b32 s4, exec_lo
	s_wait_kmcnt 0x0
	v_cmpx_gt_u64_e64 s[2:3], v[4:5]
	s_cbranch_execz .LBB8_15
; %bb.13:
	s_clause 0x1
	s_load_b32 s4, s[0:1], 0x30
	s_load_b64 s[6:7], s[0:1], 0x20
	s_mov_b32 s5, 0
	s_wait_xcnt 0x0
	s_mul_i32 s0, s14, s15
	s_mov_b32 s9, s5
	s_mov_b32 s1, s5
	s_wait_kmcnt 0x0
	v_mul_u64_e32 v[0:1], s[4:5], v[4:5]
	s_add_co_i32 s8, s4, -1
	v_lshl_add_u64 v[2:3], v[4:5], 2, s[6:7]
	s_lshl_b64 s[8:9], s[8:9], 2
	s_delay_alu instid0(SALU_CYCLE_1) | instskip(SKIP_1) | instid1(SALU_CYCLE_1)
	s_add_nc_u64 s[8:9], s[10:11], s[8:9]
	s_mul_u64 s[10:11], s[4:5], s[0:1]
	s_lshl_b64 s[6:7], s[10:11], 2
	s_delay_alu instid0(VALU_DEP_2)
	v_lshl_add_u64 v[0:1], v[0:1], 2, s[8:9]
	s_lshl_b64 s[8:9], s[0:1], 2
.LBB8_14:                               ; =>This Inner Loop Header: Depth=1
	global_load_b32 v6, v[0:1], off
	v_add_nc_u64_e32 v[4:5], s[0:1], v[4:5]
	s_wait_xcnt 0x0
	v_add_nc_u64_e32 v[0:1], s[6:7], v[0:1]
	s_delay_alu instid0(VALU_DEP_2)
	v_cmp_le_u64_e32 vcc_lo, s[2:3], v[4:5]
	s_or_b32 s5, vcc_lo, s5
	s_wait_loadcnt 0x0
	global_store_b32 v[2:3], v6, off
	s_wait_xcnt 0x0
	v_add_nc_u64_e32 v[2:3], s[8:9], v[2:3]
	s_and_not1_b32 exec_lo, exec_lo, s5
	s_cbranch_execnz .LBB8_14
.LBB8_15:
	s_endpgm
	.section	.rodata,"a",@progbits
	.p2align	6, 0x0
	.amdhsa_kernel _ZN7rocprim17ROCPRIM_400000_NS6detail30init_device_scan_by_key_kernelINS1_19lookback_scan_stateINS0_5tupleIJibEEELb0ELb1EEEPKijNS1_16block_id_wrapperIjLb0EEEEEvT_jjPNSB_10value_typeET0_PNSt15iterator_traitsISE_E10value_typeEmT1_T2_
		.amdhsa_group_segment_fixed_size 0
		.amdhsa_private_segment_fixed_size 0
		.amdhsa_kernarg_size 312
		.amdhsa_user_sgpr_count 2
		.amdhsa_user_sgpr_dispatch_ptr 0
		.amdhsa_user_sgpr_queue_ptr 0
		.amdhsa_user_sgpr_kernarg_segment_ptr 1
		.amdhsa_user_sgpr_dispatch_id 0
		.amdhsa_user_sgpr_kernarg_preload_length 0
		.amdhsa_user_sgpr_kernarg_preload_offset 0
		.amdhsa_user_sgpr_private_segment_size 0
		.amdhsa_wavefront_size32 1
		.amdhsa_uses_dynamic_stack 0
		.amdhsa_enable_private_segment 0
		.amdhsa_system_sgpr_workgroup_id_x 1
		.amdhsa_system_sgpr_workgroup_id_y 0
		.amdhsa_system_sgpr_workgroup_id_z 0
		.amdhsa_system_sgpr_workgroup_info 0
		.amdhsa_system_vgpr_workitem_id 0
		.amdhsa_next_free_vgpr 10
		.amdhsa_next_free_sgpr 17
		.amdhsa_named_barrier_count 0
		.amdhsa_reserve_vcc 1
		.amdhsa_float_round_mode_32 0
		.amdhsa_float_round_mode_16_64 0
		.amdhsa_float_denorm_mode_32 3
		.amdhsa_float_denorm_mode_16_64 3
		.amdhsa_fp16_overflow 0
		.amdhsa_memory_ordered 1
		.amdhsa_forward_progress 1
		.amdhsa_inst_pref_size 5
		.amdhsa_round_robin_scheduling 0
		.amdhsa_exception_fp_ieee_invalid_op 0
		.amdhsa_exception_fp_denorm_src 0
		.amdhsa_exception_fp_ieee_div_zero 0
		.amdhsa_exception_fp_ieee_overflow 0
		.amdhsa_exception_fp_ieee_underflow 0
		.amdhsa_exception_fp_ieee_inexact 0
		.amdhsa_exception_int_div_zero 0
	.end_amdhsa_kernel
	.section	.text._ZN7rocprim17ROCPRIM_400000_NS6detail30init_device_scan_by_key_kernelINS1_19lookback_scan_stateINS0_5tupleIJibEEELb0ELb1EEEPKijNS1_16block_id_wrapperIjLb0EEEEEvT_jjPNSB_10value_typeET0_PNSt15iterator_traitsISE_E10value_typeEmT1_T2_,"axG",@progbits,_ZN7rocprim17ROCPRIM_400000_NS6detail30init_device_scan_by_key_kernelINS1_19lookback_scan_stateINS0_5tupleIJibEEELb0ELb1EEEPKijNS1_16block_id_wrapperIjLb0EEEEEvT_jjPNSB_10value_typeET0_PNSt15iterator_traitsISE_E10value_typeEmT1_T2_,comdat
.Lfunc_end8:
	.size	_ZN7rocprim17ROCPRIM_400000_NS6detail30init_device_scan_by_key_kernelINS1_19lookback_scan_stateINS0_5tupleIJibEEELb0ELb1EEEPKijNS1_16block_id_wrapperIjLb0EEEEEvT_jjPNSB_10value_typeET0_PNSt15iterator_traitsISE_E10value_typeEmT1_T2_, .Lfunc_end8-_ZN7rocprim17ROCPRIM_400000_NS6detail30init_device_scan_by_key_kernelINS1_19lookback_scan_stateINS0_5tupleIJibEEELb0ELb1EEEPKijNS1_16block_id_wrapperIjLb0EEEEEvT_jjPNSB_10value_typeET0_PNSt15iterator_traitsISE_E10value_typeEmT1_T2_
                                        ; -- End function
	.set _ZN7rocprim17ROCPRIM_400000_NS6detail30init_device_scan_by_key_kernelINS1_19lookback_scan_stateINS0_5tupleIJibEEELb0ELb1EEEPKijNS1_16block_id_wrapperIjLb0EEEEEvT_jjPNSB_10value_typeET0_PNSt15iterator_traitsISE_E10value_typeEmT1_T2_.num_vgpr, 10
	.set _ZN7rocprim17ROCPRIM_400000_NS6detail30init_device_scan_by_key_kernelINS1_19lookback_scan_stateINS0_5tupleIJibEEELb0ELb1EEEPKijNS1_16block_id_wrapperIjLb0EEEEEvT_jjPNSB_10value_typeET0_PNSt15iterator_traitsISE_E10value_typeEmT1_T2_.num_agpr, 0
	.set _ZN7rocprim17ROCPRIM_400000_NS6detail30init_device_scan_by_key_kernelINS1_19lookback_scan_stateINS0_5tupleIJibEEELb0ELb1EEEPKijNS1_16block_id_wrapperIjLb0EEEEEvT_jjPNSB_10value_typeET0_PNSt15iterator_traitsISE_E10value_typeEmT1_T2_.numbered_sgpr, 17
	.set _ZN7rocprim17ROCPRIM_400000_NS6detail30init_device_scan_by_key_kernelINS1_19lookback_scan_stateINS0_5tupleIJibEEELb0ELb1EEEPKijNS1_16block_id_wrapperIjLb0EEEEEvT_jjPNSB_10value_typeET0_PNSt15iterator_traitsISE_E10value_typeEmT1_T2_.num_named_barrier, 0
	.set _ZN7rocprim17ROCPRIM_400000_NS6detail30init_device_scan_by_key_kernelINS1_19lookback_scan_stateINS0_5tupleIJibEEELb0ELb1EEEPKijNS1_16block_id_wrapperIjLb0EEEEEvT_jjPNSB_10value_typeET0_PNSt15iterator_traitsISE_E10value_typeEmT1_T2_.private_seg_size, 0
	.set _ZN7rocprim17ROCPRIM_400000_NS6detail30init_device_scan_by_key_kernelINS1_19lookback_scan_stateINS0_5tupleIJibEEELb0ELb1EEEPKijNS1_16block_id_wrapperIjLb0EEEEEvT_jjPNSB_10value_typeET0_PNSt15iterator_traitsISE_E10value_typeEmT1_T2_.uses_vcc, 1
	.set _ZN7rocprim17ROCPRIM_400000_NS6detail30init_device_scan_by_key_kernelINS1_19lookback_scan_stateINS0_5tupleIJibEEELb0ELb1EEEPKijNS1_16block_id_wrapperIjLb0EEEEEvT_jjPNSB_10value_typeET0_PNSt15iterator_traitsISE_E10value_typeEmT1_T2_.uses_flat_scratch, 0
	.set _ZN7rocprim17ROCPRIM_400000_NS6detail30init_device_scan_by_key_kernelINS1_19lookback_scan_stateINS0_5tupleIJibEEELb0ELb1EEEPKijNS1_16block_id_wrapperIjLb0EEEEEvT_jjPNSB_10value_typeET0_PNSt15iterator_traitsISE_E10value_typeEmT1_T2_.has_dyn_sized_stack, 0
	.set _ZN7rocprim17ROCPRIM_400000_NS6detail30init_device_scan_by_key_kernelINS1_19lookback_scan_stateINS0_5tupleIJibEEELb0ELb1EEEPKijNS1_16block_id_wrapperIjLb0EEEEEvT_jjPNSB_10value_typeET0_PNSt15iterator_traitsISE_E10value_typeEmT1_T2_.has_recursion, 0
	.set _ZN7rocprim17ROCPRIM_400000_NS6detail30init_device_scan_by_key_kernelINS1_19lookback_scan_stateINS0_5tupleIJibEEELb0ELb1EEEPKijNS1_16block_id_wrapperIjLb0EEEEEvT_jjPNSB_10value_typeET0_PNSt15iterator_traitsISE_E10value_typeEmT1_T2_.has_indirect_call, 0
	.section	.AMDGPU.csdata,"",@progbits
; Kernel info:
; codeLenInByte = 584
; TotalNumSgprs: 19
; NumVgprs: 10
; ScratchSize: 0
; MemoryBound: 0
; FloatMode: 240
; IeeeMode: 1
; LDSByteSize: 0 bytes/workgroup (compile time only)
; SGPRBlocks: 0
; VGPRBlocks: 0
; NumSGPRsForWavesPerEU: 19
; NumVGPRsForWavesPerEU: 10
; NamedBarCnt: 0
; Occupancy: 16
; WaveLimiterHint : 0
; COMPUTE_PGM_RSRC2:SCRATCH_EN: 0
; COMPUTE_PGM_RSRC2:USER_SGPR: 2
; COMPUTE_PGM_RSRC2:TRAP_HANDLER: 0
; COMPUTE_PGM_RSRC2:TGID_X_EN: 1
; COMPUTE_PGM_RSRC2:TGID_Y_EN: 0
; COMPUTE_PGM_RSRC2:TGID_Z_EN: 0
; COMPUTE_PGM_RSRC2:TIDIG_COMP_CNT: 0
	.section	.text._ZN7rocprim17ROCPRIM_400000_NS6detail30init_device_scan_by_key_kernelINS1_19lookback_scan_stateINS0_5tupleIJibEEELb0ELb1EEENS1_16block_id_wrapperIjLb0EEEEEvT_jjPNS9_10value_typeET0_,"axG",@progbits,_ZN7rocprim17ROCPRIM_400000_NS6detail30init_device_scan_by_key_kernelINS1_19lookback_scan_stateINS0_5tupleIJibEEELb0ELb1EEENS1_16block_id_wrapperIjLb0EEEEEvT_jjPNS9_10value_typeET0_,comdat
	.protected	_ZN7rocprim17ROCPRIM_400000_NS6detail30init_device_scan_by_key_kernelINS1_19lookback_scan_stateINS0_5tupleIJibEEELb0ELb1EEENS1_16block_id_wrapperIjLb0EEEEEvT_jjPNS9_10value_typeET0_ ; -- Begin function _ZN7rocprim17ROCPRIM_400000_NS6detail30init_device_scan_by_key_kernelINS1_19lookback_scan_stateINS0_5tupleIJibEEELb0ELb1EEENS1_16block_id_wrapperIjLb0EEEEEvT_jjPNS9_10value_typeET0_
	.globl	_ZN7rocprim17ROCPRIM_400000_NS6detail30init_device_scan_by_key_kernelINS1_19lookback_scan_stateINS0_5tupleIJibEEELb0ELb1EEENS1_16block_id_wrapperIjLb0EEEEEvT_jjPNS9_10value_typeET0_
	.p2align	8
	.type	_ZN7rocprim17ROCPRIM_400000_NS6detail30init_device_scan_by_key_kernelINS1_19lookback_scan_stateINS0_5tupleIJibEEELb0ELb1EEENS1_16block_id_wrapperIjLb0EEEEEvT_jjPNS9_10value_typeET0_,@function
_ZN7rocprim17ROCPRIM_400000_NS6detail30init_device_scan_by_key_kernelINS1_19lookback_scan_stateINS0_5tupleIJibEEELb0ELb1EEENS1_16block_id_wrapperIjLb0EEEEEvT_jjPNS9_10value_typeET0_: ; @_ZN7rocprim17ROCPRIM_400000_NS6detail30init_device_scan_by_key_kernelINS1_19lookback_scan_stateINS0_5tupleIJibEEELb0ELb1EEENS1_16block_id_wrapperIjLb0EEEEEvT_jjPNS9_10value_typeET0_
; %bb.0:
	s_clause 0x2
	s_load_b32 s8, s[0:1], 0x2c
	s_load_b128 s[4:7], s[0:1], 0x0
	s_load_b64 s[2:3], s[0:1], 0x10
	s_wait_xcnt 0x0
	s_bfe_u32 s0, ttmp6, 0x4000c
	s_and_b32 s1, ttmp6, 15
	s_add_co_i32 s0, s0, 1
	s_getreg_b32 s9, hwreg(HW_REG_IB_STS2, 6, 4)
	s_mul_i32 s0, ttmp9, s0
	s_delay_alu instid0(SALU_CYCLE_1)
	s_add_co_i32 s1, s1, s0
	s_wait_kmcnt 0x0
	s_and_b32 s8, s8, 0xffff
	s_cmp_eq_u32 s9, 0
	s_cselect_b32 s0, ttmp9, s1
	s_cmp_eq_u64 s[2:3], 0
	v_mad_u32 v8, s0, s8, v0
	s_cbranch_scc1 .LBB9_8
; %bb.1:
	s_cmp_lt_u32 s7, s6
	s_mov_b32 s10, exec_lo
	s_cselect_b32 s0, s7, 0
	s_delay_alu instid0(VALU_DEP_1) | instid1(SALU_CYCLE_1)
	v_cmpx_eq_u32_e64 s0, v8
	s_cbranch_execz .LBB9_7
; %bb.2:
	s_add_co_i32 s0, s7, 32
	s_mov_b32 s1, 0
	v_mov_b32_e32 v5, 0
	s_lshl_b64 s[8:9], s[0:1], 4
	s_mov_b32 s0, exec_lo
	s_add_nc_u64 s[8:9], s[4:5], s[8:9]
	s_delay_alu instid0(SALU_CYCLE_1) | instskip(SKIP_2) | instid1(VALU_DEP_1)
	v_mov_b64_e32 v[0:1], s[8:9]
	;;#ASMSTART
	global_load_b128 v[0:3], v[0:1] off scope:SCOPE_DEV	
s_wait_loadcnt 0x0
	;;#ASMEND
	v_and_b32_e32 v4, 0xff, v2
	v_cmpx_eq_u64_e32 0, v[4:5]
	s_cbranch_execz .LBB9_6
; %bb.3:
	v_mov_b64_e32 v[6:7], s[8:9]
.LBB9_4:                                ; =>This Inner Loop Header: Depth=1
	;;#ASMSTART
	global_load_b128 v[0:3], v[6:7] off scope:SCOPE_DEV	
s_wait_loadcnt 0x0
	;;#ASMEND
	v_and_b32_e32 v4, 0xff, v2
	s_delay_alu instid0(VALU_DEP_1) | instskip(SKIP_1) | instid1(SALU_CYCLE_1)
	v_cmp_ne_u64_e32 vcc_lo, 0, v[4:5]
	s_or_b32 s1, vcc_lo, s1
	s_and_not1_b32 exec_lo, exec_lo, s1
	s_cbranch_execnz .LBB9_4
; %bb.5:
	s_or_b32 exec_lo, exec_lo, s1
.LBB9_6:
	s_delay_alu instid0(SALU_CYCLE_1)
	s_or_b32 exec_lo, exec_lo, s0
	v_mov_b32_e32 v2, 0
	s_clause 0x1
	global_store_b32 v2, v0, s[2:3]
	global_store_b8 v2, v1, s[2:3] offset:4
.LBB9_7:
	s_wait_xcnt 0x0
	s_or_b32 exec_lo, exec_lo, s10
.LBB9_8:
	s_delay_alu instid0(SALU_CYCLE_1) | instskip(NEXT) | instid1(VALU_DEP_1)
	s_mov_b32 s0, exec_lo
	v_cmpx_gt_u32_e64 s6, v8
	s_cbranch_execz .LBB9_10
; %bb.9:
	v_dual_mov_b32 v0, 0 :: v_dual_add_nc_u32 v4, 32, v8
	s_delay_alu instid0(VALU_DEP_1)
	v_dual_mov_b32 v1, v0 :: v_dual_mov_b32 v2, v0
	v_mov_b32_e32 v3, v0
	global_store_b128 v4, v[0:3], s[4:5] scale_offset
.LBB9_10:
	s_wait_xcnt 0x0
	s_or_b32 exec_lo, exec_lo, s0
	s_delay_alu instid0(SALU_CYCLE_1)
	s_mov_b32 s0, exec_lo
	v_cmpx_gt_u32_e32 32, v8
	s_cbranch_execz .LBB9_12
; %bb.11:
	v_mov_b32_e32 v0, 0
	s_delay_alu instid0(VALU_DEP_1)
	v_dual_mov_b32 v2, 0xff :: v_dual_mov_b32 v1, v0
	v_mov_b32_e32 v3, v0
	global_store_b128 v8, v[0:3], s[4:5] scale_offset
.LBB9_12:
	s_endpgm
	.section	.rodata,"a",@progbits
	.p2align	6, 0x0
	.amdhsa_kernel _ZN7rocprim17ROCPRIM_400000_NS6detail30init_device_scan_by_key_kernelINS1_19lookback_scan_stateINS0_5tupleIJibEEELb0ELb1EEENS1_16block_id_wrapperIjLb0EEEEEvT_jjPNS9_10value_typeET0_
		.amdhsa_group_segment_fixed_size 0
		.amdhsa_private_segment_fixed_size 0
		.amdhsa_kernarg_size 288
		.amdhsa_user_sgpr_count 2
		.amdhsa_user_sgpr_dispatch_ptr 0
		.amdhsa_user_sgpr_queue_ptr 0
		.amdhsa_user_sgpr_kernarg_segment_ptr 1
		.amdhsa_user_sgpr_dispatch_id 0
		.amdhsa_user_sgpr_kernarg_preload_length 0
		.amdhsa_user_sgpr_kernarg_preload_offset 0
		.amdhsa_user_sgpr_private_segment_size 0
		.amdhsa_wavefront_size32 1
		.amdhsa_uses_dynamic_stack 0
		.amdhsa_enable_private_segment 0
		.amdhsa_system_sgpr_workgroup_id_x 1
		.amdhsa_system_sgpr_workgroup_id_y 0
		.amdhsa_system_sgpr_workgroup_id_z 0
		.amdhsa_system_sgpr_workgroup_info 0
		.amdhsa_system_vgpr_workitem_id 0
		.amdhsa_next_free_vgpr 9
		.amdhsa_next_free_sgpr 11
		.amdhsa_named_barrier_count 0
		.amdhsa_reserve_vcc 1
		.amdhsa_float_round_mode_32 0
		.amdhsa_float_round_mode_16_64 0
		.amdhsa_float_denorm_mode_32 3
		.amdhsa_float_denorm_mode_16_64 3
		.amdhsa_fp16_overflow 0
		.amdhsa_memory_ordered 1
		.amdhsa_forward_progress 1
		.amdhsa_inst_pref_size 3
		.amdhsa_round_robin_scheduling 0
		.amdhsa_exception_fp_ieee_invalid_op 0
		.amdhsa_exception_fp_denorm_src 0
		.amdhsa_exception_fp_ieee_div_zero 0
		.amdhsa_exception_fp_ieee_overflow 0
		.amdhsa_exception_fp_ieee_underflow 0
		.amdhsa_exception_fp_ieee_inexact 0
		.amdhsa_exception_int_div_zero 0
	.end_amdhsa_kernel
	.section	.text._ZN7rocprim17ROCPRIM_400000_NS6detail30init_device_scan_by_key_kernelINS1_19lookback_scan_stateINS0_5tupleIJibEEELb0ELb1EEENS1_16block_id_wrapperIjLb0EEEEEvT_jjPNS9_10value_typeET0_,"axG",@progbits,_ZN7rocprim17ROCPRIM_400000_NS6detail30init_device_scan_by_key_kernelINS1_19lookback_scan_stateINS0_5tupleIJibEEELb0ELb1EEENS1_16block_id_wrapperIjLb0EEEEEvT_jjPNS9_10value_typeET0_,comdat
.Lfunc_end9:
	.size	_ZN7rocprim17ROCPRIM_400000_NS6detail30init_device_scan_by_key_kernelINS1_19lookback_scan_stateINS0_5tupleIJibEEELb0ELb1EEENS1_16block_id_wrapperIjLb0EEEEEvT_jjPNS9_10value_typeET0_, .Lfunc_end9-_ZN7rocprim17ROCPRIM_400000_NS6detail30init_device_scan_by_key_kernelINS1_19lookback_scan_stateINS0_5tupleIJibEEELb0ELb1EEENS1_16block_id_wrapperIjLb0EEEEEvT_jjPNS9_10value_typeET0_
                                        ; -- End function
	.set _ZN7rocprim17ROCPRIM_400000_NS6detail30init_device_scan_by_key_kernelINS1_19lookback_scan_stateINS0_5tupleIJibEEELb0ELb1EEENS1_16block_id_wrapperIjLb0EEEEEvT_jjPNS9_10value_typeET0_.num_vgpr, 9
	.set _ZN7rocprim17ROCPRIM_400000_NS6detail30init_device_scan_by_key_kernelINS1_19lookback_scan_stateINS0_5tupleIJibEEELb0ELb1EEENS1_16block_id_wrapperIjLb0EEEEEvT_jjPNS9_10value_typeET0_.num_agpr, 0
	.set _ZN7rocprim17ROCPRIM_400000_NS6detail30init_device_scan_by_key_kernelINS1_19lookback_scan_stateINS0_5tupleIJibEEELb0ELb1EEENS1_16block_id_wrapperIjLb0EEEEEvT_jjPNS9_10value_typeET0_.numbered_sgpr, 11
	.set _ZN7rocprim17ROCPRIM_400000_NS6detail30init_device_scan_by_key_kernelINS1_19lookback_scan_stateINS0_5tupleIJibEEELb0ELb1EEENS1_16block_id_wrapperIjLb0EEEEEvT_jjPNS9_10value_typeET0_.num_named_barrier, 0
	.set _ZN7rocprim17ROCPRIM_400000_NS6detail30init_device_scan_by_key_kernelINS1_19lookback_scan_stateINS0_5tupleIJibEEELb0ELb1EEENS1_16block_id_wrapperIjLb0EEEEEvT_jjPNS9_10value_typeET0_.private_seg_size, 0
	.set _ZN7rocprim17ROCPRIM_400000_NS6detail30init_device_scan_by_key_kernelINS1_19lookback_scan_stateINS0_5tupleIJibEEELb0ELb1EEENS1_16block_id_wrapperIjLb0EEEEEvT_jjPNS9_10value_typeET0_.uses_vcc, 1
	.set _ZN7rocprim17ROCPRIM_400000_NS6detail30init_device_scan_by_key_kernelINS1_19lookback_scan_stateINS0_5tupleIJibEEELb0ELb1EEENS1_16block_id_wrapperIjLb0EEEEEvT_jjPNS9_10value_typeET0_.uses_flat_scratch, 0
	.set _ZN7rocprim17ROCPRIM_400000_NS6detail30init_device_scan_by_key_kernelINS1_19lookback_scan_stateINS0_5tupleIJibEEELb0ELb1EEENS1_16block_id_wrapperIjLb0EEEEEvT_jjPNS9_10value_typeET0_.has_dyn_sized_stack, 0
	.set _ZN7rocprim17ROCPRIM_400000_NS6detail30init_device_scan_by_key_kernelINS1_19lookback_scan_stateINS0_5tupleIJibEEELb0ELb1EEENS1_16block_id_wrapperIjLb0EEEEEvT_jjPNS9_10value_typeET0_.has_recursion, 0
	.set _ZN7rocprim17ROCPRIM_400000_NS6detail30init_device_scan_by_key_kernelINS1_19lookback_scan_stateINS0_5tupleIJibEEELb0ELb1EEENS1_16block_id_wrapperIjLb0EEEEEvT_jjPNS9_10value_typeET0_.has_indirect_call, 0
	.section	.AMDGPU.csdata,"",@progbits
; Kernel info:
; codeLenInByte = 384
; TotalNumSgprs: 13
; NumVgprs: 9
; ScratchSize: 0
; MemoryBound: 0
; FloatMode: 240
; IeeeMode: 1
; LDSByteSize: 0 bytes/workgroup (compile time only)
; SGPRBlocks: 0
; VGPRBlocks: 0
; NumSGPRsForWavesPerEU: 13
; NumVGPRsForWavesPerEU: 9
; NamedBarCnt: 0
; Occupancy: 16
; WaveLimiterHint : 0
; COMPUTE_PGM_RSRC2:SCRATCH_EN: 0
; COMPUTE_PGM_RSRC2:USER_SGPR: 2
; COMPUTE_PGM_RSRC2:TRAP_HANDLER: 0
; COMPUTE_PGM_RSRC2:TGID_X_EN: 1
; COMPUTE_PGM_RSRC2:TGID_Y_EN: 0
; COMPUTE_PGM_RSRC2:TGID_Z_EN: 0
; COMPUTE_PGM_RSRC2:TIDIG_COMP_CNT: 0
	.section	.text._ZN7rocprim17ROCPRIM_400000_NS6detail17trampoline_kernelINS0_14default_configENS1_27scan_by_key_config_selectorIiiEEZZNS1_16scan_by_key_implILNS1_25lookback_scan_determinismE0ELb0ES3_PKiN6hipcub16HIPCUB_304000_NS21ConstantInputIteratorIilEEPiiNSB_3SumENSB_8EqualityEiEE10hipError_tPvRmT2_T3_T4_T5_mT6_T7_P12ihipStream_tbENKUlT_T0_E_clISt17integral_constantIbLb0EESX_EEDaSS_ST_EUlSS_E_NS1_11comp_targetILNS1_3genE0ELNS1_11target_archE4294967295ELNS1_3gpuE0ELNS1_3repE0EEENS1_30default_config_static_selectorELNS0_4arch9wavefront6targetE0EEEvT1_,"axG",@progbits,_ZN7rocprim17ROCPRIM_400000_NS6detail17trampoline_kernelINS0_14default_configENS1_27scan_by_key_config_selectorIiiEEZZNS1_16scan_by_key_implILNS1_25lookback_scan_determinismE0ELb0ES3_PKiN6hipcub16HIPCUB_304000_NS21ConstantInputIteratorIilEEPiiNSB_3SumENSB_8EqualityEiEE10hipError_tPvRmT2_T3_T4_T5_mT6_T7_P12ihipStream_tbENKUlT_T0_E_clISt17integral_constantIbLb0EESX_EEDaSS_ST_EUlSS_E_NS1_11comp_targetILNS1_3genE0ELNS1_11target_archE4294967295ELNS1_3gpuE0ELNS1_3repE0EEENS1_30default_config_static_selectorELNS0_4arch9wavefront6targetE0EEEvT1_,comdat
	.protected	_ZN7rocprim17ROCPRIM_400000_NS6detail17trampoline_kernelINS0_14default_configENS1_27scan_by_key_config_selectorIiiEEZZNS1_16scan_by_key_implILNS1_25lookback_scan_determinismE0ELb0ES3_PKiN6hipcub16HIPCUB_304000_NS21ConstantInputIteratorIilEEPiiNSB_3SumENSB_8EqualityEiEE10hipError_tPvRmT2_T3_T4_T5_mT6_T7_P12ihipStream_tbENKUlT_T0_E_clISt17integral_constantIbLb0EESX_EEDaSS_ST_EUlSS_E_NS1_11comp_targetILNS1_3genE0ELNS1_11target_archE4294967295ELNS1_3gpuE0ELNS1_3repE0EEENS1_30default_config_static_selectorELNS0_4arch9wavefront6targetE0EEEvT1_ ; -- Begin function _ZN7rocprim17ROCPRIM_400000_NS6detail17trampoline_kernelINS0_14default_configENS1_27scan_by_key_config_selectorIiiEEZZNS1_16scan_by_key_implILNS1_25lookback_scan_determinismE0ELb0ES3_PKiN6hipcub16HIPCUB_304000_NS21ConstantInputIteratorIilEEPiiNSB_3SumENSB_8EqualityEiEE10hipError_tPvRmT2_T3_T4_T5_mT6_T7_P12ihipStream_tbENKUlT_T0_E_clISt17integral_constantIbLb0EESX_EEDaSS_ST_EUlSS_E_NS1_11comp_targetILNS1_3genE0ELNS1_11target_archE4294967295ELNS1_3gpuE0ELNS1_3repE0EEENS1_30default_config_static_selectorELNS0_4arch9wavefront6targetE0EEEvT1_
	.globl	_ZN7rocprim17ROCPRIM_400000_NS6detail17trampoline_kernelINS0_14default_configENS1_27scan_by_key_config_selectorIiiEEZZNS1_16scan_by_key_implILNS1_25lookback_scan_determinismE0ELb0ES3_PKiN6hipcub16HIPCUB_304000_NS21ConstantInputIteratorIilEEPiiNSB_3SumENSB_8EqualityEiEE10hipError_tPvRmT2_T3_T4_T5_mT6_T7_P12ihipStream_tbENKUlT_T0_E_clISt17integral_constantIbLb0EESX_EEDaSS_ST_EUlSS_E_NS1_11comp_targetILNS1_3genE0ELNS1_11target_archE4294967295ELNS1_3gpuE0ELNS1_3repE0EEENS1_30default_config_static_selectorELNS0_4arch9wavefront6targetE0EEEvT1_
	.p2align	8
	.type	_ZN7rocprim17ROCPRIM_400000_NS6detail17trampoline_kernelINS0_14default_configENS1_27scan_by_key_config_selectorIiiEEZZNS1_16scan_by_key_implILNS1_25lookback_scan_determinismE0ELb0ES3_PKiN6hipcub16HIPCUB_304000_NS21ConstantInputIteratorIilEEPiiNSB_3SumENSB_8EqualityEiEE10hipError_tPvRmT2_T3_T4_T5_mT6_T7_P12ihipStream_tbENKUlT_T0_E_clISt17integral_constantIbLb0EESX_EEDaSS_ST_EUlSS_E_NS1_11comp_targetILNS1_3genE0ELNS1_11target_archE4294967295ELNS1_3gpuE0ELNS1_3repE0EEENS1_30default_config_static_selectorELNS0_4arch9wavefront6targetE0EEEvT1_,@function
_ZN7rocprim17ROCPRIM_400000_NS6detail17trampoline_kernelINS0_14default_configENS1_27scan_by_key_config_selectorIiiEEZZNS1_16scan_by_key_implILNS1_25lookback_scan_determinismE0ELb0ES3_PKiN6hipcub16HIPCUB_304000_NS21ConstantInputIteratorIilEEPiiNSB_3SumENSB_8EqualityEiEE10hipError_tPvRmT2_T3_T4_T5_mT6_T7_P12ihipStream_tbENKUlT_T0_E_clISt17integral_constantIbLb0EESX_EEDaSS_ST_EUlSS_E_NS1_11comp_targetILNS1_3genE0ELNS1_11target_archE4294967295ELNS1_3gpuE0ELNS1_3repE0EEENS1_30default_config_static_selectorELNS0_4arch9wavefront6targetE0EEEvT1_: ; @_ZN7rocprim17ROCPRIM_400000_NS6detail17trampoline_kernelINS0_14default_configENS1_27scan_by_key_config_selectorIiiEEZZNS1_16scan_by_key_implILNS1_25lookback_scan_determinismE0ELb0ES3_PKiN6hipcub16HIPCUB_304000_NS21ConstantInputIteratorIilEEPiiNSB_3SumENSB_8EqualityEiEE10hipError_tPvRmT2_T3_T4_T5_mT6_T7_P12ihipStream_tbENKUlT_T0_E_clISt17integral_constantIbLb0EESX_EEDaSS_ST_EUlSS_E_NS1_11comp_targetILNS1_3genE0ELNS1_11target_archE4294967295ELNS1_3gpuE0ELNS1_3repE0EEENS1_30default_config_static_selectorELNS0_4arch9wavefront6targetE0EEEvT1_
; %bb.0:
	s_clause 0x4
	s_load_b128 s[4:7], s[0:1], 0x0
	s_load_b256 s[16:23], s[0:1], 0x50
	s_load_b96 s[28:30], s[0:1], 0x40
	s_load_b128 s[24:27], s[0:1], 0x30
	s_load_b32 s8, s[0:1], 0x10
	s_mov_b32 s3, 0
	s_barrier_signal -1
	s_barrier_wait -1
	s_wait_kmcnt 0x0
	s_lshl_b64 s[34:35], s[6:7], 2
	s_cmp_lg_u64 s[20:21], 0
	s_getreg_b32 s6, hwreg(HW_REG_IB_STS2, 6, 4)
	s_cselect_b32 s9, -1, 0
	s_bfe_u32 s2, ttmp6, 0x4000c
	s_and_b32 s7, ttmp6, 15
	s_add_co_i32 s2, s2, 1
	s_mov_b32 s21, s3
	s_mul_i32 s10, ttmp9, s2
	s_mov_b32 s2, s30
	s_add_co_i32 s10, s7, s10
	s_cmp_eq_u32 s6, 0
	s_mul_u64 s[6:7], s[28:29], s[2:3]
	s_cselect_b32 s20, ttmp9, s10
	s_add_nc_u64 s[10:11], s[16:17], -1
	s_add_nc_u64 s[6:7], s[6:7], s[20:21]
	s_mul_i32 s2, s20, 0xc00
	v_cmp_ge_u64_e64 s21, s[6:7], s[10:11]
	s_add_nc_u64 s[4:5], s[4:5], s[34:35]
	s_lshl_b64 s[16:17], s[2:3], 2
	s_mul_i32 s27, s10, 0xfffff400
	s_add_nc_u64 s[4:5], s[4:5], s[16:17]
	s_and_b32 vcc_lo, exec_lo, s21
	s_cbranch_vccz .LBB10_28
; %bb.1:
	s_load_b32 s2, s[4:5], 0x0
	s_add_co_i32 s12, s27, s26
	s_mov_b32 s3, exec_lo
	s_wait_kmcnt 0x0
	v_mov_b32_e32 v1, s2
	v_cmpx_gt_u32_e64 s12, v0
	s_cbranch_execz .LBB10_3
; %bb.2:
	global_load_b32 v1, v0, s[4:5] scale_offset
.LBB10_3:
	s_wait_xcnt 0x0
	s_or_b32 exec_lo, exec_lo, s3
	v_or_b32_e32 v2, 0x100, v0
	s_delay_alu instid0(VALU_DEP_1)
	v_cmp_gt_u32_e32 vcc_lo, s12, v2
	v_mov_b32_e32 v2, s2
	s_and_saveexec_b32 s3, vcc_lo
	s_cbranch_execz .LBB10_5
; %bb.4:
	global_load_b32 v2, v0, s[4:5] offset:1024 scale_offset
.LBB10_5:
	s_wait_xcnt 0x0
	s_or_b32 exec_lo, exec_lo, s3
	v_or_b32_e32 v3, 0x200, v0
	s_delay_alu instid0(VALU_DEP_1)
	v_cmp_gt_u32_e32 vcc_lo, s12, v3
	v_mov_b32_e32 v3, s2
	s_and_saveexec_b32 s3, vcc_lo
	s_cbranch_execz .LBB10_7
; %bb.6:
	global_load_b32 v3, v0, s[4:5] offset:2048 scale_offset
.LBB10_7:
	;; [unrolled: 11-line block ×3, first 2 shown]
	s_wait_xcnt 0x0
	s_or_b32 exec_lo, exec_lo, s3
	v_or_b32_e32 v5, 0x400, v0
	v_mov_b32_e32 v6, s2
	s_mov_b32 s3, exec_lo
	s_delay_alu instid0(VALU_DEP_2)
	v_cmpx_gt_u32_e64 s12, v5
	s_cbranch_execz .LBB10_11
; %bb.10:
	global_load_b32 v6, v0, s[4:5] offset:4096 scale_offset
.LBB10_11:
	s_wait_xcnt 0x0
	s_or_b32 exec_lo, exec_lo, s3
	v_or_b32_e32 v5, 0x500, v0
	v_mov_b32_e32 v7, s2
	s_mov_b32 s3, exec_lo
	s_delay_alu instid0(VALU_DEP_2)
	v_cmpx_gt_u32_e64 s12, v5
	s_cbranch_execz .LBB10_13
; %bb.12:
	global_load_b32 v7, v0, s[4:5] offset:5120 scale_offset
.LBB10_13:
	;; [unrolled: 11-line block ×8, first 2 shown]
	s_wait_xcnt 0x0
	s_or_b32 exec_lo, exec_lo, s2
	v_lshlrev_b32_e32 v5, 2, v0
	s_cmp_eq_u64 s[6:7], 0
	s_mov_b64 s[2:3], s[4:5]
	s_wait_loadcnt 0x0
	ds_store_2addr_stride64_b32 v5, v1, v2 offset1:4
	ds_store_2addr_stride64_b32 v5, v3, v4 offset0:8 offset1:12
	ds_store_2addr_stride64_b32 v5, v6, v7 offset0:16 offset1:20
	;; [unrolled: 1-line block ×5, first 2 shown]
	v_mad_u32_u24 v2, v0, 44, v5
	s_wait_dscnt 0x0
	s_barrier_signal -1
	s_barrier_wait -1
	ds_load_b128 v[14:17], v2
	ds_load_b128 v[10:13], v2 offset:16
	ds_load_b128 v[6:9], v2 offset:32
	s_cbranch_scc1 .LBB10_31
; %bb.26:
	s_and_not1_b32 vcc_lo, exec_lo, s9
	s_cbranch_vccnz .LBB10_29
; %bb.27:
	s_lshl_b64 s[2:3], s[6:7], 2
	s_mov_b32 s10, 0
	s_add_nc_u64 s[2:3], s[22:23], s[2:3]
	s_delay_alu instid0(SALU_CYCLE_1)
	s_add_nc_u64 s[2:3], s[2:3], -4
	s_branch .LBB10_30
.LBB10_28:
                                        ; implicit-def: $sgpr10
                                        ; implicit-def: $vgpr5
                                        ; implicit-def: $vgpr18_vgpr19
                                        ; implicit-def: $vgpr42_vgpr43
                                        ; implicit-def: $vgpr46_vgpr47
                                        ; implicit-def: $vgpr44_vgpr45
                                        ; implicit-def: $vgpr48_vgpr49
                                        ; implicit-def: $vgpr50_vgpr51
                                        ; implicit-def: $vgpr52_vgpr53
                                        ; implicit-def: $vgpr54_vgpr55
                                        ; implicit-def: $vgpr56_vgpr57
                                        ; implicit-def: $vgpr58_vgpr59
                                        ; implicit-def: $vgpr40_vgpr41
                                        ; implicit-def: $vgpr38_vgpr39
                                        ; implicit-def: $vgpr36_vgpr37
                                        ; implicit-def: $vgpr34_vgpr35
                                        ; implicit-def: $vgpr32_vgpr33
                                        ; implicit-def: $vgpr30_vgpr31
                                        ; implicit-def: $vgpr28_vgpr29
                                        ; implicit-def: $vgpr26_vgpr27
                                        ; implicit-def: $vgpr24_vgpr25
                                        ; implicit-def: $vgpr22_vgpr23
	v_lshlrev_b32_e32 v20, 2, v0
	s_cbranch_execnz .LBB10_56
	s_branch .LBB10_64
.LBB10_29:
	s_add_nc_u64 s[2:3], s[4:5], -4
	s_mov_b32 s10, -1
.LBB10_30:
	s_delay_alu instid0(SALU_CYCLE_1)
	s_and_not1_b32 vcc_lo, exec_lo, s10
.LBB10_31:
	s_load_b32 s2, s[2:3], 0x0
	v_mad_i32_i24 v1, 0xffffffd4, v0, v2
	s_wait_xcnt 0x0
	s_mov_b32 s3, 0
	s_wait_dscnt 0x0
	ds_store_b32 v1, v9 offset:12288
	s_wait_dscnt 0x0
	s_barrier_signal -1
	s_barrier_wait -1
	s_wait_kmcnt 0x0
	v_mov_b32_e32 v1, s2
	s_mov_b32 s2, exec_lo
	v_cmpx_ne_u32_e32 0, v0
; %bb.32:
	v_mul_i32_i24_e32 v1, 0xffffffd4, v0
	s_delay_alu instid0(VALU_DEP_1)
	v_add_nc_u32_e32 v1, v2, v1
	ds_load_b32 v1, v1 offset:12284
; %bb.33:
	s_or_b32 exec_lo, exec_lo, s2
	v_mov_b64_e32 v[18:19], 0
	v_mov_b64_e32 v[42:43], 0
	;; [unrolled: 1-line block ×20, first 2 shown]
	v_mul_u32_u24_e32 v3, 12, v0
	v_mov_b32_e32 v4, s8
	s_mov_b32 s11, exec_lo
	s_wait_dscnt 0x0
	s_barrier_signal -1
	s_barrier_wait -1
	ds_store_2addr_stride64_b32 v5, v4, v4 offset1:4
	ds_store_2addr_stride64_b32 v5, v4, v4 offset0:8 offset1:12
	ds_store_2addr_stride64_b32 v5, v4, v4 offset0:16 offset1:20
	;; [unrolled: 1-line block ×5, first 2 shown]
	s_wait_dscnt 0x0
	s_barrier_signal -1
	s_barrier_wait -1
                                        ; implicit-def: $sgpr10
                                        ; implicit-def: $vgpr5
	v_cmpx_gt_u32_e64 s12, v3
	s_cbranch_execz .LBB10_55
; %bb.34:
	ds_load_b32 v18, v2
	v_cmp_ne_u32_e32 vcc_lo, v1, v14
	v_mov_b64_e32 v[42:43], 0
	v_mov_b64_e32 v[46:47], 0
	;; [unrolled: 1-line block ×18, first 2 shown]
	v_or_b32_e32 v4, 1, v3
	v_cndmask_b32_e64 v19, 0, 1, vcc_lo
	s_mov_b32 s2, 0
	s_mov_b32 s3, exec_lo
                                        ; implicit-def: $sgpr10
                                        ; implicit-def: $vgpr5
	s_delay_alu instid0(VALU_DEP_2)
	v_cmpx_gt_u32_e64 s12, v4
	s_cbranch_execz .LBB10_54
; %bb.35:
	ds_load_2addr_b32 v[42:43], v2 offset0:1 offset1:2
	v_cmp_ne_u32_e32 vcc_lo, v14, v15
	v_mov_b64_e32 v[46:47], 0
	v_mov_b64_e32 v[44:45], 0
	;; [unrolled: 1-line block ×16, first 2 shown]
	v_or_b32_e32 v4, 2, v3
	v_cndmask_b32_e64 v1, 0, 1, vcc_lo
	s_mov_b32 s13, exec_lo
                                        ; implicit-def: $sgpr10
                                        ; implicit-def: $vgpr5
	s_delay_alu instid0(VALU_DEP_2)
	v_cmpx_gt_u32_e64 s12, v4
	s_cbranch_execz .LBB10_53
; %bb.36:
	v_cmp_ne_u32_e32 vcc_lo, v15, v16
	v_mov_b64_e32 v[44:45], 0
	v_mov_b64_e32 v[48:49], 0
	;; [unrolled: 1-line block ×14, first 2 shown]
	v_or_b32_e32 v4, 3, v3
	v_cndmask_b32_e64 v47, 0, 1, vcc_lo
	s_mov_b32 s14, exec_lo
                                        ; implicit-def: $sgpr10
                                        ; implicit-def: $vgpr5
	s_delay_alu instid0(VALU_DEP_2)
	v_cmpx_gt_u32_e64 s12, v4
	s_cbranch_execz .LBB10_52
; %bb.37:
	ds_load_2addr_b32 v[44:45], v2 offset0:3 offset1:4
	v_add_nc_u32_e32 v5, 4, v3
	v_cmp_ne_u32_e32 vcc_lo, v16, v17
	v_mov_b64_e32 v[48:49], 0
	v_mov_b64_e32 v[50:51], 0
	;; [unrolled: 1-line block ×12, first 2 shown]
	v_cndmask_b32_e64 v4, 0, 1, vcc_lo
	v_cmp_gt_u32_e32 vcc_lo, s12, v5
                                        ; implicit-def: $sgpr10
                                        ; implicit-def: $vgpr5
	s_and_saveexec_b32 s15, vcc_lo
	s_cbranch_execz .LBB10_51
; %bb.38:
	v_add_nc_u32_e32 v5, 5, v3
	v_cmp_ne_u32_e32 vcc_lo, v17, v10
	v_mov_b64_e32 v[50:51], 0
	v_mov_b64_e32 v[52:53], 0
	;; [unrolled: 1-line block ×10, first 2 shown]
	v_cndmask_b32_e64 v49, 0, 1, vcc_lo
	v_cmp_gt_u32_e32 vcc_lo, s12, v5
                                        ; implicit-def: $sgpr10
                                        ; implicit-def: $vgpr5
	s_and_saveexec_b32 s30, vcc_lo
	s_cbranch_execz .LBB10_50
; %bb.39:
	ds_load_2addr_b32 v[50:51], v2 offset0:5 offset1:6
	v_add_nc_u32_e32 v5, 6, v3
	v_cmp_ne_u32_e32 vcc_lo, v10, v11
	v_mov_b64_e32 v[52:53], 0
	v_mov_b64_e32 v[54:55], 0
	;; [unrolled: 1-line block ×8, first 2 shown]
	v_cndmask_b32_e64 v10, 0, 1, vcc_lo
	v_cmp_gt_u32_e32 vcc_lo, s12, v5
                                        ; implicit-def: $sgpr10
                                        ; implicit-def: $vgpr5
	s_and_saveexec_b32 s31, vcc_lo
	s_cbranch_execz .LBB10_49
; %bb.40:
	v_add_nc_u32_e32 v5, 7, v3
	v_cmp_ne_u32_e32 vcc_lo, v11, v12
	v_mov_b64_e32 v[54:55], 0
	v_mov_b64_e32 v[56:57], 0
	;; [unrolled: 1-line block ×6, first 2 shown]
	v_cndmask_b32_e64 v53, 0, 1, vcc_lo
	v_cmp_gt_u32_e32 vcc_lo, s12, v5
                                        ; implicit-def: $sgpr10
                                        ; implicit-def: $vgpr5
	s_and_saveexec_b32 s33, vcc_lo
	s_cbranch_execz .LBB10_48
; %bb.41:
	ds_load_2addr_b32 v[54:55], v2 offset0:7 offset1:8
	v_add_nc_u32_e32 v5, 8, v3
	v_cmp_ne_u32_e32 vcc_lo, v12, v13
	v_mov_b64_e32 v[56:57], 0
	v_mov_b64_e32 v[58:59], 0
	;; [unrolled: 1-line block ×4, first 2 shown]
	v_cndmask_b32_e64 v11, 0, 1, vcc_lo
	v_cmp_gt_u32_e32 vcc_lo, s12, v5
                                        ; implicit-def: $sgpr10
                                        ; implicit-def: $vgpr5
	s_and_saveexec_b32 s36, vcc_lo
	s_cbranch_execz .LBB10_47
; %bb.42:
	v_add_nc_u32_e32 v5, 9, v3
	v_cmp_ne_u32_e32 vcc_lo, v13, v6
	v_mov_b64_e32 v[58:59], 0
	v_mov_b64_e32 v[22:23], 0
                                        ; implicit-def: $sgpr10
	v_cndmask_b32_e64 v57, 0, 1, vcc_lo
	v_cmp_gt_u32_e32 vcc_lo, s12, v5
                                        ; implicit-def: $vgpr5
	s_and_saveexec_b32 s37, vcc_lo
	s_cbranch_execz .LBB10_46
; %bb.43:
	ds_load_2addr_b32 v[58:59], v2 offset0:9 offset1:10
	v_add_nc_u32_e32 v5, 10, v3
	v_cmp_ne_u32_e32 vcc_lo, v6, v7
	v_mov_b64_e32 v[22:23], 0
                                        ; implicit-def: $sgpr10
	v_cndmask_b32_e64 v6, 0, 1, vcc_lo
	s_delay_alu instid0(VALU_DEP_4) | instskip(SKIP_1) | instid1(SALU_CYCLE_1)
	v_cmp_gt_u32_e32 vcc_lo, s12, v5
                                        ; implicit-def: $vgpr5
	s_and_saveexec_b32 s38, vcc_lo
	s_xor_b32 s38, exec_lo, s38
	s_cbranch_execz .LBB10_45
; %bb.44:
	ds_load_b32 v5, v2 offset:44
	s_wait_dscnt 0x1
	v_dual_add_nc_u32 v2, 11, v3 :: v_dual_mov_b32 v22, v59
	v_cmp_ne_u32_e64 s2, v7, v8
	v_cmp_ne_u32_e64 s10, v8, v9
	s_delay_alu instid0(VALU_DEP_3) | instskip(NEXT) | instid1(VALU_DEP_3)
	v_cmp_gt_u32_e32 vcc_lo, s12, v2
	v_cndmask_b32_e64 v23, 0, 1, s2
	s_and_b32 s2, vcc_lo, exec_lo
.LBB10_45:
	s_or_b32 exec_lo, exec_lo, s38
	s_wait_dscnt 0x0
	v_mov_b32_e32 v59, v6
	s_and_b32 s2, s2, exec_lo
.LBB10_46:
	s_or_b32 exec_lo, exec_lo, s37
	s_delay_alu instid0(VALU_DEP_1)
	v_mov_b64_e32 v[24:25], v[58:59]
	s_wait_dscnt 0x0
	v_mov_b32_e32 v56, v55
	s_and_b32 s2, s2, exec_lo
.LBB10_47:
	s_or_b32 exec_lo, exec_lo, s36
	s_delay_alu instid0(VALU_DEP_1)
	v_mov_b64_e32 v[26:27], v[56:57]
	s_wait_dscnt 0x0
	v_mov_b32_e32 v55, v11
	s_and_b32 s2, s2, exec_lo
.LBB10_48:
	s_or_b32 exec_lo, exec_lo, s33
	s_delay_alu instid0(VALU_DEP_1)
	v_mov_b64_e32 v[28:29], v[54:55]
	s_wait_dscnt 0x0
	v_mov_b32_e32 v52, v51
	s_and_b32 s2, s2, exec_lo
.LBB10_49:
	s_or_b32 exec_lo, exec_lo, s31
	s_delay_alu instid0(VALU_DEP_1)
	v_mov_b64_e32 v[30:31], v[52:53]
	s_wait_dscnt 0x0
	v_mov_b32_e32 v51, v10
	s_and_b32 s2, s2, exec_lo
.LBB10_50:
	s_or_b32 exec_lo, exec_lo, s30
	s_delay_alu instid0(VALU_DEP_1)
	v_mov_b64_e32 v[32:33], v[50:51]
	s_wait_dscnt 0x0
	v_mov_b32_e32 v48, v45
	s_and_b32 s2, s2, exec_lo
.LBB10_51:
	s_or_b32 exec_lo, exec_lo, s15
	s_delay_alu instid0(VALU_DEP_1)
	v_mov_b64_e32 v[34:35], v[48:49]
	s_wait_dscnt 0x0
	v_mov_b32_e32 v45, v4
	s_and_b32 s2, s2, exec_lo
.LBB10_52:
	s_or_b32 exec_lo, exec_lo, s14
	s_delay_alu instid0(VALU_DEP_1)
	v_mov_b64_e32 v[36:37], v[44:45]
	s_wait_dscnt 0x0
	v_mov_b32_e32 v46, v43
	s_and_b32 s2, s2, exec_lo
.LBB10_53:
	s_or_b32 exec_lo, exec_lo, s13
	s_delay_alu instid0(VALU_DEP_1)
	v_mov_b64_e32 v[38:39], v[46:47]
	s_wait_dscnt 0x0
	v_mov_b32_e32 v43, v1
	s_and_b32 s2, s2, exec_lo
.LBB10_54:
	s_or_b32 exec_lo, exec_lo, s3
	s_delay_alu instid0(VALU_DEP_1)
	v_mov_b64_e32 v[40:41], v[42:43]
	s_and_b32 s3, s2, exec_lo
.LBB10_55:
	s_or_b32 exec_lo, exec_lo, s11
	v_lshlrev_b32_e32 v20, 2, v0
	s_branch .LBB10_64
.LBB10_56:
	s_clause 0xb
	global_load_b32 v2, v0, s[4:5] scale_offset
	global_load_b32 v3, v0, s[4:5] offset:1024 scale_offset
	global_load_b32 v4, v0, s[4:5] offset:2048 scale_offset
	;; [unrolled: 1-line block ×11, first 2 shown]
	v_mad_u32_u24 v1, v0, 44, v20
	s_cmp_eq_u64 s[6:7], 0
	s_wait_loadcnt 0xa
	ds_store_2addr_stride64_b32 v20, v2, v3 offset1:4
	s_wait_loadcnt 0x8
	ds_store_2addr_stride64_b32 v20, v4, v5 offset0:8 offset1:12
	s_wait_loadcnt 0x6
	ds_store_2addr_stride64_b32 v20, v6, v7 offset0:16 offset1:20
	s_wait_loadcnt 0x4
	ds_store_2addr_stride64_b32 v20, v8, v9 offset0:24 offset1:28
	s_wait_loadcnt 0x2
	ds_store_2addr_stride64_b32 v20, v10, v11 offset0:32 offset1:36
	s_wait_loadcnt 0x0
	ds_store_2addr_stride64_b32 v20, v12, v13 offset0:40 offset1:44
	s_wait_dscnt 0x0
	s_barrier_signal -1
	s_barrier_wait -1
	ds_load_b128 v[14:17], v1
	ds_load_b128 v[10:13], v1 offset:16
	ds_load_b128 v[6:9], v1 offset:32
	s_cbranch_scc1 .LBB10_61
; %bb.57:
	s_and_not1_b32 vcc_lo, exec_lo, s9
	s_cbranch_vccnz .LBB10_59
; %bb.58:
	s_lshl_b64 s[2:3], s[6:7], 2
	s_delay_alu instid0(SALU_CYCLE_1) | instskip(NEXT) | instid1(SALU_CYCLE_1)
	s_add_nc_u64 s[2:3], s[22:23], s[2:3]
	s_add_nc_u64 s[4:5], s[2:3], -4
	s_mov_b32 s2, 0
	s_branch .LBB10_60
.LBB10_59:
	s_add_nc_u64 s[4:5], s[4:5], -4
	s_mov_b32 s2, -1
.LBB10_60:
	s_delay_alu instid0(SALU_CYCLE_1)
	s_and_not1_b32 vcc_lo, exec_lo, s2
.LBB10_61:
	s_load_b32 s2, s[4:5], 0x0
	v_mad_i32_i24 v2, 0xffffffd4, v0, v1
	s_wait_dscnt 0x0
	ds_store_b32 v2, v9 offset:12288
	s_wait_dscnt 0x0
	s_barrier_signal -1
	s_barrier_wait -1
	s_wait_kmcnt 0x0
	v_mov_b32_e32 v2, s2
	s_mov_b32 s2, exec_lo
	v_cmpx_ne_u32_e32 0, v0
; %bb.62:
	v_mul_i32_i24_e32 v2, 0xffffffd4, v0
	s_delay_alu instid0(VALU_DEP_1)
	v_add_nc_u32_e32 v2, v1, v2
	ds_load_b32 v2, v2 offset:12284
; %bb.63:
	s_or_b32 exec_lo, exec_lo, s2
	s_wait_dscnt 0x0
	v_cmp_ne_u32_e32 vcc_lo, v2, v14
	v_mov_b32_e32 v3, s8
	s_barrier_signal -1
	s_barrier_wait -1
	v_cndmask_b32_e64 v19, 0, 1, vcc_lo
	v_cmp_ne_u32_e32 vcc_lo, v14, v15
	ds_store_2addr_stride64_b32 v20, v3, v3 offset1:4
	ds_store_2addr_stride64_b32 v20, v3, v3 offset0:8 offset1:12
	ds_store_2addr_stride64_b32 v20, v3, v3 offset0:16 offset1:20
	;; [unrolled: 1-line block ×5, first 2 shown]
	s_wait_dscnt 0x0
	s_barrier_signal -1
	v_cndmask_b32_e64 v43, 0, 1, vcc_lo
	v_cmp_ne_u32_e32 vcc_lo, v15, v16
	s_barrier_wait -1
	ds_load_b128 v[22:25], v1
	ds_load_b128 v[26:29], v1 offset:16
	ds_load_b128 v[2:5], v1 offset:32
	v_cndmask_b32_e64 v47, 0, 1, vcc_lo
	v_cmp_ne_u32_e32 vcc_lo, v16, v17
	v_cmp_ne_u32_e64 s10, v8, v9
	s_mov_b32 s3, -1
	v_cndmask_b32_e64 v45, 0, 1, vcc_lo
	v_cmp_ne_u32_e32 vcc_lo, v17, v10
	v_cndmask_b32_e64 v49, 0, 1, vcc_lo
	v_cmp_ne_u32_e32 vcc_lo, v10, v11
	s_wait_dscnt 0x2
	v_dual_mov_b32 v42, v23 :: v_dual_mov_b32 v46, v24
	v_cndmask_b32_e64 v51, 0, 1, vcc_lo
	v_cmp_ne_u32_e32 vcc_lo, v11, v12
	s_wait_dscnt 0x1
	v_dual_mov_b32 v44, v25 :: v_dual_mov_b32 v48, v26
	v_dual_mov_b32 v50, v27 :: v_dual_mov_b32 v52, v28
	v_cndmask_b32_e64 v53, 0, 1, vcc_lo
	v_cmp_ne_u32_e32 vcc_lo, v12, v13
	s_wait_dscnt 0x0
	v_dual_mov_b32 v54, v29 :: v_dual_mov_b32 v56, v2
	v_dual_mov_b32 v58, v3 :: v_dual_mov_b32 v18, v22
	v_cndmask_b32_e64 v55, 0, 1, vcc_lo
	v_cmp_ne_u32_e32 vcc_lo, v13, v6
	v_mov_b32_e32 v22, v4
	v_mov_b64_e32 v[40:41], v[42:43]
	v_mov_b64_e32 v[38:39], v[46:47]
	;; [unrolled: 1-line block ×3, first 2 shown]
	v_cndmask_b32_e64 v57, 0, 1, vcc_lo
	v_cmp_ne_u32_e32 vcc_lo, v6, v7
	v_mov_b64_e32 v[34:35], v[48:49]
	v_mov_b64_e32 v[32:33], v[50:51]
	;; [unrolled: 1-line block ×4, first 2 shown]
	v_cndmask_b32_e64 v59, 0, 1, vcc_lo
	v_cmp_ne_u32_e32 vcc_lo, v7, v8
	v_mov_b64_e32 v[26:27], v[56:57]
	s_delay_alu instid0(VALU_DEP_3)
	v_mov_b64_e32 v[24:25], v[58:59]
	v_cndmask_b32_e64 v23, 0, 1, vcc_lo
.LBB10_64:
	v_mov_b64_e32 v[16:17], 0
	s_and_saveexec_b32 s2, s3
	s_cbranch_execz .LBB10_66
; %bb.65:
	v_mov_b64_e32 v[24:25], v[58:59]
	v_mov_b64_e32 v[26:27], v[56:57]
	;; [unrolled: 1-line block ×9, first 2 shown]
	v_cndmask_b32_e64 v17, 0, 1, s10
	v_mov_b32_e32 v16, v5
.LBB10_66:
	s_or_b32 exec_lo, exec_lo, s2
	v_dual_lshrrev_b32 v1, 2, v0 :: v_dual_bitop2_b32 v42, v29, v27 bitop3:0x54
	v_or_b32_e32 v21, v25, v23
	s_cmp_lg_u32 s20, 0
	s_wait_dscnt 0x0
	v_cmp_gt_u32_e32 vcc_lo, 32, v0
	s_barrier_signal -1
	s_barrier_wait -1
	s_cbranch_scc0 .LBB10_94
; %bb.67:
	s_mov_b64 s[12:13], 0x100000000
	v_or3_b32 v3, v42, v31, v33
	v_cmp_gt_u64_e64 s2, s[12:13], v[40:41]
	v_cmp_gt_u64_e64 s3, s[12:13], v[38:39]
	;; [unrolled: 1-line block ×7, first 2 shown]
	v_dual_cndmask_b32 v2, 0, v18, s2 :: v_dual_bitop2_b32 v5, 56, v1 bitop3:0x40
	v_cmp_gt_u64_e64 s9, s[12:13], v[26:27]
	v_cmp_gt_u64_e64 s10, s[12:13], v[24:25]
	;; [unrolled: 1-line block ×3, first 2 shown]
	s_delay_alu instid0(VALU_DEP_4) | instskip(SKIP_3) | instid1(VALU_DEP_4)
	v_add_nc_u32_e32 v2, v2, v40
	v_cmp_gt_u64_e64 s12, s[12:13], v[16:17]
	v_or3_b32 v3, v3, v35, v37
	v_lshl_add_u32 v5, v0, 3, v5
	v_cndmask_b32_e64 v2, 0, v2, s3
	s_delay_alu instid0(VALU_DEP_3) | instskip(NEXT) | instid1(VALU_DEP_2)
	v_or3_b32 v3, v3, v39, v41
	v_add_nc_u32_e32 v2, v2, v38
	s_delay_alu instid0(VALU_DEP_2) | instskip(NEXT) | instid1(VALU_DEP_2)
	v_or3_b32 v3, v17, v21, v3
	v_cndmask_b32_e64 v2, 0, v2, s4
	s_delay_alu instid0(VALU_DEP_2) | instskip(NEXT) | instid1(VALU_DEP_2)
	v_and_b32_e32 v3, 0xff, v3
	v_add_nc_u32_e32 v2, v2, v36
	s_delay_alu instid0(VALU_DEP_1) | instskip(NEXT) | instid1(VALU_DEP_1)
	v_cndmask_b32_e64 v2, 0, v2, s5
	v_add_nc_u32_e32 v2, v2, v34
	s_delay_alu instid0(VALU_DEP_1) | instskip(NEXT) | instid1(VALU_DEP_1)
	v_cndmask_b32_e64 v2, 0, v2, s6
	;; [unrolled: 3-line block ×7, first 2 shown]
	v_dual_add_nc_u32 v4, v2, v22 :: v_dual_mov_b32 v2, 0
	s_delay_alu instid0(VALU_DEP_1) | instskip(NEXT) | instid1(VALU_DEP_2)
	v_cndmask_b32_e64 v4, 0, v4, s12
	v_cmp_eq_u64_e64 s13, 0, v[2:3]
	s_delay_alu instid0(VALU_DEP_1)
	v_dual_add_nc_u32 v12, v4, v16 :: v_dual_cndmask_b32 v13, 1, v19, s13
	ds_store_b32 v5, v12
	ds_store_b8 v5, v13 offset:4
	s_wait_dscnt 0x0
	s_barrier_signal -1
	s_barrier_wait -1
	s_and_saveexec_b32 s14, vcc_lo
	s_cbranch_execz .LBB10_77
; %bb.68:
	v_dual_lshlrev_b32 v2, 1, v0 :: v_dual_lshlrev_b32 v3, 6, v0
	s_mov_b32 s15, exec_lo
	s_delay_alu instid0(VALU_DEP_1) | instskip(NEXT) | instid1(VALU_DEP_1)
	v_and_b32_e32 v2, 0x1f8, v2
	v_add_nc_u32_e32 v4, v2, v3
	ds_load_u8 v5, v4 offset:12
	ds_load_b64 v[2:3], v4
	ds_load_2addr_b32 v[6:7], v4 offset0:2 offset1:4
	ds_load_u8 v10, v4 offset:20
	ds_load_u8 v11, v4 offset:28
	ds_load_u8 v14, v4 offset:36
	ds_load_u8 v15, v4 offset:44
	ds_load_u8 v43, v4 offset:52
	ds_load_b32 v44, v4 offset:56
	s_wait_dscnt 0x8
	v_cmp_eq_u16_e64 s13, 0, v5
	s_wait_dscnt 0x5
	s_delay_alu instid0(VALU_DEP_1)
	v_dual_cndmask_b32 v45, 0, v2, s13 :: v_dual_bitop2_b32 v5, v10, v5 bitop3:0x54
	ds_load_2addr_b32 v[8:9], v4 offset0:6 offset1:8
	v_cmp_eq_u16_e64 s13, 0, v10
	s_wait_dscnt 0x4
	v_bitop3_b16 v5, v5, v14, v11 bitop3:0xfe
	v_add_nc_u32_e32 v6, v45, v6
	s_delay_alu instid0(VALU_DEP_1) | instskip(SKIP_1) | instid1(VALU_DEP_2)
	v_cndmask_b32_e64 v6, 0, v6, s13
	v_cmp_eq_u16_e64 s13, 0, v11
	v_add_nc_u32_e32 v6, v6, v7
	s_delay_alu instid0(VALU_DEP_1)
	v_cndmask_b32_e64 v45, 0, v6, s13
	ds_load_2addr_b32 v[6:7], v4 offset0:10 offset1:12
	v_cmp_eq_u16_e64 s13, 0, v14
	s_wait_dscnt 0x1
	v_add_nc_u32_e32 v8, v45, v8
	ds_load_u8 v45, v4 offset:60
	v_cndmask_b32_e64 v8, 0, v8, s13
	v_cmp_eq_u16_e64 s13, 0, v15
	s_delay_alu instid0(VALU_DEP_2) | instskip(SKIP_1) | instid1(VALU_DEP_2)
	v_add_nc_u32_e32 v8, v8, v9
	v_bitop3_b16 v9, v5, v43, v15 bitop3:0xfe
	v_dual_cndmask_b32 v8, 0, v8, s13 :: v_dual_bitop2_b32 v5, 1, v3 bitop3:0x40
	s_delay_alu instid0(VALU_DEP_2) | instskip(SKIP_1) | instid1(VALU_DEP_2)
	v_cmp_eq_u16_e64 s13, 0, v9
	s_wait_dscnt 0x0
	v_dual_add_nc_u32 v6, v8, v6 :: v_dual_bitop2_b32 v8, 1, v45 bitop3:0x40
	s_delay_alu instid0(VALU_DEP_2) | instskip(SKIP_1) | instid1(VALU_DEP_1)
	v_cndmask_b32_e64 v9, 1, v5, s13
	v_cmp_eq_u16_e64 s13, 0, v43
	v_cndmask_b32_e64 v6, 0, v6, s13
	s_delay_alu instid0(VALU_DEP_4) | instskip(SKIP_1) | instid1(VALU_DEP_2)
	v_cmp_eq_u32_e64 s13, 1, v8
	v_mbcnt_lo_u32_b32 v8, -1, 0
	v_cndmask_b32_e64 v9, v9, 1, s13
	v_cmp_eq_u16_e64 s13, 0, v45
	s_delay_alu instid0(VALU_DEP_2) | instskip(SKIP_2) | instid1(VALU_DEP_1)
	v_and_b32_e32 v10, 0xffff, v9
	v_add_nc_u32_e32 v7, v6, v7
	v_and_b32_e32 v6, 0xffffff00, v3
	v_dual_cndmask_b32 v7, 0, v7, s13 :: v_dual_bitop2_b32 v11, v6, v10 bitop3:0x54
	v_and_b32_e32 v10, 15, v8
	s_delay_alu instid0(VALU_DEP_2) | instskip(NEXT) | instid1(VALU_DEP_3)
	v_mov_b32_dpp v15, v11 row_shr:1 row_mask:0xf bank_mask:0xf
	v_add_nc_u32_e32 v7, v7, v44
	s_delay_alu instid0(VALU_DEP_1) | instskip(NEXT) | instid1(VALU_DEP_4)
	v_mov_b32_dpp v14, v7 row_shr:1 row_mask:0xf bank_mask:0xf
	v_cmpx_ne_u32_e32 0, v10
	s_cbranch_execz .LBB10_70
; %bb.69:
	v_and_b32_e32 v11, 1, v9
	v_and_b32_e32 v15, 1, v15
	s_delay_alu instid0(VALU_DEP_2) | instskip(NEXT) | instid1(VALU_DEP_1)
	v_cmp_eq_u32_e64 s13, 1, v11
	v_cndmask_b32_e64 v15, v15, 1, s13
	v_cmp_eq_u16_e64 s13, 0, v9
	s_delay_alu instid0(VALU_DEP_2) | instskip(NEXT) | instid1(VALU_DEP_1)
	v_and_b32_e32 v11, 0xffff, v15
	v_dual_cndmask_b32 v9, 0, v14, s13 :: v_dual_bitop2_b32 v11, v6, v11 bitop3:0x54
	s_delay_alu instid0(VALU_DEP_1)
	v_dual_add_nc_u32 v7, v9, v7 :: v_dual_mov_b32 v9, v15
.LBB10_70:
	s_or_b32 exec_lo, exec_lo, s15
	s_delay_alu instid0(VALU_DEP_1) | instskip(NEXT) | instid1(VALU_DEP_3)
	v_mov_b32_dpp v14, v7 row_shr:2 row_mask:0xf bank_mask:0xf
	v_mov_b32_dpp v15, v11 row_shr:2 row_mask:0xf bank_mask:0xf
	s_mov_b32 s15, exec_lo
	v_cmpx_lt_u32_e32 1, v10
	s_cbranch_execz .LBB10_72
; %bb.71:
	v_and_b32_e32 v11, 1, v9
	v_and_b32_e32 v15, 1, v15
	s_delay_alu instid0(VALU_DEP_2) | instskip(NEXT) | instid1(VALU_DEP_1)
	v_cmp_eq_u32_e64 s13, 1, v11
	v_cndmask_b32_e64 v15, v15, 1, s13
	v_cmp_eq_u16_e64 s13, 0, v9
	s_delay_alu instid0(VALU_DEP_2) | instskip(NEXT) | instid1(VALU_DEP_1)
	v_and_b32_e32 v11, 0xffff, v15
	v_dual_cndmask_b32 v9, 0, v14, s13 :: v_dual_bitop2_b32 v11, v6, v11 bitop3:0x54
	s_delay_alu instid0(VALU_DEP_1)
	v_dual_add_nc_u32 v7, v9, v7 :: v_dual_mov_b32 v9, v15
.LBB10_72:
	s_or_b32 exec_lo, exec_lo, s15
	s_delay_alu instid0(VALU_DEP_1) | instskip(NEXT) | instid1(VALU_DEP_3)
	v_mov_b32_dpp v14, v7 row_shr:4 row_mask:0xf bank_mask:0xf
	v_mov_b32_dpp v15, v11 row_shr:4 row_mask:0xf bank_mask:0xf
	s_mov_b32 s15, exec_lo
	v_cmpx_lt_u32_e32 3, v10
	;; [unrolled: 20-line block ×3, first 2 shown]
	s_cbranch_execz .LBB10_76
; %bb.75:
	v_and_b32_e32 v10, 1, v9
	v_and_b32_e32 v11, 1, v15
	s_delay_alu instid0(VALU_DEP_2) | instskip(NEXT) | instid1(VALU_DEP_1)
	v_cmp_eq_u32_e64 s13, 1, v10
	v_cndmask_b32_e64 v10, v11, 1, s13
	v_cmp_eq_u16_e64 s13, 0, v9
	s_delay_alu instid0(VALU_DEP_2) | instskip(NEXT) | instid1(VALU_DEP_1)
	v_and_b32_e32 v11, 0xffff, v10
	v_dual_cndmask_b32 v9, 0, v14, s13 :: v_dual_bitop2_b32 v11, v6, v11 bitop3:0x54
	s_delay_alu instid0(VALU_DEP_1)
	v_dual_add_nc_u32 v7, v9, v7 :: v_dual_mov_b32 v9, v10
.LBB10_76:
	s_or_b32 exec_lo, exec_lo, s15
	ds_swizzle_b32 v10, v11 offset:swizzle(BROADCAST,32,15)
	ds_swizzle_b32 v11, v7 offset:swizzle(BROADCAST,32,15)
	v_and_b32_e32 v14, 1, v9
	v_bfe_i32 v43, v8, 4, 1
	v_and_b32_e32 v3, 0xff, v3
	; wave barrier
	s_delay_alu instid0(VALU_DEP_3) | instskip(SKIP_2) | instid1(VALU_DEP_1)
	v_cmp_eq_u32_e64 s13, 1, v14
	s_wait_dscnt 0x1
	v_dual_add_nc_u32 v14, -1, v8 :: v_dual_bitop2_b32 v10, 1, v10 bitop3:0x40
	v_cndmask_b32_e64 v10, v10, 1, s13
	v_and_b32_e32 v15, 16, v8
	v_cmp_eq_u16_e64 s13, 0, v9
	s_wait_dscnt 0x0
	s_delay_alu instid0(VALU_DEP_1) | instskip(NEXT) | instid1(VALU_DEP_3)
	v_cndmask_b32_e64 v11, 0, v11, s13
	v_cmp_eq_u32_e64 s13, 0, v15
	s_delay_alu instid0(VALU_DEP_1) | instskip(SKIP_1) | instid1(VALU_DEP_4)
	v_cndmask_b32_e64 v9, v10, v9, s13
	v_cmp_gt_i32_e64 s13, 0, v14
	v_and_b32_e32 v10, v43, v11
	s_delay_alu instid0(VALU_DEP_3) | instskip(NEXT) | instid1(VALU_DEP_3)
	v_and_b32_e32 v9, 0xffff, v9
	v_cndmask_b32_e64 v8, v14, v8, s13
	s_delay_alu instid0(VALU_DEP_3) | instskip(SKIP_1) | instid1(VALU_DEP_3)
	v_add_nc_u32_e32 v7, v10, v7
	v_cmp_eq_u16_e64 s13, 0, v3
	v_lshlrev_b32_e32 v8, 2, v8
	ds_bpermute_b32 v7, v8, v7
	s_wait_dscnt 0x0
	v_dual_cndmask_b32 v3, 0, v7, s13 :: v_dual_bitop2_b32 v6, v6, v9 bitop3:0x54
	ds_bpermute_b32 v6, v8, v6
	v_cmp_eq_u32_e64 s13, 1, v5
	v_add_nc_u32_e32 v2, v3, v2
	s_wait_dscnt 0x0
	v_and_b32_e32 v6, 1, v6
	s_delay_alu instid0(VALU_DEP_1) | instskip(SKIP_1) | instid1(VALU_DEP_1)
	v_cndmask_b32_e64 v3, v6, 1, s13
	v_cmp_eq_u32_e64 s13, 0, v0
	v_dual_cndmask_b32 v8, v3, v13, s13 :: v_dual_cndmask_b32 v5, v2, v12, s13
	ds_store_b32 v4, v5
	ds_store_b8 v4, v8 offset:4
	; wave barrier
	ds_load_u8 v9, v4 offset:12
	ds_load_2addr_b32 v[2:3], v4 offset0:2 offset1:4
	ds_load_u8 v10, v4 offset:20
	ds_load_u8 v11, v4 offset:28
	;; [unrolled: 1-line block ×5, first 2 shown]
	ds_load_b32 v44, v4 offset:56
	ds_load_u8 v45, v4 offset:60
	ds_load_2addr_b32 v[6:7], v4 offset0:6 offset1:8
	s_wait_dscnt 0x9
	v_cmp_eq_u16_e64 s13, 0, v9
	v_and_b32_e32 v9, 1, v9
	s_delay_alu instid0(VALU_DEP_2) | instskip(SKIP_2) | instid1(VALU_DEP_2)
	v_cndmask_b32_e64 v5, 0, v5, s13
	s_wait_dscnt 0x7
	v_cmp_eq_u16_e64 s13, 0, v10
	v_add_nc_u32_e32 v5, v5, v2
	s_delay_alu instid0(VALU_DEP_1) | instskip(SKIP_2) | instid1(VALU_DEP_2)
	v_cndmask_b32_e64 v2, 0, v5, s13
	s_wait_dscnt 0x6
	v_cmp_eq_u16_e64 s13, 0, v11
	v_add_nc_u32_e32 v46, v2, v3
	ds_load_2addr_b32 v[2:3], v4 offset0:10 offset1:12
	v_cndmask_b32_e64 v47, 0, v46, s13
	s_wait_dscnt 0x6
	v_cmp_eq_u16_e64 s13, 0, v14
	ds_store_2addr_b32 v4, v5, v46 offset0:2 offset1:4
	s_wait_dscnt 0x2
	v_add_nc_u32_e32 v6, v47, v6
	s_delay_alu instid0(VALU_DEP_1) | instskip(SKIP_3) | instid1(VALU_DEP_4)
	v_cndmask_b32_e64 v47, 0, v6, s13
	v_and_b32_e32 v10, 1, v10
	v_cmp_eq_u32_e64 s13, 1, v9
	v_and_b32_e32 v9, 1, v11
	v_dual_add_nc_u32 v7, v47, v7 :: v_dual_bitop2_b32 v11, 1, v14 bitop3:0x40
	s_delay_alu instid0(VALU_DEP_3) | instskip(SKIP_1) | instid1(VALU_DEP_1)
	v_cndmask_b32_e64 v8, v8, 1, s13
	v_cmp_eq_u32_e64 s13, 1, v10
	v_cndmask_b32_e64 v10, v8, 1, s13
	v_cmp_eq_u16_e64 s13, 0, v15
	s_delay_alu instid0(VALU_DEP_1) | instskip(SKIP_2) | instid1(VALU_DEP_2)
	v_cndmask_b32_e64 v14, 0, v7, s13
	v_cmp_eq_u32_e64 s13, 1, v9
	s_wait_dscnt 0x1
	v_dual_add_nc_u32 v2, v14, v2 :: v_dual_bitop2_b32 v15, 1, v15 bitop3:0x40
	s_delay_alu instid0(VALU_DEP_2) | instskip(SKIP_1) | instid1(VALU_DEP_1)
	v_cndmask_b32_e64 v9, v10, 1, s13
	v_cmp_eq_u32_e64 s13, 1, v11
	v_cndmask_b32_e64 v11, v9, 1, s13
	v_cmp_eq_u16_e64 s13, 0, v43
	s_delay_alu instid0(VALU_DEP_1) | instskip(SKIP_1) | instid1(VALU_DEP_2)
	v_dual_cndmask_b32 v43, 0, v2, s13 :: v_dual_bitop2_b32 v14, 1, v43 bitop3:0x40
	v_cmp_eq_u32_e64 s13, 1, v15
	v_add_nc_u32_e32 v3, v43, v3
	s_delay_alu instid0(VALU_DEP_2) | instskip(NEXT) | instid1(VALU_DEP_4)
	v_cndmask_b32_e64 v15, v11, 1, s13
	v_cmp_eq_u32_e64 s13, 1, v14
	ds_store_2addr_b32 v4, v6, v7 offset0:6 offset1:8
	ds_store_2addr_b32 v4, v2, v3 offset0:10 offset1:12
	v_cndmask_b32_e64 v14, v15, 1, s13
	v_cmp_eq_u16_e64 s13, 0, v45
	s_delay_alu instid0(VALU_DEP_1) | instskip(NEXT) | instid1(VALU_DEP_1)
	v_dual_cndmask_b32 v5, 0, v3, s13 :: v_dual_bitop2_b32 v47, 1, v45 bitop3:0x40
	v_cmp_eq_u32_e64 s13, 1, v47
	s_delay_alu instid0(VALU_DEP_2) | instskip(NEXT) | instid1(VALU_DEP_2)
	v_add_nc_u32_e32 v2, v5, v44
	v_cndmask_b32_e64 v43, v14, 1, s13
	ds_store_b8 v4, v8 offset:12
	ds_store_b8 v4, v10 offset:20
	;; [unrolled: 1-line block ×6, first 2 shown]
	ds_store_b32 v4, v2 offset:56
	ds_store_b8 v4, v43 offset:60
.LBB10_77:
	s_or_b32 exec_lo, exec_lo, s14
	v_cmp_eq_u32_e64 s13, 0, v0
	s_mov_b32 s15, exec_lo
	s_wait_dscnt 0x0
	s_barrier_signal -1
	s_barrier_wait -1
	v_cmpx_ne_u32_e32 0, v0
	s_cbranch_execz .LBB10_79
; %bb.78:
	v_add_nc_u32_e32 v2, -1, v0
	s_delay_alu instid0(VALU_DEP_1) | instskip(NEXT) | instid1(VALU_DEP_1)
	v_lshrrev_b32_e32 v3, 2, v2
	v_and_b32_e32 v3, 0x3ffffff8, v3
	s_delay_alu instid0(VALU_DEP_1)
	v_lshl_add_u32 v2, v2, 3, v3
	ds_load_b32 v12, v2
	ds_load_u8 v13, v2 offset:4
.LBB10_79:
	s_or_b32 exec_lo, exec_lo, s15
	s_and_saveexec_b32 s30, vcc_lo
	s_cbranch_execz .LBB10_99
; %bb.80:
	v_mov_b32_e32 v5, 0
	v_mbcnt_lo_u32_b32 v14, -1, 0
	s_mov_b32 s23, 0
	ds_load_b64 v[2:3], v5 offset:2096
	v_cmp_eq_u32_e64 s14, 0, v14
	s_and_saveexec_b32 s15, s14
	s_cbranch_execz .LBB10_82
; %bb.81:
	s_add_co_i32 s22, s20, 32
	v_mov_b32_e32 v4, 1
	s_lshl_b64 s[22:23], s[22:23], 4
	s_delay_alu instid0(SALU_CYCLE_1) | instskip(NEXT) | instid1(SALU_CYCLE_1)
	s_add_nc_u64 s[22:23], s[24:25], s[22:23]
	v_mov_b64_e32 v[6:7], s[22:23]
	s_wait_dscnt 0x0
	;;#ASMSTART
	global_store_b128 v[6:7], v[2:5] off scope:SCOPE_DEV	
s_wait_storecnt 0x0
	;;#ASMEND
.LBB10_82:
	s_or_b32 exec_lo, exec_lo, s15
	v_xad_u32 v8, v14, -1, s20
	s_mov_b32 s15, exec_lo
	s_delay_alu instid0(VALU_DEP_1) | instskip(NEXT) | instid1(VALU_DEP_1)
	v_add_nc_u32_e32 v4, 32, v8
	v_lshl_add_u64 v[10:11], v[4:5], 4, s[24:25]
	;;#ASMSTART
	global_load_b128 v[4:7], v[10:11] off scope:SCOPE_DEV	
s_wait_loadcnt 0x0
	;;#ASMEND
	v_and_b32_e32 v7, 0xff, v6
	v_and_b32_e32 v5, 0xff, v5
	s_delay_alu instid0(VALU_DEP_2)
	v_cmpx_eq_u16_e32 0, v7
	s_cbranch_execz .LBB10_86
; %bb.83:
	s_mov_b32 s22, 0
.LBB10_84:                              ; =>This Inner Loop Header: Depth=1
	;;#ASMSTART
	global_load_b128 v[4:7], v[10:11] off scope:SCOPE_DEV	
s_wait_loadcnt 0x0
	;;#ASMEND
	v_and_b32_e32 v7, 0xff, v6
	s_delay_alu instid0(VALU_DEP_1) | instskip(SKIP_1) | instid1(SALU_CYCLE_1)
	v_cmp_ne_u16_e32 vcc_lo, 0, v7
	s_or_b32 s22, vcc_lo, s22
	s_and_not1_b32 exec_lo, exec_lo, s22
	s_cbranch_execnz .LBB10_84
; %bb.85:
	s_or_b32 exec_lo, exec_lo, s22
	v_and_b32_e32 v5, 0xff, v5
.LBB10_86:
	s_or_b32 exec_lo, exec_lo, s15
	v_cmp_ne_u32_e32 vcc_lo, 31, v14
	v_and_b32_e32 v9, 0xff, v6
	v_lshlrev_b32_e64 v43, v14, -1
	s_mov_b64 s[22:23], 0x100000000
	v_lshl_or_b32 v52, v14, 2, 64
	v_add_co_ci_u32_e64 v7, null, 0, v14, vcc_lo
	v_cmp_eq_u16_e32 vcc_lo, 2, v9
	v_cmp_gt_u64_e64 s15, s[22:23], v[4:5]
	s_delay_alu instid0(VALU_DEP_3) | instskip(SKIP_1) | instid1(VALU_DEP_2)
	v_dual_lshlrev_b32 v15, 2, v7 :: v_dual_bitop2_b32 v10, 1, v5 bitop3:0x40
	v_and_or_b32 v9, vcc_lo, v43, 0x80000000
	v_cmp_eq_u32_e32 vcc_lo, 1, v10
	ds_bpermute_b32 v7, v15, v5
	ds_bpermute_b32 v10, v15, v4
	v_ctz_i32_b32_e32 v9, v9
	s_wait_dscnt 0x1
	v_and_b32_e32 v7, 1, v7
	s_delay_alu instid0(VALU_DEP_1) | instskip(SKIP_1) | instid1(VALU_DEP_2)
	v_cndmask_b32_e64 v7, v7, 1, vcc_lo
	v_cmp_gt_u32_e32 vcc_lo, 30, v14
	v_and_b32_e32 v45, 0xffff, v7
	v_cndmask_b32_e64 v11, 0, 2, vcc_lo
	v_cmp_lt_u32_e32 vcc_lo, v14, v9
	s_delay_alu instid0(VALU_DEP_2) | instskip(NEXT) | instid1(VALU_DEP_4)
	v_add_lshl_u32 v44, v11, v14, 2
	v_dual_cndmask_b32 v11, v5, v45, vcc_lo :: v_dual_cndmask_b32 v7, v5, v7, vcc_lo
	s_and_b32 vcc_lo, vcc_lo, s15
	v_add_nc_u32_e32 v45, 2, v14
	s_wait_dscnt 0x0
	v_cndmask_b32_e32 v10, 0, v10, vcc_lo
	ds_bpermute_b32 v5, v44, v11
	v_and_b32_e32 v46, 1, v7
	v_and_b32_e32 v48, 0xff, v7
	v_add_nc_u32_e32 v4, v10, v4
	s_delay_alu instid0(VALU_DEP_3) | instskip(NEXT) | instid1(VALU_DEP_3)
	v_cmp_eq_u32_e32 vcc_lo, 1, v46
	v_cmp_eq_u16_e64 s15, 0, v48
	ds_bpermute_b32 v10, v44, v4
	s_wait_dscnt 0x1
	v_and_b32_e32 v5, 1, v5
	s_delay_alu instid0(VALU_DEP_1) | instskip(SKIP_3) | instid1(VALU_DEP_3)
	v_cndmask_b32_e64 v5, v5, 1, vcc_lo
	v_cmp_gt_u32_e32 vcc_lo, 28, v14
	s_wait_dscnt 0x0
	v_cndmask_b32_e64 v10, 0, v10, s15
	v_and_b32_e32 v47, 0xffff, v5
	v_cndmask_b32_e64 v46, 0, 4, vcc_lo
	v_cmp_gt_u32_e32 vcc_lo, v45, v9
	s_delay_alu instid0(VALU_DEP_2) | instskip(SKIP_3) | instid1(VALU_DEP_2)
	v_add_lshl_u32 v46, v46, v14, 2
	v_cndmask_b32_e32 v5, v5, v7, vcc_lo
	v_cndmask_b32_e64 v10, v10, 0, vcc_lo
	v_dual_cndmask_b32 v7, v47, v11, vcc_lo :: v_dual_add_nc_u32 v47, 4, v14
	v_dual_add_nc_u32 v4, v10, v4 :: v_dual_bitop2_b32 v48, 1, v5 bitop3:0x40
	ds_bpermute_b32 v11, v46, v7
	v_cmp_eq_u32_e32 vcc_lo, 1, v48
	ds_bpermute_b32 v10, v46, v4
	v_and_b32_e32 v48, 0xff, v5
	s_delay_alu instid0(VALU_DEP_1) | instskip(SKIP_1) | instid1(VALU_DEP_1)
	v_cmp_eq_u16_e64 s15, 0, v48
	s_wait_dscnt 0x0
	v_dual_cndmask_b32 v10, 0, v10, s15 :: v_dual_bitop2_b32 v11, 1, v11 bitop3:0x40
	s_delay_alu instid0(VALU_DEP_1) | instskip(SKIP_1) | instid1(VALU_DEP_2)
	v_cndmask_b32_e64 v11, v11, 1, vcc_lo
	v_cmp_gt_u32_e32 vcc_lo, 24, v14
	v_and_b32_e32 v50, 0xffff, v11
	v_cndmask_b32_e64 v49, 0, 8, vcc_lo
	v_cmp_gt_u32_e32 vcc_lo, v47, v9
	s_delay_alu instid0(VALU_DEP_2) | instskip(NEXT) | instid1(VALU_DEP_4)
	v_add_lshl_u32 v48, v49, v14, 2
	v_dual_cndmask_b32 v5, v11, v5, vcc_lo :: v_dual_cndmask_b32 v7, v50, v7, vcc_lo
	v_cndmask_b32_e64 v10, v10, 0, vcc_lo
	s_delay_alu instid0(VALU_DEP_2)
	v_dual_add_nc_u32 v49, 8, v14 :: v_dual_bitop2_b32 v50, 1, v5 bitop3:0x40
	ds_bpermute_b32 v11, v48, v7
	v_add_nc_u32_e32 v4, v10, v4
	v_and_b32_e32 v51, 0xff, v5
	v_cmp_eq_u32_e32 vcc_lo, 1, v50
	ds_bpermute_b32 v10, v48, v4
	s_wait_dscnt 0x1
	v_and_b32_e32 v11, 1, v11
	s_delay_alu instid0(VALU_DEP_1) | instskip(SKIP_1) | instid1(VALU_DEP_2)
	v_cndmask_b32_e64 v11, v11, 1, vcc_lo
	v_cmp_eq_u16_e32 vcc_lo, 0, v51
	v_and_b32_e32 v50, 0xffff, v11
	s_wait_dscnt 0x0
	v_cndmask_b32_e32 v10, 0, v10, vcc_lo
	v_cmp_gt_u32_e32 vcc_lo, v49, v9
	s_delay_alu instid0(VALU_DEP_3) | instskip(NEXT) | instid1(VALU_DEP_3)
	v_dual_cndmask_b32 v5, v11, v5, vcc_lo :: v_dual_cndmask_b32 v7, v50, v7, vcc_lo
	v_cndmask_b32_e64 v10, v10, 0, vcc_lo
	s_delay_alu instid0(VALU_DEP_2) | instskip(SKIP_3) | instid1(VALU_DEP_1)
	v_and_b32_e32 v50, 1, v5
	ds_bpermute_b32 v7, v52, v7
	v_add_nc_u32_e32 v4, v10, v4
	v_and_b32_e32 v11, 0xff, v5
	v_cmp_eq_u16_e32 vcc_lo, 0, v11
	s_wait_dscnt 0x0
	v_and_b32_e32 v7, 1, v7
	ds_bpermute_b32 v10, v52, v4
	s_wait_dscnt 0x0
	v_cndmask_b32_e32 v10, 0, v10, vcc_lo
	v_cmp_eq_u32_e32 vcc_lo, 1, v50
	v_cndmask_b32_e64 v7, v7, 1, vcc_lo
	v_add_nc_u32_e32 v53, 16, v14
	s_delay_alu instid0(VALU_DEP_1) | instskip(NEXT) | instid1(VALU_DEP_3)
	v_cmp_gt_u32_e32 vcc_lo, v53, v9
	v_dual_mov_b32 v9, 0 :: v_dual_cndmask_b32 v5, v7, v5, vcc_lo
	v_cndmask_b32_e64 v7, v10, 0, vcc_lo
	s_delay_alu instid0(VALU_DEP_1)
	v_add_nc_u32_e32 v4, v7, v4
	s_branch .LBB10_90
.LBB10_87:                              ;   in Loop: Header=BB10_90 Depth=1
	s_or_b32 exec_lo, exec_lo, s31
	v_and_b32_e32 v5, 0xff, v5
.LBB10_88:                              ;   in Loop: Header=BB10_90 Depth=1
	s_or_b32 exec_lo, exec_lo, s15
	ds_bpermute_b32 v7, v15, v5
	v_and_b32_e32 v10, 0xff, v6
	v_cmp_gt_u64_e64 s15, s[22:23], v[4:5]
	v_subrev_nc_u32_e32 v8, 32, v8
	s_delay_alu instid0(VALU_DEP_3) | instskip(SKIP_2) | instid1(VALU_DEP_2)
	v_cmp_eq_u16_e32 vcc_lo, 2, v10
	v_and_b32_e32 v10, 1, v5
	v_and_or_b32 v11, vcc_lo, v43, 0x80000000
	v_cmp_eq_u32_e32 vcc_lo, 1, v10
	s_delay_alu instid0(VALU_DEP_2) | instskip(SKIP_3) | instid1(VALU_DEP_1)
	v_ctz_i32_b32_e32 v10, v11
	ds_bpermute_b32 v11, v15, v4
	s_wait_dscnt 0x1
	v_and_b32_e32 v7, 1, v7
	v_cndmask_b32_e64 v7, v7, 1, vcc_lo
	v_cmp_lt_u32_e32 vcc_lo, v14, v10
	s_delay_alu instid0(VALU_DEP_2) | instskip(NEXT) | instid1(VALU_DEP_1)
	v_and_b32_e32 v54, 0xffff, v7
	v_dual_cndmask_b32 v7, v5, v7 :: v_dual_cndmask_b32 v54, v5, v54
	s_and_b32 vcc_lo, vcc_lo, s15
	s_delay_alu instid0(VALU_DEP_1)
	v_and_b32_e32 v56, 0xff, v7
	v_and_b32_e32 v55, 1, v7
	ds_bpermute_b32 v5, v44, v54
	s_wait_dscnt 0x1
	v_cndmask_b32_e32 v11, 0, v11, vcc_lo
	v_cmp_eq_u16_e64 s15, 0, v56
	v_cmp_eq_u32_e32 vcc_lo, 1, v55
	s_wait_dscnt 0x0
	s_delay_alu instid0(VALU_DEP_3) | instskip(NEXT) | instid1(VALU_DEP_1)
	v_dual_add_nc_u32 v4, v11, v4 :: v_dual_bitop2_b32 v5, 1, v5 bitop3:0x40
	v_cndmask_b32_e64 v5, v5, 1, vcc_lo
	ds_bpermute_b32 v11, v44, v4
	v_cmp_gt_u32_e32 vcc_lo, v45, v10
	v_and_b32_e32 v55, 0xffff, v5
	s_delay_alu instid0(VALU_DEP_1) | instskip(NEXT) | instid1(VALU_DEP_1)
	v_dual_cndmask_b32 v5, v5, v7, vcc_lo :: v_dual_cndmask_b32 v7, v55, v54, vcc_lo
	v_and_b32_e32 v55, 1, v5
	ds_bpermute_b32 v54, v46, v7
	s_wait_dscnt 0x1
	v_cndmask_b32_e64 v11, 0, v11, s15
	s_delay_alu instid0(VALU_DEP_1) | instskip(SKIP_2) | instid1(VALU_DEP_3)
	v_cndmask_b32_e64 v11, v11, 0, vcc_lo
	v_cmp_eq_u32_e32 vcc_lo, 1, v55
	v_and_b32_e32 v55, 0xff, v5
	v_add_nc_u32_e32 v4, v11, v4
	s_delay_alu instid0(VALU_DEP_2)
	v_cmp_eq_u16_e64 s15, 0, v55
	s_wait_dscnt 0x0
	v_and_b32_e32 v54, 1, v54
	ds_bpermute_b32 v11, v46, v4
	v_cndmask_b32_e64 v54, v54, 1, vcc_lo
	v_cmp_gt_u32_e32 vcc_lo, v47, v10
	s_delay_alu instid0(VALU_DEP_2) | instskip(SKIP_3) | instid1(VALU_DEP_1)
	v_and_b32_e32 v56, 0xffff, v54
	s_wait_dscnt 0x0
	v_dual_cndmask_b32 v5, v54, v5, vcc_lo :: v_dual_cndmask_b32 v11, 0, v11, s15
	s_mov_b32 s15, 0
	v_cndmask_b32_e64 v11, v11, 0, vcc_lo
	v_cndmask_b32_e32 v7, v56, v7, vcc_lo
	s_delay_alu instid0(VALU_DEP_3) | instskip(NEXT) | instid1(VALU_DEP_3)
	v_and_b32_e32 v56, 0xff, v5
	v_add_nc_u32_e32 v4, v11, v4
	ds_bpermute_b32 v54, v48, v7
	ds_bpermute_b32 v11, v48, v4
	v_and_b32_e32 v55, 1, v5
	s_delay_alu instid0(VALU_DEP_1) | instskip(SKIP_2) | instid1(VALU_DEP_1)
	v_cmp_eq_u32_e32 vcc_lo, 1, v55
	s_wait_dscnt 0x1
	v_and_b32_e32 v54, 1, v54
	v_cndmask_b32_e64 v54, v54, 1, vcc_lo
	v_cmp_eq_u16_e32 vcc_lo, 0, v56
	s_delay_alu instid0(VALU_DEP_2) | instskip(SKIP_3) | instid1(VALU_DEP_2)
	v_and_b32_e32 v55, 0xffff, v54
	s_wait_dscnt 0x0
	v_cndmask_b32_e32 v11, 0, v11, vcc_lo
	v_cmp_gt_u32_e32 vcc_lo, v49, v10
	v_cndmask_b32_e64 v11, v11, 0, vcc_lo
	v_dual_cndmask_b32 v7, v55, v7, vcc_lo :: v_dual_cndmask_b32 v5, v54, v5, vcc_lo
	s_delay_alu instid0(VALU_DEP_2) | instskip(SKIP_4) | instid1(VALU_DEP_1)
	v_add_nc_u32_e32 v4, v11, v4
	ds_bpermute_b32 v7, v52, v7
	v_and_b32_e32 v55, 0xff, v5
	ds_bpermute_b32 v11, v52, v4
	v_and_b32_e32 v54, 1, v5
	v_cmp_eq_u32_e32 vcc_lo, 1, v54
	s_wait_dscnt 0x1
	v_cndmask_b32_e64 v7, v7, 1, vcc_lo
	v_cmp_eq_u16_e32 vcc_lo, 0, v55
	s_wait_dscnt 0x0
	v_cndmask_b32_e32 v11, 0, v11, vcc_lo
	v_cmp_gt_u32_e32 vcc_lo, v53, v10
	v_and_b32_e32 v10, 0xff, v50
	v_cndmask_b32_e32 v5, v7, v5, vcc_lo
	s_delay_alu instid0(VALU_DEP_4) | instskip(NEXT) | instid1(VALU_DEP_3)
	v_cndmask_b32_e64 v7, v11, 0, vcc_lo
	v_cmp_eq_u16_e32 vcc_lo, 0, v10
	s_delay_alu instid0(VALU_DEP_2) | instskip(NEXT) | instid1(VALU_DEP_1)
	v_dual_add_nc_u32 v4, v7, v4 :: v_dual_bitop2_b32 v7, 1, v50 bitop3:0x40
	v_dual_cndmask_b32 v4, 0, v4, vcc_lo :: v_dual_bitop2_b32 v5, 1, v5 bitop3:0x40
	s_delay_alu instid0(VALU_DEP_2) | instskip(NEXT) | instid1(VALU_DEP_2)
	v_cmp_eq_u32_e32 vcc_lo, 1, v7
	v_add_nc_u32_e32 v4, v4, v51
	s_delay_alu instid0(VALU_DEP_3)
	v_cndmask_b32_e64 v5, v5, 1, vcc_lo
.LBB10_89:                              ;   in Loop: Header=BB10_90 Depth=1
	s_and_b32 vcc_lo, exec_lo, s15
	s_cbranch_vccnz .LBB10_95
.LBB10_90:                              ; =>This Loop Header: Depth=1
                                        ;     Child Loop BB10_93 Depth 2
	v_and_b32_e32 v6, 0xff, v6
	s_delay_alu instid0(VALU_DEP_2) | instskip(SKIP_1) | instid1(VALU_DEP_2)
	v_dual_mov_b32 v50, v5 :: v_dual_mov_b32 v51, v4
	s_mov_b32 s15, -1
                                        ; implicit-def: $vgpr5
                                        ; implicit-def: $vgpr4
	v_cmp_ne_u16_e32 vcc_lo, 2, v6
                                        ; implicit-def: $vgpr6
	s_cmp_lg_u32 vcc_lo, exec_lo
	s_cbranch_scc1 .LBB10_89
; %bb.91:                               ;   in Loop: Header=BB10_90 Depth=1
	v_lshl_add_u64 v[10:11], v[8:9], 4, s[24:25]
	;;#ASMSTART
	global_load_b128 v[4:7], v[10:11] off scope:SCOPE_DEV	
s_wait_loadcnt 0x0
	;;#ASMEND
	v_and_b32_e32 v7, 0xff, v6
	v_and_b32_e32 v5, 0xff, v5
	s_mov_b32 s15, exec_lo
	s_delay_alu instid0(VALU_DEP_2)
	v_cmpx_eq_u16_e32 0, v7
	s_cbranch_execz .LBB10_88
; %bb.92:                               ;   in Loop: Header=BB10_90 Depth=1
	s_mov_b32 s31, 0
.LBB10_93:                              ;   Parent Loop BB10_90 Depth=1
                                        ; =>  This Inner Loop Header: Depth=2
	;;#ASMSTART
	global_load_b128 v[4:7], v[10:11] off scope:SCOPE_DEV	
s_wait_loadcnt 0x0
	;;#ASMEND
	v_and_b32_e32 v7, 0xff, v6
	s_delay_alu instid0(VALU_DEP_1) | instskip(SKIP_1) | instid1(SALU_CYCLE_1)
	v_cmp_ne_u16_e32 vcc_lo, 0, v7
	s_or_b32 s31, vcc_lo, s31
	s_and_not1_b32 exec_lo, exec_lo, s31
	s_cbranch_execnz .LBB10_93
	s_branch .LBB10_87
.LBB10_94:
                                        ; implicit-def: $vgpr13
                                        ; implicit-def: $vgpr5
                                        ; implicit-def: $vgpr9
                                        ; implicit-def: $vgpr14_vgpr15
	s_cbranch_execnz .LBB10_100
	s_branch .LBB10_117
.LBB10_95:
	s_and_saveexec_b32 s15, s14
	s_cbranch_execz .LBB10_97
; %bb.96:
	v_and_b32_e32 v4, 0xff, v3
	s_mov_b32 s23, 0
	s_add_co_i32 s22, s20, 32
	v_and_b32_e32 v5, 1, v50
	s_lshl_b64 s[22:23], s[22:23], 4
	v_cmp_eq_u32_e32 vcc_lo, 0, v4
	s_add_nc_u64 s[22:23], s[24:25], s[22:23]
	s_delay_alu instid0(SALU_CYCLE_1) | instskip(SKIP_1) | instid1(VALU_DEP_1)
	v_mov_b64_e32 v[6:7], s[22:23]
	v_cndmask_b32_e32 v4, 0, v51, vcc_lo
	v_dual_add_nc_u32 v2, v4, v2 :: v_dual_bitop2_b32 v3, 1, v3 bitop3:0x40
	s_delay_alu instid0(VALU_DEP_1)
	v_cmp_eq_u32_e32 vcc_lo, 1, v3
	v_mov_b32_e32 v4, 2
	v_cndmask_b32_e64 v3, v5, 1, vcc_lo
	v_mov_b32_e32 v5, 0
	;;#ASMSTART
	global_store_b128 v[6:7], v[2:5] off scope:SCOPE_DEV	
s_wait_storecnt 0x0
	;;#ASMEND
.LBB10_97:
	s_or_b32 exec_lo, exec_lo, s15
	s_delay_alu instid0(SALU_CYCLE_1)
	s_and_b32 exec_lo, exec_lo, s13
	s_cbranch_execz .LBB10_99
; %bb.98:
	v_mov_b32_e32 v2, 0
	ds_store_b32 v2, v51
	ds_store_b8 v2, v50 offset:4
.LBB10_99:
	s_or_b32 exec_lo, exec_lo, s30
	v_dual_mov_b32 v2, 0 :: v_dual_bitop2_b32 v3, 1, v19 bitop3:0x40
	s_wait_dscnt 0x0
	s_barrier_signal -1
	s_barrier_wait -1
	s_delay_alu instid0(VALU_DEP_1) | instskip(SKIP_4) | instid1(VALU_DEP_2)
	v_cmp_eq_u32_e32 vcc_lo, 1, v3
	ds_load_b32 v2, v2
	s_mov_b64 s[14:15], 0x100000000
	v_cndmask_b32_e64 v3, v13, 1, vcc_lo
	v_cmp_gt_u64_e32 vcc_lo, s[14:15], v[18:19]
	v_dual_cndmask_b32 v3, v3, v19, s13 :: v_dual_cndmask_b32 v4, 0, v12, vcc_lo
	s_delay_alu instid0(VALU_DEP_1) | instskip(NEXT) | instid1(VALU_DEP_2)
	v_and_b32_e32 v3, 0xff, v3
	v_cndmask_b32_e64 v4, v4, 0, s13
	s_delay_alu instid0(VALU_DEP_2) | instskip(SKIP_2) | instid1(VALU_DEP_1)
	v_cmp_eq_u16_e32 vcc_lo, 0, v3
	s_wait_dscnt 0x0
	v_cndmask_b32_e32 v2, 0, v2, vcc_lo
	v_add3_u32 v6, v4, v18, v2
	s_delay_alu instid0(VALU_DEP_1) | instskip(NEXT) | instid1(VALU_DEP_1)
	v_cndmask_b32_e64 v2, 0, v6, s2
	v_add_nc_u32_e32 v7, v2, v40
	s_delay_alu instid0(VALU_DEP_1) | instskip(NEXT) | instid1(VALU_DEP_1)
	v_cndmask_b32_e64 v2, 0, v7, s3
	v_add_nc_u32_e32 v8, v2, v38
	v_mov_b64_e32 v[14:15], v[6:7]
	s_delay_alu instid0(VALU_DEP_2) | instskip(NEXT) | instid1(VALU_DEP_1)
	v_cndmask_b32_e64 v2, 0, v8, s4
	v_add_nc_u32_e32 v9, v2, v36
	s_delay_alu instid0(VALU_DEP_1) | instskip(NEXT) | instid1(VALU_DEP_1)
	v_cndmask_b32_e64 v2, 0, v9, s5
	v_add_nc_u32_e32 v2, v2, v34
	s_delay_alu instid0(VALU_DEP_1) | instskip(NEXT) | instid1(VALU_DEP_1)
	;; [unrolled: 3-line block ×8, first 2 shown]
	v_cndmask_b32_e64 v13, 0, v12, s12
	v_add_nc_u32_e32 v13, v13, v16
	s_branch .LBB10_117
.LBB10_100:
	s_cmp_lg_u64 s[28:29], 0
	v_cmp_eq_u32_e32 vcc_lo, 0, v0
	s_cselect_b32 s3, -1, 0
	s_cmp_lg_u64 s[18:19], 0
	v_cmp_ne_u32_e64 s2, 0, v0
	s_cselect_b32 s4, -1, 0
	s_delay_alu instid0(SALU_CYCLE_1) | instskip(NEXT) | instid1(SALU_CYCLE_1)
	s_and_b32 s3, s3, s4
	s_and_b32 s3, vcc_lo, s3
	s_delay_alu instid0(SALU_CYCLE_1)
	s_and_saveexec_b32 s4, s3
	s_cbranch_execz .LBB10_102
; %bb.101:
	s_mov_b64 s[6:7], 0x100000000
	s_delay_alu instid0(SALU_CYCLE_1)
	v_cmp_gt_u64_e64 s3, s[6:7], v[18:19]
	v_mov_b32_e32 v2, 0
	s_clause 0x1
	global_load_b32 v3, v2, s[18:19]
	global_load_u8 v4, v2, s[18:19] offset:4
	s_wait_loadcnt 0x1
	v_cndmask_b32_e64 v5, 0, v3, s3
	v_and_b32_e32 v3, 1, v19
	s_wait_loadcnt 0x0
	s_delay_alu instid0(VALU_DEP_2) | instskip(NEXT) | instid1(VALU_DEP_2)
	v_dual_add_nc_u32 v18, v5, v18 :: v_dual_bitop2_b32 v4, 1, v4 bitop3:0x40
	v_cmp_eq_u64_e64 s3, 0, v[2:3]
	s_delay_alu instid0(VALU_DEP_1)
	v_cndmask_b32_e64 v19, 1, v4, s3
.LBB10_102:
	s_or_b32 exec_lo, exec_lo, s4
	s_mov_b64 s[14:15], 0x100000000
	v_or3_b32 v12, v42, v31, v33
	v_cmp_gt_u64_e64 s3, s[14:15], v[40:41]
	v_cmp_gt_u64_e64 s4, s[14:15], v[38:39]
	;; [unrolled: 1-line block ×7, first 2 shown]
	v_cndmask_b32_e64 v2, 0, v18, s3
	v_cmp_gt_u64_e64 s10, s[14:15], v[26:27]
	v_cmp_gt_u64_e64 s12, s[14:15], v[22:23]
	v_cmp_gt_u64_e64 s11, s[14:15], v[24:25]
	v_cmp_gt_u64_e64 s13, s[14:15], v[16:17]
	v_add_nc_u32_e32 v7, v2, v40
	s_mov_b32 s15, exec_lo
	v_dual_mov_b32 v14, 0 :: v_dual_bitop2_b32 v1, 56, v1 bitop3:0x40
	s_delay_alu instid0(VALU_DEP_2) | instskip(NEXT) | instid1(VALU_DEP_2)
	v_cndmask_b32_e64 v2, 0, v7, s4
	v_lshl_add_u32 v1, v0, 3, v1
	s_delay_alu instid0(VALU_DEP_2) | instskip(NEXT) | instid1(VALU_DEP_1)
	v_add_nc_u32_e32 v8, v2, v38
	v_cndmask_b32_e64 v2, 0, v8, s5
	s_delay_alu instid0(VALU_DEP_1) | instskip(NEXT) | instid1(VALU_DEP_1)
	v_add_nc_u32_e32 v9, v2, v36
	v_cndmask_b32_e64 v2, 0, v9, s6
	s_delay_alu instid0(VALU_DEP_1) | instskip(NEXT) | instid1(VALU_DEP_1)
	;; [unrolled: 3-line block ×6, first 2 shown]
	v_add_nc_u32_e32 v10, v6, v26
	v_cndmask_b32_e64 v6, 0, v10, s11
	s_delay_alu instid0(VALU_DEP_1) | instskip(SKIP_1) | instid1(VALU_DEP_2)
	v_add_nc_u32_e32 v11, v6, v24
	v_or3_b32 v6, v12, v35, v37
	v_cndmask_b32_e64 v12, 0, v11, s12
	s_delay_alu instid0(VALU_DEP_2) | instskip(NEXT) | instid1(VALU_DEP_2)
	v_or3_b32 v6, v6, v39, v41
	v_add_nc_u32_e32 v12, v12, v22
	s_delay_alu instid0(VALU_DEP_2) | instskip(NEXT) | instid1(VALU_DEP_1)
	v_or3_b32 v6, v17, v21, v6
	v_and_b32_e32 v15, 0xff, v6
	s_delay_alu instid0(VALU_DEP_1) | instskip(NEXT) | instid1(VALU_DEP_1)
	v_cmp_eq_u64_e64 s14, 0, v[14:15]
	v_dual_cndmask_b32 v13, 0, v12, s13 :: v_dual_cndmask_b32 v6, 1, v19, s14
	s_delay_alu instid0(VALU_DEP_1)
	v_add_nc_u32_e32 v13, v13, v16
	ds_store_b32 v1, v13
	ds_store_b8 v1, v6 offset:4
	s_wait_dscnt 0x0
	s_barrier_signal -1
	s_barrier_wait -1
	v_cmpx_gt_u32_e32 32, v0
	s_cbranch_execz .LBB10_112
; %bb.103:
	v_dual_lshlrev_b32 v1, 1, v0 :: v_dual_lshlrev_b32 v14, 6, v0
	s_mov_b32 s18, exec_lo
	s_delay_alu instid0(VALU_DEP_1) | instskip(NEXT) | instid1(VALU_DEP_1)
	v_and_b32_e32 v1, 0x1f8, v1
	v_add_nc_u32_e32 v1, v1, v14
	ds_load_u8 v17, v1 offset:12
	ds_load_b64 v[14:15], v1
	ds_load_2addr_b32 v[42:43], v1 offset0:2 offset1:4
	ds_load_u8 v21, v1 offset:20
	ds_load_u8 v23, v1 offset:28
	;; [unrolled: 1-line block ×5, first 2 shown]
	ds_load_b32 v33, v1 offset:56
	s_wait_dscnt 0x8
	v_cmp_eq_u16_e64 s14, 0, v17
	s_wait_dscnt 0x5
	s_delay_alu instid0(VALU_DEP_1)
	v_dual_cndmask_b32 v31, 0, v14, s14 :: v_dual_bitop2_b32 v17, v21, v17 bitop3:0x54
	ds_load_2addr_b32 v[44:45], v1 offset0:6 offset1:8
	v_cmp_eq_u16_e64 s14, 0, v21
	ds_load_u8 v35, v1 offset:60
	s_wait_dscnt 0x5
	v_bitop3_b16 v17, v17, v25, v23 bitop3:0xfe
	v_add_nc_u32_e32 v31, v31, v42
	s_delay_alu instid0(VALU_DEP_1)
	v_cndmask_b32_e64 v31, 0, v31, s14
	v_cmp_eq_u16_e64 s14, 0, v23
	s_wait_dscnt 0x3
	v_bitop3_b16 v23, v17, v29, v27 bitop3:0xfe
	v_and_b32_e32 v17, 1, v15
	v_add_nc_u32_e32 v31, v31, v43
	ds_load_2addr_b32 v[42:43], v1 offset0:10 offset1:12
	v_cndmask_b32_e64 v31, 0, v31, s14
	v_cmp_eq_u16_e64 s14, 0, v25
	s_wait_dscnt 0x1
	s_delay_alu instid0(VALU_DEP_2) | instskip(NEXT) | instid1(VALU_DEP_1)
	v_dual_add_nc_u32 v31, v31, v44 :: v_dual_bitop2_b32 v25, 1, v35 bitop3:0x40
	v_cndmask_b32_e64 v31, 0, v31, s14
	v_cmp_eq_u16_e64 s14, 0, v27
	s_delay_alu instid0(VALU_DEP_2) | instskip(NEXT) | instid1(VALU_DEP_1)
	v_add_nc_u32_e32 v21, v31, v45
	v_cndmask_b32_e64 v21, 0, v21, s14
	v_cmp_eq_u16_e64 s14, 0, v23
	s_wait_dscnt 0x0
	s_delay_alu instid0(VALU_DEP_1) | instskip(SKIP_1) | instid1(VALU_DEP_1)
	v_dual_add_nc_u32 v21, v21, v42 :: v_dual_cndmask_b32 v23, 1, v17, s14
	v_cmp_eq_u16_e64 s14, 0, v29
	v_cndmask_b32_e64 v21, 0, v21, s14
	v_cmp_eq_u32_e64 s14, 1, v25
	v_mbcnt_lo_u32_b32 v25, -1, 0
	s_delay_alu instid0(VALU_DEP_2) | instskip(SKIP_1) | instid1(VALU_DEP_2)
	v_cndmask_b32_e64 v27, v23, 1, s14
	v_cmp_eq_u16_e64 s14, 0, v35
	v_and_b32_e32 v29, 0xffff, v27
	v_add_nc_u32_e32 v23, v21, v43
	v_and_b32_e32 v21, 0xffffff00, v15
	s_delay_alu instid0(VALU_DEP_1) | instskip(SKIP_1) | instid1(VALU_DEP_2)
	v_dual_cndmask_b32 v23, 0, v23, s14 :: v_dual_bitop2_b32 v31, v21, v29 bitop3:0x54
	v_and_b32_e32 v29, 15, v25
	v_mov_b32_dpp v35, v31 row_shr:1 row_mask:0xf bank_mask:0xf
	s_delay_alu instid0(VALU_DEP_3) | instskip(NEXT) | instid1(VALU_DEP_1)
	v_add_nc_u32_e32 v23, v23, v33
	v_mov_b32_dpp v33, v23 row_shr:1 row_mask:0xf bank_mask:0xf
	s_delay_alu instid0(VALU_DEP_4)
	v_cmpx_ne_u32_e32 0, v29
	s_cbranch_execz .LBB10_105
; %bb.104:
	v_and_b32_e32 v31, 1, v27
	v_and_b32_e32 v35, 1, v35
	s_delay_alu instid0(VALU_DEP_2) | instskip(NEXT) | instid1(VALU_DEP_1)
	v_cmp_eq_u32_e64 s14, 1, v31
	v_cndmask_b32_e64 v35, v35, 1, s14
	v_cmp_eq_u16_e64 s14, 0, v27
	s_delay_alu instid0(VALU_DEP_2) | instskip(NEXT) | instid1(VALU_DEP_1)
	v_and_b32_e32 v31, 0xffff, v35
	v_dual_cndmask_b32 v27, 0, v33, s14 :: v_dual_bitop2_b32 v31, v21, v31 bitop3:0x54
	s_delay_alu instid0(VALU_DEP_1)
	v_add_nc_u32_e32 v23, v27, v23
	v_mov_b32_e32 v27, v35
.LBB10_105:
	s_or_b32 exec_lo, exec_lo, s18
	s_delay_alu instid0(VALU_DEP_2)
	v_mov_b32_dpp v33, v23 row_shr:2 row_mask:0xf bank_mask:0xf
	v_mov_b32_dpp v35, v31 row_shr:2 row_mask:0xf bank_mask:0xf
	s_mov_b32 s18, exec_lo
	v_cmpx_lt_u32_e32 1, v29
	s_cbranch_execz .LBB10_107
; %bb.106:
	v_and_b32_e32 v31, 1, v27
	v_and_b32_e32 v35, 1, v35
	s_delay_alu instid0(VALU_DEP_2) | instskip(NEXT) | instid1(VALU_DEP_1)
	v_cmp_eq_u32_e64 s14, 1, v31
	v_cndmask_b32_e64 v35, v35, 1, s14
	v_cmp_eq_u16_e64 s14, 0, v27
	s_delay_alu instid0(VALU_DEP_2) | instskip(NEXT) | instid1(VALU_DEP_1)
	v_and_b32_e32 v31, 0xffff, v35
	v_dual_cndmask_b32 v27, 0, v33, s14 :: v_dual_bitop2_b32 v31, v21, v31 bitop3:0x54
	s_delay_alu instid0(VALU_DEP_1)
	v_add_nc_u32_e32 v23, v27, v23
	v_mov_b32_e32 v27, v35
.LBB10_107:
	s_or_b32 exec_lo, exec_lo, s18
	s_delay_alu instid0(VALU_DEP_2)
	v_mov_b32_dpp v33, v23 row_shr:4 row_mask:0xf bank_mask:0xf
	v_mov_b32_dpp v35, v31 row_shr:4 row_mask:0xf bank_mask:0xf
	s_mov_b32 s18, exec_lo
	v_cmpx_lt_u32_e32 3, v29
	;; [unrolled: 21-line block ×3, first 2 shown]
	s_cbranch_execz .LBB10_111
; %bb.110:
	v_and_b32_e32 v29, 1, v27
	v_and_b32_e32 v31, 1, v35
	s_delay_alu instid0(VALU_DEP_2) | instskip(NEXT) | instid1(VALU_DEP_1)
	v_cmp_eq_u32_e64 s14, 1, v29
	v_cndmask_b32_e64 v29, v31, 1, s14
	v_cmp_eq_u16_e64 s14, 0, v27
	s_delay_alu instid0(VALU_DEP_2) | instskip(NEXT) | instid1(VALU_DEP_1)
	v_and_b32_e32 v31, 0xffff, v29
	v_dual_cndmask_b32 v27, 0, v33, s14 :: v_dual_bitop2_b32 v31, v21, v31 bitop3:0x54
	s_delay_alu instid0(VALU_DEP_1)
	v_dual_add_nc_u32 v23, v27, v23 :: v_dual_mov_b32 v27, v29
.LBB10_111:
	s_or_b32 exec_lo, exec_lo, s18
	ds_swizzle_b32 v29, v31 offset:swizzle(BROADCAST,32,15)
	ds_swizzle_b32 v31, v23 offset:swizzle(BROADCAST,32,15)
	v_and_b32_e32 v33, 1, v27
	v_and_b32_e32 v35, 16, v25
	v_bfe_i32 v37, v25, 4, 1
	v_and_b32_e32 v15, 0xff, v15
	s_delay_alu instid0(VALU_DEP_4) | instskip(SKIP_3) | instid1(VALU_DEP_1)
	v_cmp_eq_u32_e64 s14, 1, v33
	v_add_nc_u32_e32 v33, -1, v25
	; wave barrier
	s_wait_dscnt 0x1
	v_and_b32_e32 v29, 1, v29
	v_cndmask_b32_e64 v29, v29, 1, s14
	v_cmp_eq_u16_e64 s14, 0, v27
	s_wait_dscnt 0x0
	s_delay_alu instid0(VALU_DEP_1) | instskip(SKIP_1) | instid1(VALU_DEP_1)
	v_cndmask_b32_e64 v31, 0, v31, s14
	v_cmp_eq_u32_e64 s14, 0, v35
	v_cndmask_b32_e64 v27, v29, v27, s14
	v_cmp_gt_i32_e64 s14, 0, v33
	s_delay_alu instid0(VALU_DEP_2) | instskip(NEXT) | instid1(VALU_DEP_2)
	v_and_b32_e32 v27, 0xffff, v27
	v_cndmask_b32_e64 v25, v33, v25, s14
	v_and_b32_e32 v29, v37, v31
	v_cmp_eq_u16_e64 s14, 0, v15
	s_delay_alu instid0(VALU_DEP_3)
	v_dual_lshlrev_b32 v25, 2, v25 :: v_dual_bitop2_b32 v21, v21, v27 bitop3:0x54
	ds_bpermute_b32 v21, v25, v21
	s_wait_dscnt 0x0
	v_dual_add_nc_u32 v23, v29, v23 :: v_dual_bitop2_b32 v21, 1, v21 bitop3:0x40
	ds_bpermute_b32 v23, v25, v23
	s_wait_dscnt 0x0
	v_cndmask_b32_e64 v15, 0, v23, s14
	v_cmp_eq_u32_e64 s14, 1, v17
	s_delay_alu instid0(VALU_DEP_2) | instskip(NEXT) | instid1(VALU_DEP_2)
	v_add_nc_u32_e32 v14, v15, v14
	v_cndmask_b32_e64 v15, v21, 1, s14
	s_delay_alu instid0(VALU_DEP_1)
	v_dual_cndmask_b32 v17, v14, v13 :: v_dual_cndmask_b32 v6, v15, v6
	ds_store_b32 v1, v17
	ds_store_b8 v1, v6 offset:4
	; wave barrier
	ds_load_u8 v21, v1 offset:12
	ds_load_2addr_b32 v[14:15], v1 offset0:2 offset1:4
	ds_load_u8 v23, v1 offset:20
	ds_load_u8 v25, v1 offset:28
	;; [unrolled: 1-line block ×5, first 2 shown]
	ds_load_b32 v33, v1 offset:56
	ds_load_u8 v35, v1 offset:60
	ds_load_2addr_b32 v[42:43], v1 offset0:6 offset1:8
	s_wait_dscnt 0x9
	v_cmp_eq_u16_e64 s14, 0, v21
	s_delay_alu instid0(VALU_DEP_1) | instskip(SKIP_2) | instid1(VALU_DEP_2)
	v_cndmask_b32_e64 v17, 0, v17, s14
	s_wait_dscnt 0x7
	v_cmp_eq_u16_e64 s14, 0, v23
	v_add_nc_u32_e32 v17, v17, v14
	s_delay_alu instid0(VALU_DEP_1) | instskip(SKIP_2) | instid1(VALU_DEP_2)
	v_cndmask_b32_e64 v14, 0, v17, s14
	s_wait_dscnt 0x6
	v_cmp_eq_u16_e64 s14, 0, v25
	v_add_nc_u32_e32 v37, v14, v15
	ds_load_2addr_b32 v[14:15], v1 offset0:10 offset1:12
	v_cndmask_b32_e64 v39, 0, v37, s14
	s_wait_dscnt 0x6
	v_cmp_eq_u16_e64 s14, 0, v27
	ds_store_2addr_b32 v1, v17, v37 offset0:2 offset1:4
	s_wait_dscnt 0x2
	v_dual_add_nc_u32 v39, v39, v42 :: v_dual_bitop2_b32 v21, 1, v21 bitop3:0x40
	v_and_b32_e32 v42, 1, v35
	s_delay_alu instid0(VALU_DEP_2) | instskip(NEXT) | instid1(VALU_DEP_3)
	v_cndmask_b32_e64 v41, 0, v39, s14
	v_cmp_eq_u32_e64 s14, 1, v21
	s_delay_alu instid0(VALU_DEP_2) | instskip(SKIP_1) | instid1(VALU_DEP_3)
	v_dual_add_nc_u32 v25, v41, v43 :: v_dual_bitop2_b32 v21, 1, v25 bitop3:0x40
	v_and_b32_e32 v23, 1, v23
	v_cndmask_b32_e64 v6, v6, 1, s14
	s_delay_alu instid0(VALU_DEP_2) | instskip(NEXT) | instid1(VALU_DEP_1)
	v_cmp_eq_u32_e64 s14, 1, v23
	v_cndmask_b32_e64 v23, v6, 1, s14
	v_cmp_eq_u16_e64 s14, 0, v29
	s_delay_alu instid0(VALU_DEP_1) | instskip(SKIP_2) | instid1(VALU_DEP_2)
	v_dual_cndmask_b32 v41, 0, v25, s14 :: v_dual_bitop2_b32 v27, 1, v27 bitop3:0x40
	v_cmp_eq_u32_e64 s14, 1, v21
	s_wait_dscnt 0x1
	v_dual_add_nc_u32 v14, v41, v14 :: v_dual_bitop2_b32 v41, 1, v31 bitop3:0x40
	s_delay_alu instid0(VALU_DEP_2) | instskip(SKIP_1) | instid1(VALU_DEP_1)
	v_cndmask_b32_e64 v21, v23, 1, s14
	v_cmp_eq_u32_e64 s14, 1, v27
	v_cndmask_b32_e64 v27, v21, 1, s14
	v_cmp_eq_u16_e64 s14, 0, v31
	s_delay_alu instid0(VALU_DEP_1) | instskip(NEXT) | instid1(VALU_DEP_1)
	v_dual_cndmask_b32 v31, 0, v14, s14 :: v_dual_bitop2_b32 v29, 1, v29 bitop3:0x40
	v_cmp_eq_u32_e64 s14, 1, v29
	s_delay_alu instid0(VALU_DEP_2) | instskip(NEXT) | instid1(VALU_DEP_2)
	v_add_nc_u32_e32 v15, v31, v15
	v_cndmask_b32_e64 v29, v27, 1, s14
	v_cmp_eq_u32_e64 s14, 1, v41
	ds_store_2addr_b32 v1, v39, v25 offset0:6 offset1:8
	ds_store_2addr_b32 v1, v14, v15 offset0:10 offset1:12
	v_cndmask_b32_e64 v31, v29, 1, s14
	v_cmp_eq_u16_e64 s14, 0, v35
	s_delay_alu instid0(VALU_DEP_1) | instskip(SKIP_1) | instid1(VALU_DEP_2)
	v_cndmask_b32_e64 v17, 0, v15, s14
	v_cmp_eq_u32_e64 s14, 1, v42
	v_add_nc_u32_e32 v14, v17, v33
	s_delay_alu instid0(VALU_DEP_2)
	v_cndmask_b32_e64 v35, v31, 1, s14
	ds_store_b8 v1, v6 offset:12
	ds_store_b8 v1, v23 offset:20
	ds_store_b8 v1, v21 offset:28
	ds_store_b8 v1, v27 offset:36
	ds_store_b8 v1, v29 offset:44
	ds_store_b8 v1, v31 offset:52
	ds_store_b32 v1, v14 offset:56
	ds_store_b8 v1, v35 offset:60
.LBB10_112:
	s_or_b32 exec_lo, exec_lo, s15
	v_mov_b32_e32 v6, v18
	s_wait_dscnt 0x0
	s_barrier_signal -1
	s_barrier_wait -1
	s_delay_alu instid0(VALU_DEP_1)
	v_mov_b64_e32 v[14:15], v[6:7]
	s_and_saveexec_b32 s14, s2
	s_cbranch_execz .LBB10_114
; %bb.113:
	v_add_nc_u32_e32 v1, -1, v0
	v_and_b32_e32 v3, 0xff, v19
	s_delay_alu instid0(VALU_DEP_2) | instskip(NEXT) | instid1(VALU_DEP_1)
	v_lshrrev_b32_e32 v2, 2, v1
	v_and_b32_e32 v2, 0x3ffffff8, v2
	s_delay_alu instid0(VALU_DEP_1)
	v_lshl_add_u32 v1, v1, 3, v2
	v_mov_b32_e32 v2, 0
	ds_load_b32 v1, v1
	v_cmp_eq_u64_e64 s2, 0, v[2:3]
	;;#ASMSTART
	;;#ASMEND
	s_wait_dscnt 0x0
	s_delay_alu instid0(VALU_DEP_1) | instskip(NEXT) | instid1(VALU_DEP_1)
	v_cndmask_b32_e64 v1, 0, v1, s2
	v_add_nc_u32_e32 v14, v1, v18
	s_delay_alu instid0(VALU_DEP_1) | instskip(NEXT) | instid1(VALU_DEP_1)
	v_cndmask_b32_e64 v1, 0, v14, s3
	v_dual_mov_b32 v18, v14 :: v_dual_add_nc_u32 v15, v1, v40
	s_delay_alu instid0(VALU_DEP_1) | instskip(NEXT) | instid1(VALU_DEP_1)
	v_dual_cndmask_b32 v1, 0, v15, s4 :: v_dual_mov_b32 v7, v15
	v_add_nc_u32_e32 v8, v1, v38
	s_delay_alu instid0(VALU_DEP_1) | instskip(NEXT) | instid1(VALU_DEP_1)
	v_cndmask_b32_e64 v1, 0, v8, s5
	v_add_nc_u32_e32 v9, v1, v36
	s_delay_alu instid0(VALU_DEP_1) | instskip(NEXT) | instid1(VALU_DEP_1)
	v_cndmask_b32_e64 v1, 0, v9, s6
	;; [unrolled: 3-line block ×9, first 2 shown]
	v_add_nc_u32_e32 v13, v1, v16
.LBB10_114:
	s_or_b32 exec_lo, exec_lo, s14
	s_and_saveexec_b32 s2, vcc_lo
	s_cbranch_execz .LBB10_116
; %bb.115:
	v_dual_mov_b32 v25, 0 :: v_dual_mov_b32 v24, 2
	s_add_nc_u64 s[4:5], s[24:25], 0x200
	ds_load_b32 v22, v25 offset:2096
	ds_load_u8 v23, v25 offset:2100
	v_mov_b64_e32 v[16:17], s[4:5]
	s_wait_dscnt 0x0
	;;#ASMSTART
	global_store_b128 v[16:17], v[22:25] off scope:SCOPE_DEV	
s_wait_storecnt 0x0
	;;#ASMEND
.LBB10_116:
	s_or_b32 exec_lo, exec_lo, s2
	v_mov_b32_e32 v6, v18
.LBB10_117:
	s_load_b64 s[0:1], s[0:1], 0x20
	s_and_b32 vcc_lo, exec_lo, s21
	s_wait_kmcnt 0x0
	s_add_nc_u64 s[0:1], s[0:1], s[34:35]
	s_delay_alu instid0(SALU_CYCLE_1)
	s_add_nc_u64 s[0:1], s[0:1], s[16:17]
	s_cbranch_vccz .LBB10_157
; %bb.118:
	v_mul_u32_u24_e32 v1, 12, v0
	s_add_co_i32 s27, s27, s26
	s_mov_b32 s2, exec_lo
	s_delay_alu instid0(VALU_DEP_1)
	v_cmpx_gt_u32_e64 s27, v1
	s_cbranch_execz .LBB10_134
; %bb.119:
	v_or_b32_e32 v16, 1, v1
	s_mov_b32 s3, exec_lo
	s_delay_alu instid0(VALU_DEP_1)
	v_cmpx_gt_u32_e64 s27, v16
	s_cbranch_execz .LBB10_133
; %bb.120:
	v_or_b32_e32 v16, 2, v1
	;; [unrolled: 6-line block ×3, first 2 shown]
	s_mov_b32 s5, exec_lo
	s_delay_alu instid0(VALU_DEP_1)
	v_cmpx_gt_u32_e64 s27, v16
	s_cbranch_execz .LBB10_131
; %bb.122:
	v_add_nc_u32_e32 v16, 4, v1
	s_mov_b32 s6, exec_lo
	s_delay_alu instid0(VALU_DEP_1)
	v_cmpx_gt_u32_e64 s27, v16
	s_cbranch_execz .LBB10_130
; %bb.123:
	v_add_nc_u32_e32 v16, 5, v1
	s_mov_b32 s7, exec_lo
	s_delay_alu instid0(VALU_DEP_1)
	v_cmpx_gt_u32_e64 s27, v16
	s_cbranch_execz .LBB10_129
; %bb.124:
	v_add_nc_u32_e32 v16, 6, v1
	s_mov_b32 s8, exec_lo
	s_delay_alu instid0(VALU_DEP_1)
	v_cmpx_gt_u32_e64 s27, v16
	s_cbranch_execz .LBB10_128
; %bb.125:
	v_add_nc_u32_e32 v16, 7, v1
	s_mov_b32 s9, exec_lo
	s_delay_alu instid0(VALU_DEP_1)
	v_cmpx_gt_u32_e64 s27, v16
; %bb.126:
	v_add_nc_u32_e32 v16, 8, v1
	s_mov_b32 s10, exec_lo
	s_delay_alu instid0(VALU_DEP_1)
	v_cmpx_gt_u32_e64 s27, v16
	s_or_b32 exec_lo, exec_lo, s10
; %bb.127:
	s_delay_alu instid0(SALU_CYCLE_1)
	s_or_b32 exec_lo, exec_lo, s9
.LBB10_128:
	s_delay_alu instid0(SALU_CYCLE_1)
	s_or_b32 exec_lo, exec_lo, s8
.LBB10_129:
	s_delay_alu instid0(SALU_CYCLE_1)
	s_or_b32 exec_lo, exec_lo, s7
.LBB10_130:
	s_delay_alu instid0(SALU_CYCLE_1)
	s_or_b32 exec_lo, exec_lo, s6
.LBB10_131:
	s_delay_alu instid0(SALU_CYCLE_1)
	s_or_b32 exec_lo, exec_lo, s5
.LBB10_132:
	s_delay_alu instid0(SALU_CYCLE_1)
	s_or_b32 exec_lo, exec_lo, s4
.LBB10_133:
	s_delay_alu instid0(SALU_CYCLE_1)
	s_or_b32 exec_lo, exec_lo, s3
.LBB10_134:
	s_delay_alu instid0(SALU_CYCLE_1)
	s_or_b32 exec_lo, exec_lo, s2
	v_dual_lshlrev_b32 v1, 2, v1 :: v_dual_mov_b32 v21, 0
	s_barrier_signal -1
	s_barrier_wait -1
	ds_store_b128 v1, v[6:9]
	ds_store_b128 v1, v[2:5] offset:16
	ds_store_b128 v1, v[10:13] offset:32
	v_mad_i32_i24 v6, 0xffffffd4, v0, v1
	s_wait_dscnt 0x0
	s_barrier_signal -1
	s_barrier_wait -1
	ds_load_2addr_stride64_b32 v[28:29], v6 offset0:4 offset1:8
	ds_load_2addr_stride64_b32 v[26:27], v6 offset0:12 offset1:16
	;; [unrolled: 1-line block ×5, first 2 shown]
	ds_load_b32 v7, v6 offset:11264
	v_add_nc_u64_e32 v[18:19], s[0:1], v[20:21]
	s_mov_b32 s2, exec_lo
	v_cmpx_gt_u32_e64 s27, v0
	s_cbranch_execz .LBB10_136
; %bb.135:
	v_mul_i32_i24_e32 v6, 0xffffffd4, v0
	s_delay_alu instid0(VALU_DEP_1)
	v_add_nc_u32_e32 v1, v1, v6
	ds_load_b32 v1, v1
	s_wait_dscnt 0x0
	global_store_b32 v[18:19], v1, off
.LBB10_136:
	s_wait_xcnt 0x0
	s_or_b32 exec_lo, exec_lo, s2
	v_or_b32_e32 v1, 0x100, v0
	s_mov_b32 s2, exec_lo
	s_delay_alu instid0(VALU_DEP_1)
	v_cmpx_gt_u32_e64 s27, v1
	s_cbranch_execz .LBB10_138
; %bb.137:
	s_wait_dscnt 0x5
	global_store_b32 v[18:19], v28, off offset:1024
.LBB10_138:
	s_wait_xcnt 0x0
	s_or_b32 exec_lo, exec_lo, s2
	v_or_b32_e32 v1, 0x200, v0
	s_mov_b32 s2, exec_lo
	s_delay_alu instid0(VALU_DEP_1)
	v_cmpx_gt_u32_e64 s27, v1
	s_cbranch_execz .LBB10_140
; %bb.139:
	s_wait_dscnt 0x5
	global_store_b32 v[18:19], v29, off offset:2048
.LBB10_140:
	;; [unrolled: 11-line block ×10, first 2 shown]
	s_wait_xcnt 0x0
	s_or_b32 exec_lo, exec_lo, s2
	v_or_b32_e32 v1, 0xb00, v0
	s_delay_alu instid0(VALU_DEP_1)
	v_cmp_gt_u32_e64 s2, s27, v1
	s_branch .LBB10_159
.LBB10_157:
	s_mov_b32 s2, 0
                                        ; implicit-def: $vgpr7
	s_cbranch_execz .LBB10_159
; %bb.158:
	v_mul_u32_u24_e32 v1, 48, v0
	s_wait_dscnt 0x1
	v_dual_mov_b32 v16, v8 :: v_dual_mov_b32 v17, v9
	v_mul_i32_i24_e32 v6, 0xffffffd4, v0
	s_wait_storecnt_dscnt 0x0
	s_barrier_signal -1
	s_barrier_wait -1
	ds_store_b128 v1, v[14:17]
	ds_store_b128 v1, v[2:5] offset:16
	ds_store_b128 v1, v[10:13] offset:32
	v_mad_u32_u24 v1, v0, 48, v6
	s_wait_dscnt 0x0
	s_barrier_signal -1
	s_barrier_wait -1
	ds_load_2addr_stride64_b32 v[2:3], v1 offset1:4
	ds_load_2addr_stride64_b32 v[4:5], v1 offset0:8 offset1:12
	ds_load_2addr_stride64_b32 v[8:9], v1 offset0:16 offset1:20
	ds_load_2addr_stride64_b32 v[10:11], v1 offset0:24 offset1:28
	ds_load_2addr_stride64_b32 v[12:13], v1 offset0:32 offset1:36
	ds_load_2addr_stride64_b32 v[6:7], v1 offset0:40 offset1:44
	s_or_b32 s2, s2, exec_lo
	s_wait_dscnt 0x5
	s_clause 0x1
	global_store_b32 v0, v2, s[0:1] scale_offset
	global_store_b32 v0, v3, s[0:1] offset:1024 scale_offset
	s_wait_dscnt 0x4
	s_clause 0x1
	global_store_b32 v0, v4, s[0:1] offset:2048 scale_offset
	global_store_b32 v0, v5, s[0:1] offset:3072 scale_offset
	s_wait_dscnt 0x3
	s_clause 0x1
	global_store_b32 v0, v8, s[0:1] offset:4096 scale_offset
	;; [unrolled: 4-line block ×4, first 2 shown]
	global_store_b32 v0, v13, s[0:1] offset:9216 scale_offset
	s_wait_dscnt 0x0
	global_store_b32 v0, v6, s[0:1] offset:10240 scale_offset
.LBB10_159:
	s_wait_xcnt 0x0
	s_delay_alu instid0(VALU_DEP_1)
	s_and_saveexec_b32 s3, s2
	s_cbranch_execnz .LBB10_161
; %bb.160:
	s_endpgm
.LBB10_161:
	s_wait_dscnt 0x0
	global_store_b32 v0, v7, s[0:1] offset:11264 scale_offset
	s_endpgm
	.section	.rodata,"a",@progbits
	.p2align	6, 0x0
	.amdhsa_kernel _ZN7rocprim17ROCPRIM_400000_NS6detail17trampoline_kernelINS0_14default_configENS1_27scan_by_key_config_selectorIiiEEZZNS1_16scan_by_key_implILNS1_25lookback_scan_determinismE0ELb0ES3_PKiN6hipcub16HIPCUB_304000_NS21ConstantInputIteratorIilEEPiiNSB_3SumENSB_8EqualityEiEE10hipError_tPvRmT2_T3_T4_T5_mT6_T7_P12ihipStream_tbENKUlT_T0_E_clISt17integral_constantIbLb0EESX_EEDaSS_ST_EUlSS_E_NS1_11comp_targetILNS1_3genE0ELNS1_11target_archE4294967295ELNS1_3gpuE0ELNS1_3repE0EEENS1_30default_config_static_selectorELNS0_4arch9wavefront6targetE0EEEvT1_
		.amdhsa_group_segment_fixed_size 14336
		.amdhsa_private_segment_fixed_size 0
		.amdhsa_kernarg_size 120
		.amdhsa_user_sgpr_count 2
		.amdhsa_user_sgpr_dispatch_ptr 0
		.amdhsa_user_sgpr_queue_ptr 0
		.amdhsa_user_sgpr_kernarg_segment_ptr 1
		.amdhsa_user_sgpr_dispatch_id 0
		.amdhsa_user_sgpr_kernarg_preload_length 0
		.amdhsa_user_sgpr_kernarg_preload_offset 0
		.amdhsa_user_sgpr_private_segment_size 0
		.amdhsa_wavefront_size32 1
		.amdhsa_uses_dynamic_stack 0
		.amdhsa_enable_private_segment 0
		.amdhsa_system_sgpr_workgroup_id_x 1
		.amdhsa_system_sgpr_workgroup_id_y 0
		.amdhsa_system_sgpr_workgroup_id_z 0
		.amdhsa_system_sgpr_workgroup_info 0
		.amdhsa_system_vgpr_workitem_id 0
		.amdhsa_next_free_vgpr 60
		.amdhsa_next_free_sgpr 39
		.amdhsa_named_barrier_count 0
		.amdhsa_reserve_vcc 1
		.amdhsa_float_round_mode_32 0
		.amdhsa_float_round_mode_16_64 0
		.amdhsa_float_denorm_mode_32 3
		.amdhsa_float_denorm_mode_16_64 3
		.amdhsa_fp16_overflow 0
		.amdhsa_memory_ordered 1
		.amdhsa_forward_progress 1
		.amdhsa_inst_pref_size 89
		.amdhsa_round_robin_scheduling 0
		.amdhsa_exception_fp_ieee_invalid_op 0
		.amdhsa_exception_fp_denorm_src 0
		.amdhsa_exception_fp_ieee_div_zero 0
		.amdhsa_exception_fp_ieee_overflow 0
		.amdhsa_exception_fp_ieee_underflow 0
		.amdhsa_exception_fp_ieee_inexact 0
		.amdhsa_exception_int_div_zero 0
	.end_amdhsa_kernel
	.section	.text._ZN7rocprim17ROCPRIM_400000_NS6detail17trampoline_kernelINS0_14default_configENS1_27scan_by_key_config_selectorIiiEEZZNS1_16scan_by_key_implILNS1_25lookback_scan_determinismE0ELb0ES3_PKiN6hipcub16HIPCUB_304000_NS21ConstantInputIteratorIilEEPiiNSB_3SumENSB_8EqualityEiEE10hipError_tPvRmT2_T3_T4_T5_mT6_T7_P12ihipStream_tbENKUlT_T0_E_clISt17integral_constantIbLb0EESX_EEDaSS_ST_EUlSS_E_NS1_11comp_targetILNS1_3genE0ELNS1_11target_archE4294967295ELNS1_3gpuE0ELNS1_3repE0EEENS1_30default_config_static_selectorELNS0_4arch9wavefront6targetE0EEEvT1_,"axG",@progbits,_ZN7rocprim17ROCPRIM_400000_NS6detail17trampoline_kernelINS0_14default_configENS1_27scan_by_key_config_selectorIiiEEZZNS1_16scan_by_key_implILNS1_25lookback_scan_determinismE0ELb0ES3_PKiN6hipcub16HIPCUB_304000_NS21ConstantInputIteratorIilEEPiiNSB_3SumENSB_8EqualityEiEE10hipError_tPvRmT2_T3_T4_T5_mT6_T7_P12ihipStream_tbENKUlT_T0_E_clISt17integral_constantIbLb0EESX_EEDaSS_ST_EUlSS_E_NS1_11comp_targetILNS1_3genE0ELNS1_11target_archE4294967295ELNS1_3gpuE0ELNS1_3repE0EEENS1_30default_config_static_selectorELNS0_4arch9wavefront6targetE0EEEvT1_,comdat
.Lfunc_end10:
	.size	_ZN7rocprim17ROCPRIM_400000_NS6detail17trampoline_kernelINS0_14default_configENS1_27scan_by_key_config_selectorIiiEEZZNS1_16scan_by_key_implILNS1_25lookback_scan_determinismE0ELb0ES3_PKiN6hipcub16HIPCUB_304000_NS21ConstantInputIteratorIilEEPiiNSB_3SumENSB_8EqualityEiEE10hipError_tPvRmT2_T3_T4_T5_mT6_T7_P12ihipStream_tbENKUlT_T0_E_clISt17integral_constantIbLb0EESX_EEDaSS_ST_EUlSS_E_NS1_11comp_targetILNS1_3genE0ELNS1_11target_archE4294967295ELNS1_3gpuE0ELNS1_3repE0EEENS1_30default_config_static_selectorELNS0_4arch9wavefront6targetE0EEEvT1_, .Lfunc_end10-_ZN7rocprim17ROCPRIM_400000_NS6detail17trampoline_kernelINS0_14default_configENS1_27scan_by_key_config_selectorIiiEEZZNS1_16scan_by_key_implILNS1_25lookback_scan_determinismE0ELb0ES3_PKiN6hipcub16HIPCUB_304000_NS21ConstantInputIteratorIilEEPiiNSB_3SumENSB_8EqualityEiEE10hipError_tPvRmT2_T3_T4_T5_mT6_T7_P12ihipStream_tbENKUlT_T0_E_clISt17integral_constantIbLb0EESX_EEDaSS_ST_EUlSS_E_NS1_11comp_targetILNS1_3genE0ELNS1_11target_archE4294967295ELNS1_3gpuE0ELNS1_3repE0EEENS1_30default_config_static_selectorELNS0_4arch9wavefront6targetE0EEEvT1_
                                        ; -- End function
	.set _ZN7rocprim17ROCPRIM_400000_NS6detail17trampoline_kernelINS0_14default_configENS1_27scan_by_key_config_selectorIiiEEZZNS1_16scan_by_key_implILNS1_25lookback_scan_determinismE0ELb0ES3_PKiN6hipcub16HIPCUB_304000_NS21ConstantInputIteratorIilEEPiiNSB_3SumENSB_8EqualityEiEE10hipError_tPvRmT2_T3_T4_T5_mT6_T7_P12ihipStream_tbENKUlT_T0_E_clISt17integral_constantIbLb0EESX_EEDaSS_ST_EUlSS_E_NS1_11comp_targetILNS1_3genE0ELNS1_11target_archE4294967295ELNS1_3gpuE0ELNS1_3repE0EEENS1_30default_config_static_selectorELNS0_4arch9wavefront6targetE0EEEvT1_.num_vgpr, 60
	.set _ZN7rocprim17ROCPRIM_400000_NS6detail17trampoline_kernelINS0_14default_configENS1_27scan_by_key_config_selectorIiiEEZZNS1_16scan_by_key_implILNS1_25lookback_scan_determinismE0ELb0ES3_PKiN6hipcub16HIPCUB_304000_NS21ConstantInputIteratorIilEEPiiNSB_3SumENSB_8EqualityEiEE10hipError_tPvRmT2_T3_T4_T5_mT6_T7_P12ihipStream_tbENKUlT_T0_E_clISt17integral_constantIbLb0EESX_EEDaSS_ST_EUlSS_E_NS1_11comp_targetILNS1_3genE0ELNS1_11target_archE4294967295ELNS1_3gpuE0ELNS1_3repE0EEENS1_30default_config_static_selectorELNS0_4arch9wavefront6targetE0EEEvT1_.num_agpr, 0
	.set _ZN7rocprim17ROCPRIM_400000_NS6detail17trampoline_kernelINS0_14default_configENS1_27scan_by_key_config_selectorIiiEEZZNS1_16scan_by_key_implILNS1_25lookback_scan_determinismE0ELb0ES3_PKiN6hipcub16HIPCUB_304000_NS21ConstantInputIteratorIilEEPiiNSB_3SumENSB_8EqualityEiEE10hipError_tPvRmT2_T3_T4_T5_mT6_T7_P12ihipStream_tbENKUlT_T0_E_clISt17integral_constantIbLb0EESX_EEDaSS_ST_EUlSS_E_NS1_11comp_targetILNS1_3genE0ELNS1_11target_archE4294967295ELNS1_3gpuE0ELNS1_3repE0EEENS1_30default_config_static_selectorELNS0_4arch9wavefront6targetE0EEEvT1_.numbered_sgpr, 39
	.set _ZN7rocprim17ROCPRIM_400000_NS6detail17trampoline_kernelINS0_14default_configENS1_27scan_by_key_config_selectorIiiEEZZNS1_16scan_by_key_implILNS1_25lookback_scan_determinismE0ELb0ES3_PKiN6hipcub16HIPCUB_304000_NS21ConstantInputIteratorIilEEPiiNSB_3SumENSB_8EqualityEiEE10hipError_tPvRmT2_T3_T4_T5_mT6_T7_P12ihipStream_tbENKUlT_T0_E_clISt17integral_constantIbLb0EESX_EEDaSS_ST_EUlSS_E_NS1_11comp_targetILNS1_3genE0ELNS1_11target_archE4294967295ELNS1_3gpuE0ELNS1_3repE0EEENS1_30default_config_static_selectorELNS0_4arch9wavefront6targetE0EEEvT1_.num_named_barrier, 0
	.set _ZN7rocprim17ROCPRIM_400000_NS6detail17trampoline_kernelINS0_14default_configENS1_27scan_by_key_config_selectorIiiEEZZNS1_16scan_by_key_implILNS1_25lookback_scan_determinismE0ELb0ES3_PKiN6hipcub16HIPCUB_304000_NS21ConstantInputIteratorIilEEPiiNSB_3SumENSB_8EqualityEiEE10hipError_tPvRmT2_T3_T4_T5_mT6_T7_P12ihipStream_tbENKUlT_T0_E_clISt17integral_constantIbLb0EESX_EEDaSS_ST_EUlSS_E_NS1_11comp_targetILNS1_3genE0ELNS1_11target_archE4294967295ELNS1_3gpuE0ELNS1_3repE0EEENS1_30default_config_static_selectorELNS0_4arch9wavefront6targetE0EEEvT1_.private_seg_size, 0
	.set _ZN7rocprim17ROCPRIM_400000_NS6detail17trampoline_kernelINS0_14default_configENS1_27scan_by_key_config_selectorIiiEEZZNS1_16scan_by_key_implILNS1_25lookback_scan_determinismE0ELb0ES3_PKiN6hipcub16HIPCUB_304000_NS21ConstantInputIteratorIilEEPiiNSB_3SumENSB_8EqualityEiEE10hipError_tPvRmT2_T3_T4_T5_mT6_T7_P12ihipStream_tbENKUlT_T0_E_clISt17integral_constantIbLb0EESX_EEDaSS_ST_EUlSS_E_NS1_11comp_targetILNS1_3genE0ELNS1_11target_archE4294967295ELNS1_3gpuE0ELNS1_3repE0EEENS1_30default_config_static_selectorELNS0_4arch9wavefront6targetE0EEEvT1_.uses_vcc, 1
	.set _ZN7rocprim17ROCPRIM_400000_NS6detail17trampoline_kernelINS0_14default_configENS1_27scan_by_key_config_selectorIiiEEZZNS1_16scan_by_key_implILNS1_25lookback_scan_determinismE0ELb0ES3_PKiN6hipcub16HIPCUB_304000_NS21ConstantInputIteratorIilEEPiiNSB_3SumENSB_8EqualityEiEE10hipError_tPvRmT2_T3_T4_T5_mT6_T7_P12ihipStream_tbENKUlT_T0_E_clISt17integral_constantIbLb0EESX_EEDaSS_ST_EUlSS_E_NS1_11comp_targetILNS1_3genE0ELNS1_11target_archE4294967295ELNS1_3gpuE0ELNS1_3repE0EEENS1_30default_config_static_selectorELNS0_4arch9wavefront6targetE0EEEvT1_.uses_flat_scratch, 0
	.set _ZN7rocprim17ROCPRIM_400000_NS6detail17trampoline_kernelINS0_14default_configENS1_27scan_by_key_config_selectorIiiEEZZNS1_16scan_by_key_implILNS1_25lookback_scan_determinismE0ELb0ES3_PKiN6hipcub16HIPCUB_304000_NS21ConstantInputIteratorIilEEPiiNSB_3SumENSB_8EqualityEiEE10hipError_tPvRmT2_T3_T4_T5_mT6_T7_P12ihipStream_tbENKUlT_T0_E_clISt17integral_constantIbLb0EESX_EEDaSS_ST_EUlSS_E_NS1_11comp_targetILNS1_3genE0ELNS1_11target_archE4294967295ELNS1_3gpuE0ELNS1_3repE0EEENS1_30default_config_static_selectorELNS0_4arch9wavefront6targetE0EEEvT1_.has_dyn_sized_stack, 0
	.set _ZN7rocprim17ROCPRIM_400000_NS6detail17trampoline_kernelINS0_14default_configENS1_27scan_by_key_config_selectorIiiEEZZNS1_16scan_by_key_implILNS1_25lookback_scan_determinismE0ELb0ES3_PKiN6hipcub16HIPCUB_304000_NS21ConstantInputIteratorIilEEPiiNSB_3SumENSB_8EqualityEiEE10hipError_tPvRmT2_T3_T4_T5_mT6_T7_P12ihipStream_tbENKUlT_T0_E_clISt17integral_constantIbLb0EESX_EEDaSS_ST_EUlSS_E_NS1_11comp_targetILNS1_3genE0ELNS1_11target_archE4294967295ELNS1_3gpuE0ELNS1_3repE0EEENS1_30default_config_static_selectorELNS0_4arch9wavefront6targetE0EEEvT1_.has_recursion, 0
	.set _ZN7rocprim17ROCPRIM_400000_NS6detail17trampoline_kernelINS0_14default_configENS1_27scan_by_key_config_selectorIiiEEZZNS1_16scan_by_key_implILNS1_25lookback_scan_determinismE0ELb0ES3_PKiN6hipcub16HIPCUB_304000_NS21ConstantInputIteratorIilEEPiiNSB_3SumENSB_8EqualityEiEE10hipError_tPvRmT2_T3_T4_T5_mT6_T7_P12ihipStream_tbENKUlT_T0_E_clISt17integral_constantIbLb0EESX_EEDaSS_ST_EUlSS_E_NS1_11comp_targetILNS1_3genE0ELNS1_11target_archE4294967295ELNS1_3gpuE0ELNS1_3repE0EEENS1_30default_config_static_selectorELNS0_4arch9wavefront6targetE0EEEvT1_.has_indirect_call, 0
	.section	.AMDGPU.csdata,"",@progbits
; Kernel info:
; codeLenInByte = 11324
; TotalNumSgprs: 41
; NumVgprs: 60
; ScratchSize: 0
; MemoryBound: 0
; FloatMode: 240
; IeeeMode: 1
; LDSByteSize: 14336 bytes/workgroup (compile time only)
; SGPRBlocks: 0
; VGPRBlocks: 3
; NumSGPRsForWavesPerEU: 41
; NumVGPRsForWavesPerEU: 60
; NamedBarCnt: 0
; Occupancy: 16
; WaveLimiterHint : 1
; COMPUTE_PGM_RSRC2:SCRATCH_EN: 0
; COMPUTE_PGM_RSRC2:USER_SGPR: 2
; COMPUTE_PGM_RSRC2:TRAP_HANDLER: 0
; COMPUTE_PGM_RSRC2:TGID_X_EN: 1
; COMPUTE_PGM_RSRC2:TGID_Y_EN: 0
; COMPUTE_PGM_RSRC2:TGID_Z_EN: 0
; COMPUTE_PGM_RSRC2:TIDIG_COMP_CNT: 0
	.section	.text._ZN7rocprim17ROCPRIM_400000_NS6detail17trampoline_kernelINS0_14default_configENS1_27scan_by_key_config_selectorIiiEEZZNS1_16scan_by_key_implILNS1_25lookback_scan_determinismE0ELb0ES3_PKiN6hipcub16HIPCUB_304000_NS21ConstantInputIteratorIilEEPiiNSB_3SumENSB_8EqualityEiEE10hipError_tPvRmT2_T3_T4_T5_mT6_T7_P12ihipStream_tbENKUlT_T0_E_clISt17integral_constantIbLb0EESX_EEDaSS_ST_EUlSS_E_NS1_11comp_targetILNS1_3genE10ELNS1_11target_archE1201ELNS1_3gpuE5ELNS1_3repE0EEENS1_30default_config_static_selectorELNS0_4arch9wavefront6targetE0EEEvT1_,"axG",@progbits,_ZN7rocprim17ROCPRIM_400000_NS6detail17trampoline_kernelINS0_14default_configENS1_27scan_by_key_config_selectorIiiEEZZNS1_16scan_by_key_implILNS1_25lookback_scan_determinismE0ELb0ES3_PKiN6hipcub16HIPCUB_304000_NS21ConstantInputIteratorIilEEPiiNSB_3SumENSB_8EqualityEiEE10hipError_tPvRmT2_T3_T4_T5_mT6_T7_P12ihipStream_tbENKUlT_T0_E_clISt17integral_constantIbLb0EESX_EEDaSS_ST_EUlSS_E_NS1_11comp_targetILNS1_3genE10ELNS1_11target_archE1201ELNS1_3gpuE5ELNS1_3repE0EEENS1_30default_config_static_selectorELNS0_4arch9wavefront6targetE0EEEvT1_,comdat
	.protected	_ZN7rocprim17ROCPRIM_400000_NS6detail17trampoline_kernelINS0_14default_configENS1_27scan_by_key_config_selectorIiiEEZZNS1_16scan_by_key_implILNS1_25lookback_scan_determinismE0ELb0ES3_PKiN6hipcub16HIPCUB_304000_NS21ConstantInputIteratorIilEEPiiNSB_3SumENSB_8EqualityEiEE10hipError_tPvRmT2_T3_T4_T5_mT6_T7_P12ihipStream_tbENKUlT_T0_E_clISt17integral_constantIbLb0EESX_EEDaSS_ST_EUlSS_E_NS1_11comp_targetILNS1_3genE10ELNS1_11target_archE1201ELNS1_3gpuE5ELNS1_3repE0EEENS1_30default_config_static_selectorELNS0_4arch9wavefront6targetE0EEEvT1_ ; -- Begin function _ZN7rocprim17ROCPRIM_400000_NS6detail17trampoline_kernelINS0_14default_configENS1_27scan_by_key_config_selectorIiiEEZZNS1_16scan_by_key_implILNS1_25lookback_scan_determinismE0ELb0ES3_PKiN6hipcub16HIPCUB_304000_NS21ConstantInputIteratorIilEEPiiNSB_3SumENSB_8EqualityEiEE10hipError_tPvRmT2_T3_T4_T5_mT6_T7_P12ihipStream_tbENKUlT_T0_E_clISt17integral_constantIbLb0EESX_EEDaSS_ST_EUlSS_E_NS1_11comp_targetILNS1_3genE10ELNS1_11target_archE1201ELNS1_3gpuE5ELNS1_3repE0EEENS1_30default_config_static_selectorELNS0_4arch9wavefront6targetE0EEEvT1_
	.globl	_ZN7rocprim17ROCPRIM_400000_NS6detail17trampoline_kernelINS0_14default_configENS1_27scan_by_key_config_selectorIiiEEZZNS1_16scan_by_key_implILNS1_25lookback_scan_determinismE0ELb0ES3_PKiN6hipcub16HIPCUB_304000_NS21ConstantInputIteratorIilEEPiiNSB_3SumENSB_8EqualityEiEE10hipError_tPvRmT2_T3_T4_T5_mT6_T7_P12ihipStream_tbENKUlT_T0_E_clISt17integral_constantIbLb0EESX_EEDaSS_ST_EUlSS_E_NS1_11comp_targetILNS1_3genE10ELNS1_11target_archE1201ELNS1_3gpuE5ELNS1_3repE0EEENS1_30default_config_static_selectorELNS0_4arch9wavefront6targetE0EEEvT1_
	.p2align	8
	.type	_ZN7rocprim17ROCPRIM_400000_NS6detail17trampoline_kernelINS0_14default_configENS1_27scan_by_key_config_selectorIiiEEZZNS1_16scan_by_key_implILNS1_25lookback_scan_determinismE0ELb0ES3_PKiN6hipcub16HIPCUB_304000_NS21ConstantInputIteratorIilEEPiiNSB_3SumENSB_8EqualityEiEE10hipError_tPvRmT2_T3_T4_T5_mT6_T7_P12ihipStream_tbENKUlT_T0_E_clISt17integral_constantIbLb0EESX_EEDaSS_ST_EUlSS_E_NS1_11comp_targetILNS1_3genE10ELNS1_11target_archE1201ELNS1_3gpuE5ELNS1_3repE0EEENS1_30default_config_static_selectorELNS0_4arch9wavefront6targetE0EEEvT1_,@function
_ZN7rocprim17ROCPRIM_400000_NS6detail17trampoline_kernelINS0_14default_configENS1_27scan_by_key_config_selectorIiiEEZZNS1_16scan_by_key_implILNS1_25lookback_scan_determinismE0ELb0ES3_PKiN6hipcub16HIPCUB_304000_NS21ConstantInputIteratorIilEEPiiNSB_3SumENSB_8EqualityEiEE10hipError_tPvRmT2_T3_T4_T5_mT6_T7_P12ihipStream_tbENKUlT_T0_E_clISt17integral_constantIbLb0EESX_EEDaSS_ST_EUlSS_E_NS1_11comp_targetILNS1_3genE10ELNS1_11target_archE1201ELNS1_3gpuE5ELNS1_3repE0EEENS1_30default_config_static_selectorELNS0_4arch9wavefront6targetE0EEEvT1_: ; @_ZN7rocprim17ROCPRIM_400000_NS6detail17trampoline_kernelINS0_14default_configENS1_27scan_by_key_config_selectorIiiEEZZNS1_16scan_by_key_implILNS1_25lookback_scan_determinismE0ELb0ES3_PKiN6hipcub16HIPCUB_304000_NS21ConstantInputIteratorIilEEPiiNSB_3SumENSB_8EqualityEiEE10hipError_tPvRmT2_T3_T4_T5_mT6_T7_P12ihipStream_tbENKUlT_T0_E_clISt17integral_constantIbLb0EESX_EEDaSS_ST_EUlSS_E_NS1_11comp_targetILNS1_3genE10ELNS1_11target_archE1201ELNS1_3gpuE5ELNS1_3repE0EEENS1_30default_config_static_selectorELNS0_4arch9wavefront6targetE0EEEvT1_
; %bb.0:
	.section	.rodata,"a",@progbits
	.p2align	6, 0x0
	.amdhsa_kernel _ZN7rocprim17ROCPRIM_400000_NS6detail17trampoline_kernelINS0_14default_configENS1_27scan_by_key_config_selectorIiiEEZZNS1_16scan_by_key_implILNS1_25lookback_scan_determinismE0ELb0ES3_PKiN6hipcub16HIPCUB_304000_NS21ConstantInputIteratorIilEEPiiNSB_3SumENSB_8EqualityEiEE10hipError_tPvRmT2_T3_T4_T5_mT6_T7_P12ihipStream_tbENKUlT_T0_E_clISt17integral_constantIbLb0EESX_EEDaSS_ST_EUlSS_E_NS1_11comp_targetILNS1_3genE10ELNS1_11target_archE1201ELNS1_3gpuE5ELNS1_3repE0EEENS1_30default_config_static_selectorELNS0_4arch9wavefront6targetE0EEEvT1_
		.amdhsa_group_segment_fixed_size 0
		.amdhsa_private_segment_fixed_size 0
		.amdhsa_kernarg_size 120
		.amdhsa_user_sgpr_count 2
		.amdhsa_user_sgpr_dispatch_ptr 0
		.amdhsa_user_sgpr_queue_ptr 0
		.amdhsa_user_sgpr_kernarg_segment_ptr 1
		.amdhsa_user_sgpr_dispatch_id 0
		.amdhsa_user_sgpr_kernarg_preload_length 0
		.amdhsa_user_sgpr_kernarg_preload_offset 0
		.amdhsa_user_sgpr_private_segment_size 0
		.amdhsa_wavefront_size32 1
		.amdhsa_uses_dynamic_stack 0
		.amdhsa_enable_private_segment 0
		.amdhsa_system_sgpr_workgroup_id_x 1
		.amdhsa_system_sgpr_workgroup_id_y 0
		.amdhsa_system_sgpr_workgroup_id_z 0
		.amdhsa_system_sgpr_workgroup_info 0
		.amdhsa_system_vgpr_workitem_id 0
		.amdhsa_next_free_vgpr 1
		.amdhsa_next_free_sgpr 1
		.amdhsa_named_barrier_count 0
		.amdhsa_reserve_vcc 0
		.amdhsa_float_round_mode_32 0
		.amdhsa_float_round_mode_16_64 0
		.amdhsa_float_denorm_mode_32 3
		.amdhsa_float_denorm_mode_16_64 3
		.amdhsa_fp16_overflow 0
		.amdhsa_memory_ordered 1
		.amdhsa_forward_progress 1
		.amdhsa_inst_pref_size 0
		.amdhsa_round_robin_scheduling 0
		.amdhsa_exception_fp_ieee_invalid_op 0
		.amdhsa_exception_fp_denorm_src 0
		.amdhsa_exception_fp_ieee_div_zero 0
		.amdhsa_exception_fp_ieee_overflow 0
		.amdhsa_exception_fp_ieee_underflow 0
		.amdhsa_exception_fp_ieee_inexact 0
		.amdhsa_exception_int_div_zero 0
	.end_amdhsa_kernel
	.section	.text._ZN7rocprim17ROCPRIM_400000_NS6detail17trampoline_kernelINS0_14default_configENS1_27scan_by_key_config_selectorIiiEEZZNS1_16scan_by_key_implILNS1_25lookback_scan_determinismE0ELb0ES3_PKiN6hipcub16HIPCUB_304000_NS21ConstantInputIteratorIilEEPiiNSB_3SumENSB_8EqualityEiEE10hipError_tPvRmT2_T3_T4_T5_mT6_T7_P12ihipStream_tbENKUlT_T0_E_clISt17integral_constantIbLb0EESX_EEDaSS_ST_EUlSS_E_NS1_11comp_targetILNS1_3genE10ELNS1_11target_archE1201ELNS1_3gpuE5ELNS1_3repE0EEENS1_30default_config_static_selectorELNS0_4arch9wavefront6targetE0EEEvT1_,"axG",@progbits,_ZN7rocprim17ROCPRIM_400000_NS6detail17trampoline_kernelINS0_14default_configENS1_27scan_by_key_config_selectorIiiEEZZNS1_16scan_by_key_implILNS1_25lookback_scan_determinismE0ELb0ES3_PKiN6hipcub16HIPCUB_304000_NS21ConstantInputIteratorIilEEPiiNSB_3SumENSB_8EqualityEiEE10hipError_tPvRmT2_T3_T4_T5_mT6_T7_P12ihipStream_tbENKUlT_T0_E_clISt17integral_constantIbLb0EESX_EEDaSS_ST_EUlSS_E_NS1_11comp_targetILNS1_3genE10ELNS1_11target_archE1201ELNS1_3gpuE5ELNS1_3repE0EEENS1_30default_config_static_selectorELNS0_4arch9wavefront6targetE0EEEvT1_,comdat
.Lfunc_end11:
	.size	_ZN7rocprim17ROCPRIM_400000_NS6detail17trampoline_kernelINS0_14default_configENS1_27scan_by_key_config_selectorIiiEEZZNS1_16scan_by_key_implILNS1_25lookback_scan_determinismE0ELb0ES3_PKiN6hipcub16HIPCUB_304000_NS21ConstantInputIteratorIilEEPiiNSB_3SumENSB_8EqualityEiEE10hipError_tPvRmT2_T3_T4_T5_mT6_T7_P12ihipStream_tbENKUlT_T0_E_clISt17integral_constantIbLb0EESX_EEDaSS_ST_EUlSS_E_NS1_11comp_targetILNS1_3genE10ELNS1_11target_archE1201ELNS1_3gpuE5ELNS1_3repE0EEENS1_30default_config_static_selectorELNS0_4arch9wavefront6targetE0EEEvT1_, .Lfunc_end11-_ZN7rocprim17ROCPRIM_400000_NS6detail17trampoline_kernelINS0_14default_configENS1_27scan_by_key_config_selectorIiiEEZZNS1_16scan_by_key_implILNS1_25lookback_scan_determinismE0ELb0ES3_PKiN6hipcub16HIPCUB_304000_NS21ConstantInputIteratorIilEEPiiNSB_3SumENSB_8EqualityEiEE10hipError_tPvRmT2_T3_T4_T5_mT6_T7_P12ihipStream_tbENKUlT_T0_E_clISt17integral_constantIbLb0EESX_EEDaSS_ST_EUlSS_E_NS1_11comp_targetILNS1_3genE10ELNS1_11target_archE1201ELNS1_3gpuE5ELNS1_3repE0EEENS1_30default_config_static_selectorELNS0_4arch9wavefront6targetE0EEEvT1_
                                        ; -- End function
	.set _ZN7rocprim17ROCPRIM_400000_NS6detail17trampoline_kernelINS0_14default_configENS1_27scan_by_key_config_selectorIiiEEZZNS1_16scan_by_key_implILNS1_25lookback_scan_determinismE0ELb0ES3_PKiN6hipcub16HIPCUB_304000_NS21ConstantInputIteratorIilEEPiiNSB_3SumENSB_8EqualityEiEE10hipError_tPvRmT2_T3_T4_T5_mT6_T7_P12ihipStream_tbENKUlT_T0_E_clISt17integral_constantIbLb0EESX_EEDaSS_ST_EUlSS_E_NS1_11comp_targetILNS1_3genE10ELNS1_11target_archE1201ELNS1_3gpuE5ELNS1_3repE0EEENS1_30default_config_static_selectorELNS0_4arch9wavefront6targetE0EEEvT1_.num_vgpr, 0
	.set _ZN7rocprim17ROCPRIM_400000_NS6detail17trampoline_kernelINS0_14default_configENS1_27scan_by_key_config_selectorIiiEEZZNS1_16scan_by_key_implILNS1_25lookback_scan_determinismE0ELb0ES3_PKiN6hipcub16HIPCUB_304000_NS21ConstantInputIteratorIilEEPiiNSB_3SumENSB_8EqualityEiEE10hipError_tPvRmT2_T3_T4_T5_mT6_T7_P12ihipStream_tbENKUlT_T0_E_clISt17integral_constantIbLb0EESX_EEDaSS_ST_EUlSS_E_NS1_11comp_targetILNS1_3genE10ELNS1_11target_archE1201ELNS1_3gpuE5ELNS1_3repE0EEENS1_30default_config_static_selectorELNS0_4arch9wavefront6targetE0EEEvT1_.num_agpr, 0
	.set _ZN7rocprim17ROCPRIM_400000_NS6detail17trampoline_kernelINS0_14default_configENS1_27scan_by_key_config_selectorIiiEEZZNS1_16scan_by_key_implILNS1_25lookback_scan_determinismE0ELb0ES3_PKiN6hipcub16HIPCUB_304000_NS21ConstantInputIteratorIilEEPiiNSB_3SumENSB_8EqualityEiEE10hipError_tPvRmT2_T3_T4_T5_mT6_T7_P12ihipStream_tbENKUlT_T0_E_clISt17integral_constantIbLb0EESX_EEDaSS_ST_EUlSS_E_NS1_11comp_targetILNS1_3genE10ELNS1_11target_archE1201ELNS1_3gpuE5ELNS1_3repE0EEENS1_30default_config_static_selectorELNS0_4arch9wavefront6targetE0EEEvT1_.numbered_sgpr, 0
	.set _ZN7rocprim17ROCPRIM_400000_NS6detail17trampoline_kernelINS0_14default_configENS1_27scan_by_key_config_selectorIiiEEZZNS1_16scan_by_key_implILNS1_25lookback_scan_determinismE0ELb0ES3_PKiN6hipcub16HIPCUB_304000_NS21ConstantInputIteratorIilEEPiiNSB_3SumENSB_8EqualityEiEE10hipError_tPvRmT2_T3_T4_T5_mT6_T7_P12ihipStream_tbENKUlT_T0_E_clISt17integral_constantIbLb0EESX_EEDaSS_ST_EUlSS_E_NS1_11comp_targetILNS1_3genE10ELNS1_11target_archE1201ELNS1_3gpuE5ELNS1_3repE0EEENS1_30default_config_static_selectorELNS0_4arch9wavefront6targetE0EEEvT1_.num_named_barrier, 0
	.set _ZN7rocprim17ROCPRIM_400000_NS6detail17trampoline_kernelINS0_14default_configENS1_27scan_by_key_config_selectorIiiEEZZNS1_16scan_by_key_implILNS1_25lookback_scan_determinismE0ELb0ES3_PKiN6hipcub16HIPCUB_304000_NS21ConstantInputIteratorIilEEPiiNSB_3SumENSB_8EqualityEiEE10hipError_tPvRmT2_T3_T4_T5_mT6_T7_P12ihipStream_tbENKUlT_T0_E_clISt17integral_constantIbLb0EESX_EEDaSS_ST_EUlSS_E_NS1_11comp_targetILNS1_3genE10ELNS1_11target_archE1201ELNS1_3gpuE5ELNS1_3repE0EEENS1_30default_config_static_selectorELNS0_4arch9wavefront6targetE0EEEvT1_.private_seg_size, 0
	.set _ZN7rocprim17ROCPRIM_400000_NS6detail17trampoline_kernelINS0_14default_configENS1_27scan_by_key_config_selectorIiiEEZZNS1_16scan_by_key_implILNS1_25lookback_scan_determinismE0ELb0ES3_PKiN6hipcub16HIPCUB_304000_NS21ConstantInputIteratorIilEEPiiNSB_3SumENSB_8EqualityEiEE10hipError_tPvRmT2_T3_T4_T5_mT6_T7_P12ihipStream_tbENKUlT_T0_E_clISt17integral_constantIbLb0EESX_EEDaSS_ST_EUlSS_E_NS1_11comp_targetILNS1_3genE10ELNS1_11target_archE1201ELNS1_3gpuE5ELNS1_3repE0EEENS1_30default_config_static_selectorELNS0_4arch9wavefront6targetE0EEEvT1_.uses_vcc, 0
	.set _ZN7rocprim17ROCPRIM_400000_NS6detail17trampoline_kernelINS0_14default_configENS1_27scan_by_key_config_selectorIiiEEZZNS1_16scan_by_key_implILNS1_25lookback_scan_determinismE0ELb0ES3_PKiN6hipcub16HIPCUB_304000_NS21ConstantInputIteratorIilEEPiiNSB_3SumENSB_8EqualityEiEE10hipError_tPvRmT2_T3_T4_T5_mT6_T7_P12ihipStream_tbENKUlT_T0_E_clISt17integral_constantIbLb0EESX_EEDaSS_ST_EUlSS_E_NS1_11comp_targetILNS1_3genE10ELNS1_11target_archE1201ELNS1_3gpuE5ELNS1_3repE0EEENS1_30default_config_static_selectorELNS0_4arch9wavefront6targetE0EEEvT1_.uses_flat_scratch, 0
	.set _ZN7rocprim17ROCPRIM_400000_NS6detail17trampoline_kernelINS0_14default_configENS1_27scan_by_key_config_selectorIiiEEZZNS1_16scan_by_key_implILNS1_25lookback_scan_determinismE0ELb0ES3_PKiN6hipcub16HIPCUB_304000_NS21ConstantInputIteratorIilEEPiiNSB_3SumENSB_8EqualityEiEE10hipError_tPvRmT2_T3_T4_T5_mT6_T7_P12ihipStream_tbENKUlT_T0_E_clISt17integral_constantIbLb0EESX_EEDaSS_ST_EUlSS_E_NS1_11comp_targetILNS1_3genE10ELNS1_11target_archE1201ELNS1_3gpuE5ELNS1_3repE0EEENS1_30default_config_static_selectorELNS0_4arch9wavefront6targetE0EEEvT1_.has_dyn_sized_stack, 0
	.set _ZN7rocprim17ROCPRIM_400000_NS6detail17trampoline_kernelINS0_14default_configENS1_27scan_by_key_config_selectorIiiEEZZNS1_16scan_by_key_implILNS1_25lookback_scan_determinismE0ELb0ES3_PKiN6hipcub16HIPCUB_304000_NS21ConstantInputIteratorIilEEPiiNSB_3SumENSB_8EqualityEiEE10hipError_tPvRmT2_T3_T4_T5_mT6_T7_P12ihipStream_tbENKUlT_T0_E_clISt17integral_constantIbLb0EESX_EEDaSS_ST_EUlSS_E_NS1_11comp_targetILNS1_3genE10ELNS1_11target_archE1201ELNS1_3gpuE5ELNS1_3repE0EEENS1_30default_config_static_selectorELNS0_4arch9wavefront6targetE0EEEvT1_.has_recursion, 0
	.set _ZN7rocprim17ROCPRIM_400000_NS6detail17trampoline_kernelINS0_14default_configENS1_27scan_by_key_config_selectorIiiEEZZNS1_16scan_by_key_implILNS1_25lookback_scan_determinismE0ELb0ES3_PKiN6hipcub16HIPCUB_304000_NS21ConstantInputIteratorIilEEPiiNSB_3SumENSB_8EqualityEiEE10hipError_tPvRmT2_T3_T4_T5_mT6_T7_P12ihipStream_tbENKUlT_T0_E_clISt17integral_constantIbLb0EESX_EEDaSS_ST_EUlSS_E_NS1_11comp_targetILNS1_3genE10ELNS1_11target_archE1201ELNS1_3gpuE5ELNS1_3repE0EEENS1_30default_config_static_selectorELNS0_4arch9wavefront6targetE0EEEvT1_.has_indirect_call, 0
	.section	.AMDGPU.csdata,"",@progbits
; Kernel info:
; codeLenInByte = 0
; TotalNumSgprs: 0
; NumVgprs: 0
; ScratchSize: 0
; MemoryBound: 0
; FloatMode: 240
; IeeeMode: 1
; LDSByteSize: 0 bytes/workgroup (compile time only)
; SGPRBlocks: 0
; VGPRBlocks: 0
; NumSGPRsForWavesPerEU: 1
; NumVGPRsForWavesPerEU: 1
; NamedBarCnt: 0
; Occupancy: 16
; WaveLimiterHint : 0
; COMPUTE_PGM_RSRC2:SCRATCH_EN: 0
; COMPUTE_PGM_RSRC2:USER_SGPR: 2
; COMPUTE_PGM_RSRC2:TRAP_HANDLER: 0
; COMPUTE_PGM_RSRC2:TGID_X_EN: 1
; COMPUTE_PGM_RSRC2:TGID_Y_EN: 0
; COMPUTE_PGM_RSRC2:TGID_Z_EN: 0
; COMPUTE_PGM_RSRC2:TIDIG_COMP_CNT: 0
	.section	.text._ZN7rocprim17ROCPRIM_400000_NS6detail17trampoline_kernelINS0_14default_configENS1_27scan_by_key_config_selectorIiiEEZZNS1_16scan_by_key_implILNS1_25lookback_scan_determinismE0ELb0ES3_PKiN6hipcub16HIPCUB_304000_NS21ConstantInputIteratorIilEEPiiNSB_3SumENSB_8EqualityEiEE10hipError_tPvRmT2_T3_T4_T5_mT6_T7_P12ihipStream_tbENKUlT_T0_E_clISt17integral_constantIbLb0EESX_EEDaSS_ST_EUlSS_E_NS1_11comp_targetILNS1_3genE5ELNS1_11target_archE942ELNS1_3gpuE9ELNS1_3repE0EEENS1_30default_config_static_selectorELNS0_4arch9wavefront6targetE0EEEvT1_,"axG",@progbits,_ZN7rocprim17ROCPRIM_400000_NS6detail17trampoline_kernelINS0_14default_configENS1_27scan_by_key_config_selectorIiiEEZZNS1_16scan_by_key_implILNS1_25lookback_scan_determinismE0ELb0ES3_PKiN6hipcub16HIPCUB_304000_NS21ConstantInputIteratorIilEEPiiNSB_3SumENSB_8EqualityEiEE10hipError_tPvRmT2_T3_T4_T5_mT6_T7_P12ihipStream_tbENKUlT_T0_E_clISt17integral_constantIbLb0EESX_EEDaSS_ST_EUlSS_E_NS1_11comp_targetILNS1_3genE5ELNS1_11target_archE942ELNS1_3gpuE9ELNS1_3repE0EEENS1_30default_config_static_selectorELNS0_4arch9wavefront6targetE0EEEvT1_,comdat
	.protected	_ZN7rocprim17ROCPRIM_400000_NS6detail17trampoline_kernelINS0_14default_configENS1_27scan_by_key_config_selectorIiiEEZZNS1_16scan_by_key_implILNS1_25lookback_scan_determinismE0ELb0ES3_PKiN6hipcub16HIPCUB_304000_NS21ConstantInputIteratorIilEEPiiNSB_3SumENSB_8EqualityEiEE10hipError_tPvRmT2_T3_T4_T5_mT6_T7_P12ihipStream_tbENKUlT_T0_E_clISt17integral_constantIbLb0EESX_EEDaSS_ST_EUlSS_E_NS1_11comp_targetILNS1_3genE5ELNS1_11target_archE942ELNS1_3gpuE9ELNS1_3repE0EEENS1_30default_config_static_selectorELNS0_4arch9wavefront6targetE0EEEvT1_ ; -- Begin function _ZN7rocprim17ROCPRIM_400000_NS6detail17trampoline_kernelINS0_14default_configENS1_27scan_by_key_config_selectorIiiEEZZNS1_16scan_by_key_implILNS1_25lookback_scan_determinismE0ELb0ES3_PKiN6hipcub16HIPCUB_304000_NS21ConstantInputIteratorIilEEPiiNSB_3SumENSB_8EqualityEiEE10hipError_tPvRmT2_T3_T4_T5_mT6_T7_P12ihipStream_tbENKUlT_T0_E_clISt17integral_constantIbLb0EESX_EEDaSS_ST_EUlSS_E_NS1_11comp_targetILNS1_3genE5ELNS1_11target_archE942ELNS1_3gpuE9ELNS1_3repE0EEENS1_30default_config_static_selectorELNS0_4arch9wavefront6targetE0EEEvT1_
	.globl	_ZN7rocprim17ROCPRIM_400000_NS6detail17trampoline_kernelINS0_14default_configENS1_27scan_by_key_config_selectorIiiEEZZNS1_16scan_by_key_implILNS1_25lookback_scan_determinismE0ELb0ES3_PKiN6hipcub16HIPCUB_304000_NS21ConstantInputIteratorIilEEPiiNSB_3SumENSB_8EqualityEiEE10hipError_tPvRmT2_T3_T4_T5_mT6_T7_P12ihipStream_tbENKUlT_T0_E_clISt17integral_constantIbLb0EESX_EEDaSS_ST_EUlSS_E_NS1_11comp_targetILNS1_3genE5ELNS1_11target_archE942ELNS1_3gpuE9ELNS1_3repE0EEENS1_30default_config_static_selectorELNS0_4arch9wavefront6targetE0EEEvT1_
	.p2align	8
	.type	_ZN7rocprim17ROCPRIM_400000_NS6detail17trampoline_kernelINS0_14default_configENS1_27scan_by_key_config_selectorIiiEEZZNS1_16scan_by_key_implILNS1_25lookback_scan_determinismE0ELb0ES3_PKiN6hipcub16HIPCUB_304000_NS21ConstantInputIteratorIilEEPiiNSB_3SumENSB_8EqualityEiEE10hipError_tPvRmT2_T3_T4_T5_mT6_T7_P12ihipStream_tbENKUlT_T0_E_clISt17integral_constantIbLb0EESX_EEDaSS_ST_EUlSS_E_NS1_11comp_targetILNS1_3genE5ELNS1_11target_archE942ELNS1_3gpuE9ELNS1_3repE0EEENS1_30default_config_static_selectorELNS0_4arch9wavefront6targetE0EEEvT1_,@function
_ZN7rocprim17ROCPRIM_400000_NS6detail17trampoline_kernelINS0_14default_configENS1_27scan_by_key_config_selectorIiiEEZZNS1_16scan_by_key_implILNS1_25lookback_scan_determinismE0ELb0ES3_PKiN6hipcub16HIPCUB_304000_NS21ConstantInputIteratorIilEEPiiNSB_3SumENSB_8EqualityEiEE10hipError_tPvRmT2_T3_T4_T5_mT6_T7_P12ihipStream_tbENKUlT_T0_E_clISt17integral_constantIbLb0EESX_EEDaSS_ST_EUlSS_E_NS1_11comp_targetILNS1_3genE5ELNS1_11target_archE942ELNS1_3gpuE9ELNS1_3repE0EEENS1_30default_config_static_selectorELNS0_4arch9wavefront6targetE0EEEvT1_: ; @_ZN7rocprim17ROCPRIM_400000_NS6detail17trampoline_kernelINS0_14default_configENS1_27scan_by_key_config_selectorIiiEEZZNS1_16scan_by_key_implILNS1_25lookback_scan_determinismE0ELb0ES3_PKiN6hipcub16HIPCUB_304000_NS21ConstantInputIteratorIilEEPiiNSB_3SumENSB_8EqualityEiEE10hipError_tPvRmT2_T3_T4_T5_mT6_T7_P12ihipStream_tbENKUlT_T0_E_clISt17integral_constantIbLb0EESX_EEDaSS_ST_EUlSS_E_NS1_11comp_targetILNS1_3genE5ELNS1_11target_archE942ELNS1_3gpuE9ELNS1_3repE0EEENS1_30default_config_static_selectorELNS0_4arch9wavefront6targetE0EEEvT1_
; %bb.0:
	.section	.rodata,"a",@progbits
	.p2align	6, 0x0
	.amdhsa_kernel _ZN7rocprim17ROCPRIM_400000_NS6detail17trampoline_kernelINS0_14default_configENS1_27scan_by_key_config_selectorIiiEEZZNS1_16scan_by_key_implILNS1_25lookback_scan_determinismE0ELb0ES3_PKiN6hipcub16HIPCUB_304000_NS21ConstantInputIteratorIilEEPiiNSB_3SumENSB_8EqualityEiEE10hipError_tPvRmT2_T3_T4_T5_mT6_T7_P12ihipStream_tbENKUlT_T0_E_clISt17integral_constantIbLb0EESX_EEDaSS_ST_EUlSS_E_NS1_11comp_targetILNS1_3genE5ELNS1_11target_archE942ELNS1_3gpuE9ELNS1_3repE0EEENS1_30default_config_static_selectorELNS0_4arch9wavefront6targetE0EEEvT1_
		.amdhsa_group_segment_fixed_size 0
		.amdhsa_private_segment_fixed_size 0
		.amdhsa_kernarg_size 120
		.amdhsa_user_sgpr_count 2
		.amdhsa_user_sgpr_dispatch_ptr 0
		.amdhsa_user_sgpr_queue_ptr 0
		.amdhsa_user_sgpr_kernarg_segment_ptr 1
		.amdhsa_user_sgpr_dispatch_id 0
		.amdhsa_user_sgpr_kernarg_preload_length 0
		.amdhsa_user_sgpr_kernarg_preload_offset 0
		.amdhsa_user_sgpr_private_segment_size 0
		.amdhsa_wavefront_size32 1
		.amdhsa_uses_dynamic_stack 0
		.amdhsa_enable_private_segment 0
		.amdhsa_system_sgpr_workgroup_id_x 1
		.amdhsa_system_sgpr_workgroup_id_y 0
		.amdhsa_system_sgpr_workgroup_id_z 0
		.amdhsa_system_sgpr_workgroup_info 0
		.amdhsa_system_vgpr_workitem_id 0
		.amdhsa_next_free_vgpr 1
		.amdhsa_next_free_sgpr 1
		.amdhsa_named_barrier_count 0
		.amdhsa_reserve_vcc 0
		.amdhsa_float_round_mode_32 0
		.amdhsa_float_round_mode_16_64 0
		.amdhsa_float_denorm_mode_32 3
		.amdhsa_float_denorm_mode_16_64 3
		.amdhsa_fp16_overflow 0
		.amdhsa_memory_ordered 1
		.amdhsa_forward_progress 1
		.amdhsa_inst_pref_size 0
		.amdhsa_round_robin_scheduling 0
		.amdhsa_exception_fp_ieee_invalid_op 0
		.amdhsa_exception_fp_denorm_src 0
		.amdhsa_exception_fp_ieee_div_zero 0
		.amdhsa_exception_fp_ieee_overflow 0
		.amdhsa_exception_fp_ieee_underflow 0
		.amdhsa_exception_fp_ieee_inexact 0
		.amdhsa_exception_int_div_zero 0
	.end_amdhsa_kernel
	.section	.text._ZN7rocprim17ROCPRIM_400000_NS6detail17trampoline_kernelINS0_14default_configENS1_27scan_by_key_config_selectorIiiEEZZNS1_16scan_by_key_implILNS1_25lookback_scan_determinismE0ELb0ES3_PKiN6hipcub16HIPCUB_304000_NS21ConstantInputIteratorIilEEPiiNSB_3SumENSB_8EqualityEiEE10hipError_tPvRmT2_T3_T4_T5_mT6_T7_P12ihipStream_tbENKUlT_T0_E_clISt17integral_constantIbLb0EESX_EEDaSS_ST_EUlSS_E_NS1_11comp_targetILNS1_3genE5ELNS1_11target_archE942ELNS1_3gpuE9ELNS1_3repE0EEENS1_30default_config_static_selectorELNS0_4arch9wavefront6targetE0EEEvT1_,"axG",@progbits,_ZN7rocprim17ROCPRIM_400000_NS6detail17trampoline_kernelINS0_14default_configENS1_27scan_by_key_config_selectorIiiEEZZNS1_16scan_by_key_implILNS1_25lookback_scan_determinismE0ELb0ES3_PKiN6hipcub16HIPCUB_304000_NS21ConstantInputIteratorIilEEPiiNSB_3SumENSB_8EqualityEiEE10hipError_tPvRmT2_T3_T4_T5_mT6_T7_P12ihipStream_tbENKUlT_T0_E_clISt17integral_constantIbLb0EESX_EEDaSS_ST_EUlSS_E_NS1_11comp_targetILNS1_3genE5ELNS1_11target_archE942ELNS1_3gpuE9ELNS1_3repE0EEENS1_30default_config_static_selectorELNS0_4arch9wavefront6targetE0EEEvT1_,comdat
.Lfunc_end12:
	.size	_ZN7rocprim17ROCPRIM_400000_NS6detail17trampoline_kernelINS0_14default_configENS1_27scan_by_key_config_selectorIiiEEZZNS1_16scan_by_key_implILNS1_25lookback_scan_determinismE0ELb0ES3_PKiN6hipcub16HIPCUB_304000_NS21ConstantInputIteratorIilEEPiiNSB_3SumENSB_8EqualityEiEE10hipError_tPvRmT2_T3_T4_T5_mT6_T7_P12ihipStream_tbENKUlT_T0_E_clISt17integral_constantIbLb0EESX_EEDaSS_ST_EUlSS_E_NS1_11comp_targetILNS1_3genE5ELNS1_11target_archE942ELNS1_3gpuE9ELNS1_3repE0EEENS1_30default_config_static_selectorELNS0_4arch9wavefront6targetE0EEEvT1_, .Lfunc_end12-_ZN7rocprim17ROCPRIM_400000_NS6detail17trampoline_kernelINS0_14default_configENS1_27scan_by_key_config_selectorIiiEEZZNS1_16scan_by_key_implILNS1_25lookback_scan_determinismE0ELb0ES3_PKiN6hipcub16HIPCUB_304000_NS21ConstantInputIteratorIilEEPiiNSB_3SumENSB_8EqualityEiEE10hipError_tPvRmT2_T3_T4_T5_mT6_T7_P12ihipStream_tbENKUlT_T0_E_clISt17integral_constantIbLb0EESX_EEDaSS_ST_EUlSS_E_NS1_11comp_targetILNS1_3genE5ELNS1_11target_archE942ELNS1_3gpuE9ELNS1_3repE0EEENS1_30default_config_static_selectorELNS0_4arch9wavefront6targetE0EEEvT1_
                                        ; -- End function
	.set _ZN7rocprim17ROCPRIM_400000_NS6detail17trampoline_kernelINS0_14default_configENS1_27scan_by_key_config_selectorIiiEEZZNS1_16scan_by_key_implILNS1_25lookback_scan_determinismE0ELb0ES3_PKiN6hipcub16HIPCUB_304000_NS21ConstantInputIteratorIilEEPiiNSB_3SumENSB_8EqualityEiEE10hipError_tPvRmT2_T3_T4_T5_mT6_T7_P12ihipStream_tbENKUlT_T0_E_clISt17integral_constantIbLb0EESX_EEDaSS_ST_EUlSS_E_NS1_11comp_targetILNS1_3genE5ELNS1_11target_archE942ELNS1_3gpuE9ELNS1_3repE0EEENS1_30default_config_static_selectorELNS0_4arch9wavefront6targetE0EEEvT1_.num_vgpr, 0
	.set _ZN7rocprim17ROCPRIM_400000_NS6detail17trampoline_kernelINS0_14default_configENS1_27scan_by_key_config_selectorIiiEEZZNS1_16scan_by_key_implILNS1_25lookback_scan_determinismE0ELb0ES3_PKiN6hipcub16HIPCUB_304000_NS21ConstantInputIteratorIilEEPiiNSB_3SumENSB_8EqualityEiEE10hipError_tPvRmT2_T3_T4_T5_mT6_T7_P12ihipStream_tbENKUlT_T0_E_clISt17integral_constantIbLb0EESX_EEDaSS_ST_EUlSS_E_NS1_11comp_targetILNS1_3genE5ELNS1_11target_archE942ELNS1_3gpuE9ELNS1_3repE0EEENS1_30default_config_static_selectorELNS0_4arch9wavefront6targetE0EEEvT1_.num_agpr, 0
	.set _ZN7rocprim17ROCPRIM_400000_NS6detail17trampoline_kernelINS0_14default_configENS1_27scan_by_key_config_selectorIiiEEZZNS1_16scan_by_key_implILNS1_25lookback_scan_determinismE0ELb0ES3_PKiN6hipcub16HIPCUB_304000_NS21ConstantInputIteratorIilEEPiiNSB_3SumENSB_8EqualityEiEE10hipError_tPvRmT2_T3_T4_T5_mT6_T7_P12ihipStream_tbENKUlT_T0_E_clISt17integral_constantIbLb0EESX_EEDaSS_ST_EUlSS_E_NS1_11comp_targetILNS1_3genE5ELNS1_11target_archE942ELNS1_3gpuE9ELNS1_3repE0EEENS1_30default_config_static_selectorELNS0_4arch9wavefront6targetE0EEEvT1_.numbered_sgpr, 0
	.set _ZN7rocprim17ROCPRIM_400000_NS6detail17trampoline_kernelINS0_14default_configENS1_27scan_by_key_config_selectorIiiEEZZNS1_16scan_by_key_implILNS1_25lookback_scan_determinismE0ELb0ES3_PKiN6hipcub16HIPCUB_304000_NS21ConstantInputIteratorIilEEPiiNSB_3SumENSB_8EqualityEiEE10hipError_tPvRmT2_T3_T4_T5_mT6_T7_P12ihipStream_tbENKUlT_T0_E_clISt17integral_constantIbLb0EESX_EEDaSS_ST_EUlSS_E_NS1_11comp_targetILNS1_3genE5ELNS1_11target_archE942ELNS1_3gpuE9ELNS1_3repE0EEENS1_30default_config_static_selectorELNS0_4arch9wavefront6targetE0EEEvT1_.num_named_barrier, 0
	.set _ZN7rocprim17ROCPRIM_400000_NS6detail17trampoline_kernelINS0_14default_configENS1_27scan_by_key_config_selectorIiiEEZZNS1_16scan_by_key_implILNS1_25lookback_scan_determinismE0ELb0ES3_PKiN6hipcub16HIPCUB_304000_NS21ConstantInputIteratorIilEEPiiNSB_3SumENSB_8EqualityEiEE10hipError_tPvRmT2_T3_T4_T5_mT6_T7_P12ihipStream_tbENKUlT_T0_E_clISt17integral_constantIbLb0EESX_EEDaSS_ST_EUlSS_E_NS1_11comp_targetILNS1_3genE5ELNS1_11target_archE942ELNS1_3gpuE9ELNS1_3repE0EEENS1_30default_config_static_selectorELNS0_4arch9wavefront6targetE0EEEvT1_.private_seg_size, 0
	.set _ZN7rocprim17ROCPRIM_400000_NS6detail17trampoline_kernelINS0_14default_configENS1_27scan_by_key_config_selectorIiiEEZZNS1_16scan_by_key_implILNS1_25lookback_scan_determinismE0ELb0ES3_PKiN6hipcub16HIPCUB_304000_NS21ConstantInputIteratorIilEEPiiNSB_3SumENSB_8EqualityEiEE10hipError_tPvRmT2_T3_T4_T5_mT6_T7_P12ihipStream_tbENKUlT_T0_E_clISt17integral_constantIbLb0EESX_EEDaSS_ST_EUlSS_E_NS1_11comp_targetILNS1_3genE5ELNS1_11target_archE942ELNS1_3gpuE9ELNS1_3repE0EEENS1_30default_config_static_selectorELNS0_4arch9wavefront6targetE0EEEvT1_.uses_vcc, 0
	.set _ZN7rocprim17ROCPRIM_400000_NS6detail17trampoline_kernelINS0_14default_configENS1_27scan_by_key_config_selectorIiiEEZZNS1_16scan_by_key_implILNS1_25lookback_scan_determinismE0ELb0ES3_PKiN6hipcub16HIPCUB_304000_NS21ConstantInputIteratorIilEEPiiNSB_3SumENSB_8EqualityEiEE10hipError_tPvRmT2_T3_T4_T5_mT6_T7_P12ihipStream_tbENKUlT_T0_E_clISt17integral_constantIbLb0EESX_EEDaSS_ST_EUlSS_E_NS1_11comp_targetILNS1_3genE5ELNS1_11target_archE942ELNS1_3gpuE9ELNS1_3repE0EEENS1_30default_config_static_selectorELNS0_4arch9wavefront6targetE0EEEvT1_.uses_flat_scratch, 0
	.set _ZN7rocprim17ROCPRIM_400000_NS6detail17trampoline_kernelINS0_14default_configENS1_27scan_by_key_config_selectorIiiEEZZNS1_16scan_by_key_implILNS1_25lookback_scan_determinismE0ELb0ES3_PKiN6hipcub16HIPCUB_304000_NS21ConstantInputIteratorIilEEPiiNSB_3SumENSB_8EqualityEiEE10hipError_tPvRmT2_T3_T4_T5_mT6_T7_P12ihipStream_tbENKUlT_T0_E_clISt17integral_constantIbLb0EESX_EEDaSS_ST_EUlSS_E_NS1_11comp_targetILNS1_3genE5ELNS1_11target_archE942ELNS1_3gpuE9ELNS1_3repE0EEENS1_30default_config_static_selectorELNS0_4arch9wavefront6targetE0EEEvT1_.has_dyn_sized_stack, 0
	.set _ZN7rocprim17ROCPRIM_400000_NS6detail17trampoline_kernelINS0_14default_configENS1_27scan_by_key_config_selectorIiiEEZZNS1_16scan_by_key_implILNS1_25lookback_scan_determinismE0ELb0ES3_PKiN6hipcub16HIPCUB_304000_NS21ConstantInputIteratorIilEEPiiNSB_3SumENSB_8EqualityEiEE10hipError_tPvRmT2_T3_T4_T5_mT6_T7_P12ihipStream_tbENKUlT_T0_E_clISt17integral_constantIbLb0EESX_EEDaSS_ST_EUlSS_E_NS1_11comp_targetILNS1_3genE5ELNS1_11target_archE942ELNS1_3gpuE9ELNS1_3repE0EEENS1_30default_config_static_selectorELNS0_4arch9wavefront6targetE0EEEvT1_.has_recursion, 0
	.set _ZN7rocprim17ROCPRIM_400000_NS6detail17trampoline_kernelINS0_14default_configENS1_27scan_by_key_config_selectorIiiEEZZNS1_16scan_by_key_implILNS1_25lookback_scan_determinismE0ELb0ES3_PKiN6hipcub16HIPCUB_304000_NS21ConstantInputIteratorIilEEPiiNSB_3SumENSB_8EqualityEiEE10hipError_tPvRmT2_T3_T4_T5_mT6_T7_P12ihipStream_tbENKUlT_T0_E_clISt17integral_constantIbLb0EESX_EEDaSS_ST_EUlSS_E_NS1_11comp_targetILNS1_3genE5ELNS1_11target_archE942ELNS1_3gpuE9ELNS1_3repE0EEENS1_30default_config_static_selectorELNS0_4arch9wavefront6targetE0EEEvT1_.has_indirect_call, 0
	.section	.AMDGPU.csdata,"",@progbits
; Kernel info:
; codeLenInByte = 0
; TotalNumSgprs: 0
; NumVgprs: 0
; ScratchSize: 0
; MemoryBound: 0
; FloatMode: 240
; IeeeMode: 1
; LDSByteSize: 0 bytes/workgroup (compile time only)
; SGPRBlocks: 0
; VGPRBlocks: 0
; NumSGPRsForWavesPerEU: 1
; NumVGPRsForWavesPerEU: 1
; NamedBarCnt: 0
; Occupancy: 16
; WaveLimiterHint : 0
; COMPUTE_PGM_RSRC2:SCRATCH_EN: 0
; COMPUTE_PGM_RSRC2:USER_SGPR: 2
; COMPUTE_PGM_RSRC2:TRAP_HANDLER: 0
; COMPUTE_PGM_RSRC2:TGID_X_EN: 1
; COMPUTE_PGM_RSRC2:TGID_Y_EN: 0
; COMPUTE_PGM_RSRC2:TGID_Z_EN: 0
; COMPUTE_PGM_RSRC2:TIDIG_COMP_CNT: 0
	.section	.text._ZN7rocprim17ROCPRIM_400000_NS6detail17trampoline_kernelINS0_14default_configENS1_27scan_by_key_config_selectorIiiEEZZNS1_16scan_by_key_implILNS1_25lookback_scan_determinismE0ELb0ES3_PKiN6hipcub16HIPCUB_304000_NS21ConstantInputIteratorIilEEPiiNSB_3SumENSB_8EqualityEiEE10hipError_tPvRmT2_T3_T4_T5_mT6_T7_P12ihipStream_tbENKUlT_T0_E_clISt17integral_constantIbLb0EESX_EEDaSS_ST_EUlSS_E_NS1_11comp_targetILNS1_3genE4ELNS1_11target_archE910ELNS1_3gpuE8ELNS1_3repE0EEENS1_30default_config_static_selectorELNS0_4arch9wavefront6targetE0EEEvT1_,"axG",@progbits,_ZN7rocprim17ROCPRIM_400000_NS6detail17trampoline_kernelINS0_14default_configENS1_27scan_by_key_config_selectorIiiEEZZNS1_16scan_by_key_implILNS1_25lookback_scan_determinismE0ELb0ES3_PKiN6hipcub16HIPCUB_304000_NS21ConstantInputIteratorIilEEPiiNSB_3SumENSB_8EqualityEiEE10hipError_tPvRmT2_T3_T4_T5_mT6_T7_P12ihipStream_tbENKUlT_T0_E_clISt17integral_constantIbLb0EESX_EEDaSS_ST_EUlSS_E_NS1_11comp_targetILNS1_3genE4ELNS1_11target_archE910ELNS1_3gpuE8ELNS1_3repE0EEENS1_30default_config_static_selectorELNS0_4arch9wavefront6targetE0EEEvT1_,comdat
	.protected	_ZN7rocprim17ROCPRIM_400000_NS6detail17trampoline_kernelINS0_14default_configENS1_27scan_by_key_config_selectorIiiEEZZNS1_16scan_by_key_implILNS1_25lookback_scan_determinismE0ELb0ES3_PKiN6hipcub16HIPCUB_304000_NS21ConstantInputIteratorIilEEPiiNSB_3SumENSB_8EqualityEiEE10hipError_tPvRmT2_T3_T4_T5_mT6_T7_P12ihipStream_tbENKUlT_T0_E_clISt17integral_constantIbLb0EESX_EEDaSS_ST_EUlSS_E_NS1_11comp_targetILNS1_3genE4ELNS1_11target_archE910ELNS1_3gpuE8ELNS1_3repE0EEENS1_30default_config_static_selectorELNS0_4arch9wavefront6targetE0EEEvT1_ ; -- Begin function _ZN7rocprim17ROCPRIM_400000_NS6detail17trampoline_kernelINS0_14default_configENS1_27scan_by_key_config_selectorIiiEEZZNS1_16scan_by_key_implILNS1_25lookback_scan_determinismE0ELb0ES3_PKiN6hipcub16HIPCUB_304000_NS21ConstantInputIteratorIilEEPiiNSB_3SumENSB_8EqualityEiEE10hipError_tPvRmT2_T3_T4_T5_mT6_T7_P12ihipStream_tbENKUlT_T0_E_clISt17integral_constantIbLb0EESX_EEDaSS_ST_EUlSS_E_NS1_11comp_targetILNS1_3genE4ELNS1_11target_archE910ELNS1_3gpuE8ELNS1_3repE0EEENS1_30default_config_static_selectorELNS0_4arch9wavefront6targetE0EEEvT1_
	.globl	_ZN7rocprim17ROCPRIM_400000_NS6detail17trampoline_kernelINS0_14default_configENS1_27scan_by_key_config_selectorIiiEEZZNS1_16scan_by_key_implILNS1_25lookback_scan_determinismE0ELb0ES3_PKiN6hipcub16HIPCUB_304000_NS21ConstantInputIteratorIilEEPiiNSB_3SumENSB_8EqualityEiEE10hipError_tPvRmT2_T3_T4_T5_mT6_T7_P12ihipStream_tbENKUlT_T0_E_clISt17integral_constantIbLb0EESX_EEDaSS_ST_EUlSS_E_NS1_11comp_targetILNS1_3genE4ELNS1_11target_archE910ELNS1_3gpuE8ELNS1_3repE0EEENS1_30default_config_static_selectorELNS0_4arch9wavefront6targetE0EEEvT1_
	.p2align	8
	.type	_ZN7rocprim17ROCPRIM_400000_NS6detail17trampoline_kernelINS0_14default_configENS1_27scan_by_key_config_selectorIiiEEZZNS1_16scan_by_key_implILNS1_25lookback_scan_determinismE0ELb0ES3_PKiN6hipcub16HIPCUB_304000_NS21ConstantInputIteratorIilEEPiiNSB_3SumENSB_8EqualityEiEE10hipError_tPvRmT2_T3_T4_T5_mT6_T7_P12ihipStream_tbENKUlT_T0_E_clISt17integral_constantIbLb0EESX_EEDaSS_ST_EUlSS_E_NS1_11comp_targetILNS1_3genE4ELNS1_11target_archE910ELNS1_3gpuE8ELNS1_3repE0EEENS1_30default_config_static_selectorELNS0_4arch9wavefront6targetE0EEEvT1_,@function
_ZN7rocprim17ROCPRIM_400000_NS6detail17trampoline_kernelINS0_14default_configENS1_27scan_by_key_config_selectorIiiEEZZNS1_16scan_by_key_implILNS1_25lookback_scan_determinismE0ELb0ES3_PKiN6hipcub16HIPCUB_304000_NS21ConstantInputIteratorIilEEPiiNSB_3SumENSB_8EqualityEiEE10hipError_tPvRmT2_T3_T4_T5_mT6_T7_P12ihipStream_tbENKUlT_T0_E_clISt17integral_constantIbLb0EESX_EEDaSS_ST_EUlSS_E_NS1_11comp_targetILNS1_3genE4ELNS1_11target_archE910ELNS1_3gpuE8ELNS1_3repE0EEENS1_30default_config_static_selectorELNS0_4arch9wavefront6targetE0EEEvT1_: ; @_ZN7rocprim17ROCPRIM_400000_NS6detail17trampoline_kernelINS0_14default_configENS1_27scan_by_key_config_selectorIiiEEZZNS1_16scan_by_key_implILNS1_25lookback_scan_determinismE0ELb0ES3_PKiN6hipcub16HIPCUB_304000_NS21ConstantInputIteratorIilEEPiiNSB_3SumENSB_8EqualityEiEE10hipError_tPvRmT2_T3_T4_T5_mT6_T7_P12ihipStream_tbENKUlT_T0_E_clISt17integral_constantIbLb0EESX_EEDaSS_ST_EUlSS_E_NS1_11comp_targetILNS1_3genE4ELNS1_11target_archE910ELNS1_3gpuE8ELNS1_3repE0EEENS1_30default_config_static_selectorELNS0_4arch9wavefront6targetE0EEEvT1_
; %bb.0:
	.section	.rodata,"a",@progbits
	.p2align	6, 0x0
	.amdhsa_kernel _ZN7rocprim17ROCPRIM_400000_NS6detail17trampoline_kernelINS0_14default_configENS1_27scan_by_key_config_selectorIiiEEZZNS1_16scan_by_key_implILNS1_25lookback_scan_determinismE0ELb0ES3_PKiN6hipcub16HIPCUB_304000_NS21ConstantInputIteratorIilEEPiiNSB_3SumENSB_8EqualityEiEE10hipError_tPvRmT2_T3_T4_T5_mT6_T7_P12ihipStream_tbENKUlT_T0_E_clISt17integral_constantIbLb0EESX_EEDaSS_ST_EUlSS_E_NS1_11comp_targetILNS1_3genE4ELNS1_11target_archE910ELNS1_3gpuE8ELNS1_3repE0EEENS1_30default_config_static_selectorELNS0_4arch9wavefront6targetE0EEEvT1_
		.amdhsa_group_segment_fixed_size 0
		.amdhsa_private_segment_fixed_size 0
		.amdhsa_kernarg_size 120
		.amdhsa_user_sgpr_count 2
		.amdhsa_user_sgpr_dispatch_ptr 0
		.amdhsa_user_sgpr_queue_ptr 0
		.amdhsa_user_sgpr_kernarg_segment_ptr 1
		.amdhsa_user_sgpr_dispatch_id 0
		.amdhsa_user_sgpr_kernarg_preload_length 0
		.amdhsa_user_sgpr_kernarg_preload_offset 0
		.amdhsa_user_sgpr_private_segment_size 0
		.amdhsa_wavefront_size32 1
		.amdhsa_uses_dynamic_stack 0
		.amdhsa_enable_private_segment 0
		.amdhsa_system_sgpr_workgroup_id_x 1
		.amdhsa_system_sgpr_workgroup_id_y 0
		.amdhsa_system_sgpr_workgroup_id_z 0
		.amdhsa_system_sgpr_workgroup_info 0
		.amdhsa_system_vgpr_workitem_id 0
		.amdhsa_next_free_vgpr 1
		.amdhsa_next_free_sgpr 1
		.amdhsa_named_barrier_count 0
		.amdhsa_reserve_vcc 0
		.amdhsa_float_round_mode_32 0
		.amdhsa_float_round_mode_16_64 0
		.amdhsa_float_denorm_mode_32 3
		.amdhsa_float_denorm_mode_16_64 3
		.amdhsa_fp16_overflow 0
		.amdhsa_memory_ordered 1
		.amdhsa_forward_progress 1
		.amdhsa_inst_pref_size 0
		.amdhsa_round_robin_scheduling 0
		.amdhsa_exception_fp_ieee_invalid_op 0
		.amdhsa_exception_fp_denorm_src 0
		.amdhsa_exception_fp_ieee_div_zero 0
		.amdhsa_exception_fp_ieee_overflow 0
		.amdhsa_exception_fp_ieee_underflow 0
		.amdhsa_exception_fp_ieee_inexact 0
		.amdhsa_exception_int_div_zero 0
	.end_amdhsa_kernel
	.section	.text._ZN7rocprim17ROCPRIM_400000_NS6detail17trampoline_kernelINS0_14default_configENS1_27scan_by_key_config_selectorIiiEEZZNS1_16scan_by_key_implILNS1_25lookback_scan_determinismE0ELb0ES3_PKiN6hipcub16HIPCUB_304000_NS21ConstantInputIteratorIilEEPiiNSB_3SumENSB_8EqualityEiEE10hipError_tPvRmT2_T3_T4_T5_mT6_T7_P12ihipStream_tbENKUlT_T0_E_clISt17integral_constantIbLb0EESX_EEDaSS_ST_EUlSS_E_NS1_11comp_targetILNS1_3genE4ELNS1_11target_archE910ELNS1_3gpuE8ELNS1_3repE0EEENS1_30default_config_static_selectorELNS0_4arch9wavefront6targetE0EEEvT1_,"axG",@progbits,_ZN7rocprim17ROCPRIM_400000_NS6detail17trampoline_kernelINS0_14default_configENS1_27scan_by_key_config_selectorIiiEEZZNS1_16scan_by_key_implILNS1_25lookback_scan_determinismE0ELb0ES3_PKiN6hipcub16HIPCUB_304000_NS21ConstantInputIteratorIilEEPiiNSB_3SumENSB_8EqualityEiEE10hipError_tPvRmT2_T3_T4_T5_mT6_T7_P12ihipStream_tbENKUlT_T0_E_clISt17integral_constantIbLb0EESX_EEDaSS_ST_EUlSS_E_NS1_11comp_targetILNS1_3genE4ELNS1_11target_archE910ELNS1_3gpuE8ELNS1_3repE0EEENS1_30default_config_static_selectorELNS0_4arch9wavefront6targetE0EEEvT1_,comdat
.Lfunc_end13:
	.size	_ZN7rocprim17ROCPRIM_400000_NS6detail17trampoline_kernelINS0_14default_configENS1_27scan_by_key_config_selectorIiiEEZZNS1_16scan_by_key_implILNS1_25lookback_scan_determinismE0ELb0ES3_PKiN6hipcub16HIPCUB_304000_NS21ConstantInputIteratorIilEEPiiNSB_3SumENSB_8EqualityEiEE10hipError_tPvRmT2_T3_T4_T5_mT6_T7_P12ihipStream_tbENKUlT_T0_E_clISt17integral_constantIbLb0EESX_EEDaSS_ST_EUlSS_E_NS1_11comp_targetILNS1_3genE4ELNS1_11target_archE910ELNS1_3gpuE8ELNS1_3repE0EEENS1_30default_config_static_selectorELNS0_4arch9wavefront6targetE0EEEvT1_, .Lfunc_end13-_ZN7rocprim17ROCPRIM_400000_NS6detail17trampoline_kernelINS0_14default_configENS1_27scan_by_key_config_selectorIiiEEZZNS1_16scan_by_key_implILNS1_25lookback_scan_determinismE0ELb0ES3_PKiN6hipcub16HIPCUB_304000_NS21ConstantInputIteratorIilEEPiiNSB_3SumENSB_8EqualityEiEE10hipError_tPvRmT2_T3_T4_T5_mT6_T7_P12ihipStream_tbENKUlT_T0_E_clISt17integral_constantIbLb0EESX_EEDaSS_ST_EUlSS_E_NS1_11comp_targetILNS1_3genE4ELNS1_11target_archE910ELNS1_3gpuE8ELNS1_3repE0EEENS1_30default_config_static_selectorELNS0_4arch9wavefront6targetE0EEEvT1_
                                        ; -- End function
	.set _ZN7rocprim17ROCPRIM_400000_NS6detail17trampoline_kernelINS0_14default_configENS1_27scan_by_key_config_selectorIiiEEZZNS1_16scan_by_key_implILNS1_25lookback_scan_determinismE0ELb0ES3_PKiN6hipcub16HIPCUB_304000_NS21ConstantInputIteratorIilEEPiiNSB_3SumENSB_8EqualityEiEE10hipError_tPvRmT2_T3_T4_T5_mT6_T7_P12ihipStream_tbENKUlT_T0_E_clISt17integral_constantIbLb0EESX_EEDaSS_ST_EUlSS_E_NS1_11comp_targetILNS1_3genE4ELNS1_11target_archE910ELNS1_3gpuE8ELNS1_3repE0EEENS1_30default_config_static_selectorELNS0_4arch9wavefront6targetE0EEEvT1_.num_vgpr, 0
	.set _ZN7rocprim17ROCPRIM_400000_NS6detail17trampoline_kernelINS0_14default_configENS1_27scan_by_key_config_selectorIiiEEZZNS1_16scan_by_key_implILNS1_25lookback_scan_determinismE0ELb0ES3_PKiN6hipcub16HIPCUB_304000_NS21ConstantInputIteratorIilEEPiiNSB_3SumENSB_8EqualityEiEE10hipError_tPvRmT2_T3_T4_T5_mT6_T7_P12ihipStream_tbENKUlT_T0_E_clISt17integral_constantIbLb0EESX_EEDaSS_ST_EUlSS_E_NS1_11comp_targetILNS1_3genE4ELNS1_11target_archE910ELNS1_3gpuE8ELNS1_3repE0EEENS1_30default_config_static_selectorELNS0_4arch9wavefront6targetE0EEEvT1_.num_agpr, 0
	.set _ZN7rocprim17ROCPRIM_400000_NS6detail17trampoline_kernelINS0_14default_configENS1_27scan_by_key_config_selectorIiiEEZZNS1_16scan_by_key_implILNS1_25lookback_scan_determinismE0ELb0ES3_PKiN6hipcub16HIPCUB_304000_NS21ConstantInputIteratorIilEEPiiNSB_3SumENSB_8EqualityEiEE10hipError_tPvRmT2_T3_T4_T5_mT6_T7_P12ihipStream_tbENKUlT_T0_E_clISt17integral_constantIbLb0EESX_EEDaSS_ST_EUlSS_E_NS1_11comp_targetILNS1_3genE4ELNS1_11target_archE910ELNS1_3gpuE8ELNS1_3repE0EEENS1_30default_config_static_selectorELNS0_4arch9wavefront6targetE0EEEvT1_.numbered_sgpr, 0
	.set _ZN7rocprim17ROCPRIM_400000_NS6detail17trampoline_kernelINS0_14default_configENS1_27scan_by_key_config_selectorIiiEEZZNS1_16scan_by_key_implILNS1_25lookback_scan_determinismE0ELb0ES3_PKiN6hipcub16HIPCUB_304000_NS21ConstantInputIteratorIilEEPiiNSB_3SumENSB_8EqualityEiEE10hipError_tPvRmT2_T3_T4_T5_mT6_T7_P12ihipStream_tbENKUlT_T0_E_clISt17integral_constantIbLb0EESX_EEDaSS_ST_EUlSS_E_NS1_11comp_targetILNS1_3genE4ELNS1_11target_archE910ELNS1_3gpuE8ELNS1_3repE0EEENS1_30default_config_static_selectorELNS0_4arch9wavefront6targetE0EEEvT1_.num_named_barrier, 0
	.set _ZN7rocprim17ROCPRIM_400000_NS6detail17trampoline_kernelINS0_14default_configENS1_27scan_by_key_config_selectorIiiEEZZNS1_16scan_by_key_implILNS1_25lookback_scan_determinismE0ELb0ES3_PKiN6hipcub16HIPCUB_304000_NS21ConstantInputIteratorIilEEPiiNSB_3SumENSB_8EqualityEiEE10hipError_tPvRmT2_T3_T4_T5_mT6_T7_P12ihipStream_tbENKUlT_T0_E_clISt17integral_constantIbLb0EESX_EEDaSS_ST_EUlSS_E_NS1_11comp_targetILNS1_3genE4ELNS1_11target_archE910ELNS1_3gpuE8ELNS1_3repE0EEENS1_30default_config_static_selectorELNS0_4arch9wavefront6targetE0EEEvT1_.private_seg_size, 0
	.set _ZN7rocprim17ROCPRIM_400000_NS6detail17trampoline_kernelINS0_14default_configENS1_27scan_by_key_config_selectorIiiEEZZNS1_16scan_by_key_implILNS1_25lookback_scan_determinismE0ELb0ES3_PKiN6hipcub16HIPCUB_304000_NS21ConstantInputIteratorIilEEPiiNSB_3SumENSB_8EqualityEiEE10hipError_tPvRmT2_T3_T4_T5_mT6_T7_P12ihipStream_tbENKUlT_T0_E_clISt17integral_constantIbLb0EESX_EEDaSS_ST_EUlSS_E_NS1_11comp_targetILNS1_3genE4ELNS1_11target_archE910ELNS1_3gpuE8ELNS1_3repE0EEENS1_30default_config_static_selectorELNS0_4arch9wavefront6targetE0EEEvT1_.uses_vcc, 0
	.set _ZN7rocprim17ROCPRIM_400000_NS6detail17trampoline_kernelINS0_14default_configENS1_27scan_by_key_config_selectorIiiEEZZNS1_16scan_by_key_implILNS1_25lookback_scan_determinismE0ELb0ES3_PKiN6hipcub16HIPCUB_304000_NS21ConstantInputIteratorIilEEPiiNSB_3SumENSB_8EqualityEiEE10hipError_tPvRmT2_T3_T4_T5_mT6_T7_P12ihipStream_tbENKUlT_T0_E_clISt17integral_constantIbLb0EESX_EEDaSS_ST_EUlSS_E_NS1_11comp_targetILNS1_3genE4ELNS1_11target_archE910ELNS1_3gpuE8ELNS1_3repE0EEENS1_30default_config_static_selectorELNS0_4arch9wavefront6targetE0EEEvT1_.uses_flat_scratch, 0
	.set _ZN7rocprim17ROCPRIM_400000_NS6detail17trampoline_kernelINS0_14default_configENS1_27scan_by_key_config_selectorIiiEEZZNS1_16scan_by_key_implILNS1_25lookback_scan_determinismE0ELb0ES3_PKiN6hipcub16HIPCUB_304000_NS21ConstantInputIteratorIilEEPiiNSB_3SumENSB_8EqualityEiEE10hipError_tPvRmT2_T3_T4_T5_mT6_T7_P12ihipStream_tbENKUlT_T0_E_clISt17integral_constantIbLb0EESX_EEDaSS_ST_EUlSS_E_NS1_11comp_targetILNS1_3genE4ELNS1_11target_archE910ELNS1_3gpuE8ELNS1_3repE0EEENS1_30default_config_static_selectorELNS0_4arch9wavefront6targetE0EEEvT1_.has_dyn_sized_stack, 0
	.set _ZN7rocprim17ROCPRIM_400000_NS6detail17trampoline_kernelINS0_14default_configENS1_27scan_by_key_config_selectorIiiEEZZNS1_16scan_by_key_implILNS1_25lookback_scan_determinismE0ELb0ES3_PKiN6hipcub16HIPCUB_304000_NS21ConstantInputIteratorIilEEPiiNSB_3SumENSB_8EqualityEiEE10hipError_tPvRmT2_T3_T4_T5_mT6_T7_P12ihipStream_tbENKUlT_T0_E_clISt17integral_constantIbLb0EESX_EEDaSS_ST_EUlSS_E_NS1_11comp_targetILNS1_3genE4ELNS1_11target_archE910ELNS1_3gpuE8ELNS1_3repE0EEENS1_30default_config_static_selectorELNS0_4arch9wavefront6targetE0EEEvT1_.has_recursion, 0
	.set _ZN7rocprim17ROCPRIM_400000_NS6detail17trampoline_kernelINS0_14default_configENS1_27scan_by_key_config_selectorIiiEEZZNS1_16scan_by_key_implILNS1_25lookback_scan_determinismE0ELb0ES3_PKiN6hipcub16HIPCUB_304000_NS21ConstantInputIteratorIilEEPiiNSB_3SumENSB_8EqualityEiEE10hipError_tPvRmT2_T3_T4_T5_mT6_T7_P12ihipStream_tbENKUlT_T0_E_clISt17integral_constantIbLb0EESX_EEDaSS_ST_EUlSS_E_NS1_11comp_targetILNS1_3genE4ELNS1_11target_archE910ELNS1_3gpuE8ELNS1_3repE0EEENS1_30default_config_static_selectorELNS0_4arch9wavefront6targetE0EEEvT1_.has_indirect_call, 0
	.section	.AMDGPU.csdata,"",@progbits
; Kernel info:
; codeLenInByte = 0
; TotalNumSgprs: 0
; NumVgprs: 0
; ScratchSize: 0
; MemoryBound: 0
; FloatMode: 240
; IeeeMode: 1
; LDSByteSize: 0 bytes/workgroup (compile time only)
; SGPRBlocks: 0
; VGPRBlocks: 0
; NumSGPRsForWavesPerEU: 1
; NumVGPRsForWavesPerEU: 1
; NamedBarCnt: 0
; Occupancy: 16
; WaveLimiterHint : 0
; COMPUTE_PGM_RSRC2:SCRATCH_EN: 0
; COMPUTE_PGM_RSRC2:USER_SGPR: 2
; COMPUTE_PGM_RSRC2:TRAP_HANDLER: 0
; COMPUTE_PGM_RSRC2:TGID_X_EN: 1
; COMPUTE_PGM_RSRC2:TGID_Y_EN: 0
; COMPUTE_PGM_RSRC2:TGID_Z_EN: 0
; COMPUTE_PGM_RSRC2:TIDIG_COMP_CNT: 0
	.section	.text._ZN7rocprim17ROCPRIM_400000_NS6detail17trampoline_kernelINS0_14default_configENS1_27scan_by_key_config_selectorIiiEEZZNS1_16scan_by_key_implILNS1_25lookback_scan_determinismE0ELb0ES3_PKiN6hipcub16HIPCUB_304000_NS21ConstantInputIteratorIilEEPiiNSB_3SumENSB_8EqualityEiEE10hipError_tPvRmT2_T3_T4_T5_mT6_T7_P12ihipStream_tbENKUlT_T0_E_clISt17integral_constantIbLb0EESX_EEDaSS_ST_EUlSS_E_NS1_11comp_targetILNS1_3genE3ELNS1_11target_archE908ELNS1_3gpuE7ELNS1_3repE0EEENS1_30default_config_static_selectorELNS0_4arch9wavefront6targetE0EEEvT1_,"axG",@progbits,_ZN7rocprim17ROCPRIM_400000_NS6detail17trampoline_kernelINS0_14default_configENS1_27scan_by_key_config_selectorIiiEEZZNS1_16scan_by_key_implILNS1_25lookback_scan_determinismE0ELb0ES3_PKiN6hipcub16HIPCUB_304000_NS21ConstantInputIteratorIilEEPiiNSB_3SumENSB_8EqualityEiEE10hipError_tPvRmT2_T3_T4_T5_mT6_T7_P12ihipStream_tbENKUlT_T0_E_clISt17integral_constantIbLb0EESX_EEDaSS_ST_EUlSS_E_NS1_11comp_targetILNS1_3genE3ELNS1_11target_archE908ELNS1_3gpuE7ELNS1_3repE0EEENS1_30default_config_static_selectorELNS0_4arch9wavefront6targetE0EEEvT1_,comdat
	.protected	_ZN7rocprim17ROCPRIM_400000_NS6detail17trampoline_kernelINS0_14default_configENS1_27scan_by_key_config_selectorIiiEEZZNS1_16scan_by_key_implILNS1_25lookback_scan_determinismE0ELb0ES3_PKiN6hipcub16HIPCUB_304000_NS21ConstantInputIteratorIilEEPiiNSB_3SumENSB_8EqualityEiEE10hipError_tPvRmT2_T3_T4_T5_mT6_T7_P12ihipStream_tbENKUlT_T0_E_clISt17integral_constantIbLb0EESX_EEDaSS_ST_EUlSS_E_NS1_11comp_targetILNS1_3genE3ELNS1_11target_archE908ELNS1_3gpuE7ELNS1_3repE0EEENS1_30default_config_static_selectorELNS0_4arch9wavefront6targetE0EEEvT1_ ; -- Begin function _ZN7rocprim17ROCPRIM_400000_NS6detail17trampoline_kernelINS0_14default_configENS1_27scan_by_key_config_selectorIiiEEZZNS1_16scan_by_key_implILNS1_25lookback_scan_determinismE0ELb0ES3_PKiN6hipcub16HIPCUB_304000_NS21ConstantInputIteratorIilEEPiiNSB_3SumENSB_8EqualityEiEE10hipError_tPvRmT2_T3_T4_T5_mT6_T7_P12ihipStream_tbENKUlT_T0_E_clISt17integral_constantIbLb0EESX_EEDaSS_ST_EUlSS_E_NS1_11comp_targetILNS1_3genE3ELNS1_11target_archE908ELNS1_3gpuE7ELNS1_3repE0EEENS1_30default_config_static_selectorELNS0_4arch9wavefront6targetE0EEEvT1_
	.globl	_ZN7rocprim17ROCPRIM_400000_NS6detail17trampoline_kernelINS0_14default_configENS1_27scan_by_key_config_selectorIiiEEZZNS1_16scan_by_key_implILNS1_25lookback_scan_determinismE0ELb0ES3_PKiN6hipcub16HIPCUB_304000_NS21ConstantInputIteratorIilEEPiiNSB_3SumENSB_8EqualityEiEE10hipError_tPvRmT2_T3_T4_T5_mT6_T7_P12ihipStream_tbENKUlT_T0_E_clISt17integral_constantIbLb0EESX_EEDaSS_ST_EUlSS_E_NS1_11comp_targetILNS1_3genE3ELNS1_11target_archE908ELNS1_3gpuE7ELNS1_3repE0EEENS1_30default_config_static_selectorELNS0_4arch9wavefront6targetE0EEEvT1_
	.p2align	8
	.type	_ZN7rocprim17ROCPRIM_400000_NS6detail17trampoline_kernelINS0_14default_configENS1_27scan_by_key_config_selectorIiiEEZZNS1_16scan_by_key_implILNS1_25lookback_scan_determinismE0ELb0ES3_PKiN6hipcub16HIPCUB_304000_NS21ConstantInputIteratorIilEEPiiNSB_3SumENSB_8EqualityEiEE10hipError_tPvRmT2_T3_T4_T5_mT6_T7_P12ihipStream_tbENKUlT_T0_E_clISt17integral_constantIbLb0EESX_EEDaSS_ST_EUlSS_E_NS1_11comp_targetILNS1_3genE3ELNS1_11target_archE908ELNS1_3gpuE7ELNS1_3repE0EEENS1_30default_config_static_selectorELNS0_4arch9wavefront6targetE0EEEvT1_,@function
_ZN7rocprim17ROCPRIM_400000_NS6detail17trampoline_kernelINS0_14default_configENS1_27scan_by_key_config_selectorIiiEEZZNS1_16scan_by_key_implILNS1_25lookback_scan_determinismE0ELb0ES3_PKiN6hipcub16HIPCUB_304000_NS21ConstantInputIteratorIilEEPiiNSB_3SumENSB_8EqualityEiEE10hipError_tPvRmT2_T3_T4_T5_mT6_T7_P12ihipStream_tbENKUlT_T0_E_clISt17integral_constantIbLb0EESX_EEDaSS_ST_EUlSS_E_NS1_11comp_targetILNS1_3genE3ELNS1_11target_archE908ELNS1_3gpuE7ELNS1_3repE0EEENS1_30default_config_static_selectorELNS0_4arch9wavefront6targetE0EEEvT1_: ; @_ZN7rocprim17ROCPRIM_400000_NS6detail17trampoline_kernelINS0_14default_configENS1_27scan_by_key_config_selectorIiiEEZZNS1_16scan_by_key_implILNS1_25lookback_scan_determinismE0ELb0ES3_PKiN6hipcub16HIPCUB_304000_NS21ConstantInputIteratorIilEEPiiNSB_3SumENSB_8EqualityEiEE10hipError_tPvRmT2_T3_T4_T5_mT6_T7_P12ihipStream_tbENKUlT_T0_E_clISt17integral_constantIbLb0EESX_EEDaSS_ST_EUlSS_E_NS1_11comp_targetILNS1_3genE3ELNS1_11target_archE908ELNS1_3gpuE7ELNS1_3repE0EEENS1_30default_config_static_selectorELNS0_4arch9wavefront6targetE0EEEvT1_
; %bb.0:
	.section	.rodata,"a",@progbits
	.p2align	6, 0x0
	.amdhsa_kernel _ZN7rocprim17ROCPRIM_400000_NS6detail17trampoline_kernelINS0_14default_configENS1_27scan_by_key_config_selectorIiiEEZZNS1_16scan_by_key_implILNS1_25lookback_scan_determinismE0ELb0ES3_PKiN6hipcub16HIPCUB_304000_NS21ConstantInputIteratorIilEEPiiNSB_3SumENSB_8EqualityEiEE10hipError_tPvRmT2_T3_T4_T5_mT6_T7_P12ihipStream_tbENKUlT_T0_E_clISt17integral_constantIbLb0EESX_EEDaSS_ST_EUlSS_E_NS1_11comp_targetILNS1_3genE3ELNS1_11target_archE908ELNS1_3gpuE7ELNS1_3repE0EEENS1_30default_config_static_selectorELNS0_4arch9wavefront6targetE0EEEvT1_
		.amdhsa_group_segment_fixed_size 0
		.amdhsa_private_segment_fixed_size 0
		.amdhsa_kernarg_size 120
		.amdhsa_user_sgpr_count 2
		.amdhsa_user_sgpr_dispatch_ptr 0
		.amdhsa_user_sgpr_queue_ptr 0
		.amdhsa_user_sgpr_kernarg_segment_ptr 1
		.amdhsa_user_sgpr_dispatch_id 0
		.amdhsa_user_sgpr_kernarg_preload_length 0
		.amdhsa_user_sgpr_kernarg_preload_offset 0
		.amdhsa_user_sgpr_private_segment_size 0
		.amdhsa_wavefront_size32 1
		.amdhsa_uses_dynamic_stack 0
		.amdhsa_enable_private_segment 0
		.amdhsa_system_sgpr_workgroup_id_x 1
		.amdhsa_system_sgpr_workgroup_id_y 0
		.amdhsa_system_sgpr_workgroup_id_z 0
		.amdhsa_system_sgpr_workgroup_info 0
		.amdhsa_system_vgpr_workitem_id 0
		.amdhsa_next_free_vgpr 1
		.amdhsa_next_free_sgpr 1
		.amdhsa_named_barrier_count 0
		.amdhsa_reserve_vcc 0
		.amdhsa_float_round_mode_32 0
		.amdhsa_float_round_mode_16_64 0
		.amdhsa_float_denorm_mode_32 3
		.amdhsa_float_denorm_mode_16_64 3
		.amdhsa_fp16_overflow 0
		.amdhsa_memory_ordered 1
		.amdhsa_forward_progress 1
		.amdhsa_inst_pref_size 0
		.amdhsa_round_robin_scheduling 0
		.amdhsa_exception_fp_ieee_invalid_op 0
		.amdhsa_exception_fp_denorm_src 0
		.amdhsa_exception_fp_ieee_div_zero 0
		.amdhsa_exception_fp_ieee_overflow 0
		.amdhsa_exception_fp_ieee_underflow 0
		.amdhsa_exception_fp_ieee_inexact 0
		.amdhsa_exception_int_div_zero 0
	.end_amdhsa_kernel
	.section	.text._ZN7rocprim17ROCPRIM_400000_NS6detail17trampoline_kernelINS0_14default_configENS1_27scan_by_key_config_selectorIiiEEZZNS1_16scan_by_key_implILNS1_25lookback_scan_determinismE0ELb0ES3_PKiN6hipcub16HIPCUB_304000_NS21ConstantInputIteratorIilEEPiiNSB_3SumENSB_8EqualityEiEE10hipError_tPvRmT2_T3_T4_T5_mT6_T7_P12ihipStream_tbENKUlT_T0_E_clISt17integral_constantIbLb0EESX_EEDaSS_ST_EUlSS_E_NS1_11comp_targetILNS1_3genE3ELNS1_11target_archE908ELNS1_3gpuE7ELNS1_3repE0EEENS1_30default_config_static_selectorELNS0_4arch9wavefront6targetE0EEEvT1_,"axG",@progbits,_ZN7rocprim17ROCPRIM_400000_NS6detail17trampoline_kernelINS0_14default_configENS1_27scan_by_key_config_selectorIiiEEZZNS1_16scan_by_key_implILNS1_25lookback_scan_determinismE0ELb0ES3_PKiN6hipcub16HIPCUB_304000_NS21ConstantInputIteratorIilEEPiiNSB_3SumENSB_8EqualityEiEE10hipError_tPvRmT2_T3_T4_T5_mT6_T7_P12ihipStream_tbENKUlT_T0_E_clISt17integral_constantIbLb0EESX_EEDaSS_ST_EUlSS_E_NS1_11comp_targetILNS1_3genE3ELNS1_11target_archE908ELNS1_3gpuE7ELNS1_3repE0EEENS1_30default_config_static_selectorELNS0_4arch9wavefront6targetE0EEEvT1_,comdat
.Lfunc_end14:
	.size	_ZN7rocprim17ROCPRIM_400000_NS6detail17trampoline_kernelINS0_14default_configENS1_27scan_by_key_config_selectorIiiEEZZNS1_16scan_by_key_implILNS1_25lookback_scan_determinismE0ELb0ES3_PKiN6hipcub16HIPCUB_304000_NS21ConstantInputIteratorIilEEPiiNSB_3SumENSB_8EqualityEiEE10hipError_tPvRmT2_T3_T4_T5_mT6_T7_P12ihipStream_tbENKUlT_T0_E_clISt17integral_constantIbLb0EESX_EEDaSS_ST_EUlSS_E_NS1_11comp_targetILNS1_3genE3ELNS1_11target_archE908ELNS1_3gpuE7ELNS1_3repE0EEENS1_30default_config_static_selectorELNS0_4arch9wavefront6targetE0EEEvT1_, .Lfunc_end14-_ZN7rocprim17ROCPRIM_400000_NS6detail17trampoline_kernelINS0_14default_configENS1_27scan_by_key_config_selectorIiiEEZZNS1_16scan_by_key_implILNS1_25lookback_scan_determinismE0ELb0ES3_PKiN6hipcub16HIPCUB_304000_NS21ConstantInputIteratorIilEEPiiNSB_3SumENSB_8EqualityEiEE10hipError_tPvRmT2_T3_T4_T5_mT6_T7_P12ihipStream_tbENKUlT_T0_E_clISt17integral_constantIbLb0EESX_EEDaSS_ST_EUlSS_E_NS1_11comp_targetILNS1_3genE3ELNS1_11target_archE908ELNS1_3gpuE7ELNS1_3repE0EEENS1_30default_config_static_selectorELNS0_4arch9wavefront6targetE0EEEvT1_
                                        ; -- End function
	.set _ZN7rocprim17ROCPRIM_400000_NS6detail17trampoline_kernelINS0_14default_configENS1_27scan_by_key_config_selectorIiiEEZZNS1_16scan_by_key_implILNS1_25lookback_scan_determinismE0ELb0ES3_PKiN6hipcub16HIPCUB_304000_NS21ConstantInputIteratorIilEEPiiNSB_3SumENSB_8EqualityEiEE10hipError_tPvRmT2_T3_T4_T5_mT6_T7_P12ihipStream_tbENKUlT_T0_E_clISt17integral_constantIbLb0EESX_EEDaSS_ST_EUlSS_E_NS1_11comp_targetILNS1_3genE3ELNS1_11target_archE908ELNS1_3gpuE7ELNS1_3repE0EEENS1_30default_config_static_selectorELNS0_4arch9wavefront6targetE0EEEvT1_.num_vgpr, 0
	.set _ZN7rocprim17ROCPRIM_400000_NS6detail17trampoline_kernelINS0_14default_configENS1_27scan_by_key_config_selectorIiiEEZZNS1_16scan_by_key_implILNS1_25lookback_scan_determinismE0ELb0ES3_PKiN6hipcub16HIPCUB_304000_NS21ConstantInputIteratorIilEEPiiNSB_3SumENSB_8EqualityEiEE10hipError_tPvRmT2_T3_T4_T5_mT6_T7_P12ihipStream_tbENKUlT_T0_E_clISt17integral_constantIbLb0EESX_EEDaSS_ST_EUlSS_E_NS1_11comp_targetILNS1_3genE3ELNS1_11target_archE908ELNS1_3gpuE7ELNS1_3repE0EEENS1_30default_config_static_selectorELNS0_4arch9wavefront6targetE0EEEvT1_.num_agpr, 0
	.set _ZN7rocprim17ROCPRIM_400000_NS6detail17trampoline_kernelINS0_14default_configENS1_27scan_by_key_config_selectorIiiEEZZNS1_16scan_by_key_implILNS1_25lookback_scan_determinismE0ELb0ES3_PKiN6hipcub16HIPCUB_304000_NS21ConstantInputIteratorIilEEPiiNSB_3SumENSB_8EqualityEiEE10hipError_tPvRmT2_T3_T4_T5_mT6_T7_P12ihipStream_tbENKUlT_T0_E_clISt17integral_constantIbLb0EESX_EEDaSS_ST_EUlSS_E_NS1_11comp_targetILNS1_3genE3ELNS1_11target_archE908ELNS1_3gpuE7ELNS1_3repE0EEENS1_30default_config_static_selectorELNS0_4arch9wavefront6targetE0EEEvT1_.numbered_sgpr, 0
	.set _ZN7rocprim17ROCPRIM_400000_NS6detail17trampoline_kernelINS0_14default_configENS1_27scan_by_key_config_selectorIiiEEZZNS1_16scan_by_key_implILNS1_25lookback_scan_determinismE0ELb0ES3_PKiN6hipcub16HIPCUB_304000_NS21ConstantInputIteratorIilEEPiiNSB_3SumENSB_8EqualityEiEE10hipError_tPvRmT2_T3_T4_T5_mT6_T7_P12ihipStream_tbENKUlT_T0_E_clISt17integral_constantIbLb0EESX_EEDaSS_ST_EUlSS_E_NS1_11comp_targetILNS1_3genE3ELNS1_11target_archE908ELNS1_3gpuE7ELNS1_3repE0EEENS1_30default_config_static_selectorELNS0_4arch9wavefront6targetE0EEEvT1_.num_named_barrier, 0
	.set _ZN7rocprim17ROCPRIM_400000_NS6detail17trampoline_kernelINS0_14default_configENS1_27scan_by_key_config_selectorIiiEEZZNS1_16scan_by_key_implILNS1_25lookback_scan_determinismE0ELb0ES3_PKiN6hipcub16HIPCUB_304000_NS21ConstantInputIteratorIilEEPiiNSB_3SumENSB_8EqualityEiEE10hipError_tPvRmT2_T3_T4_T5_mT6_T7_P12ihipStream_tbENKUlT_T0_E_clISt17integral_constantIbLb0EESX_EEDaSS_ST_EUlSS_E_NS1_11comp_targetILNS1_3genE3ELNS1_11target_archE908ELNS1_3gpuE7ELNS1_3repE0EEENS1_30default_config_static_selectorELNS0_4arch9wavefront6targetE0EEEvT1_.private_seg_size, 0
	.set _ZN7rocprim17ROCPRIM_400000_NS6detail17trampoline_kernelINS0_14default_configENS1_27scan_by_key_config_selectorIiiEEZZNS1_16scan_by_key_implILNS1_25lookback_scan_determinismE0ELb0ES3_PKiN6hipcub16HIPCUB_304000_NS21ConstantInputIteratorIilEEPiiNSB_3SumENSB_8EqualityEiEE10hipError_tPvRmT2_T3_T4_T5_mT6_T7_P12ihipStream_tbENKUlT_T0_E_clISt17integral_constantIbLb0EESX_EEDaSS_ST_EUlSS_E_NS1_11comp_targetILNS1_3genE3ELNS1_11target_archE908ELNS1_3gpuE7ELNS1_3repE0EEENS1_30default_config_static_selectorELNS0_4arch9wavefront6targetE0EEEvT1_.uses_vcc, 0
	.set _ZN7rocprim17ROCPRIM_400000_NS6detail17trampoline_kernelINS0_14default_configENS1_27scan_by_key_config_selectorIiiEEZZNS1_16scan_by_key_implILNS1_25lookback_scan_determinismE0ELb0ES3_PKiN6hipcub16HIPCUB_304000_NS21ConstantInputIteratorIilEEPiiNSB_3SumENSB_8EqualityEiEE10hipError_tPvRmT2_T3_T4_T5_mT6_T7_P12ihipStream_tbENKUlT_T0_E_clISt17integral_constantIbLb0EESX_EEDaSS_ST_EUlSS_E_NS1_11comp_targetILNS1_3genE3ELNS1_11target_archE908ELNS1_3gpuE7ELNS1_3repE0EEENS1_30default_config_static_selectorELNS0_4arch9wavefront6targetE0EEEvT1_.uses_flat_scratch, 0
	.set _ZN7rocprim17ROCPRIM_400000_NS6detail17trampoline_kernelINS0_14default_configENS1_27scan_by_key_config_selectorIiiEEZZNS1_16scan_by_key_implILNS1_25lookback_scan_determinismE0ELb0ES3_PKiN6hipcub16HIPCUB_304000_NS21ConstantInputIteratorIilEEPiiNSB_3SumENSB_8EqualityEiEE10hipError_tPvRmT2_T3_T4_T5_mT6_T7_P12ihipStream_tbENKUlT_T0_E_clISt17integral_constantIbLb0EESX_EEDaSS_ST_EUlSS_E_NS1_11comp_targetILNS1_3genE3ELNS1_11target_archE908ELNS1_3gpuE7ELNS1_3repE0EEENS1_30default_config_static_selectorELNS0_4arch9wavefront6targetE0EEEvT1_.has_dyn_sized_stack, 0
	.set _ZN7rocprim17ROCPRIM_400000_NS6detail17trampoline_kernelINS0_14default_configENS1_27scan_by_key_config_selectorIiiEEZZNS1_16scan_by_key_implILNS1_25lookback_scan_determinismE0ELb0ES3_PKiN6hipcub16HIPCUB_304000_NS21ConstantInputIteratorIilEEPiiNSB_3SumENSB_8EqualityEiEE10hipError_tPvRmT2_T3_T4_T5_mT6_T7_P12ihipStream_tbENKUlT_T0_E_clISt17integral_constantIbLb0EESX_EEDaSS_ST_EUlSS_E_NS1_11comp_targetILNS1_3genE3ELNS1_11target_archE908ELNS1_3gpuE7ELNS1_3repE0EEENS1_30default_config_static_selectorELNS0_4arch9wavefront6targetE0EEEvT1_.has_recursion, 0
	.set _ZN7rocprim17ROCPRIM_400000_NS6detail17trampoline_kernelINS0_14default_configENS1_27scan_by_key_config_selectorIiiEEZZNS1_16scan_by_key_implILNS1_25lookback_scan_determinismE0ELb0ES3_PKiN6hipcub16HIPCUB_304000_NS21ConstantInputIteratorIilEEPiiNSB_3SumENSB_8EqualityEiEE10hipError_tPvRmT2_T3_T4_T5_mT6_T7_P12ihipStream_tbENKUlT_T0_E_clISt17integral_constantIbLb0EESX_EEDaSS_ST_EUlSS_E_NS1_11comp_targetILNS1_3genE3ELNS1_11target_archE908ELNS1_3gpuE7ELNS1_3repE0EEENS1_30default_config_static_selectorELNS0_4arch9wavefront6targetE0EEEvT1_.has_indirect_call, 0
	.section	.AMDGPU.csdata,"",@progbits
; Kernel info:
; codeLenInByte = 0
; TotalNumSgprs: 0
; NumVgprs: 0
; ScratchSize: 0
; MemoryBound: 0
; FloatMode: 240
; IeeeMode: 1
; LDSByteSize: 0 bytes/workgroup (compile time only)
; SGPRBlocks: 0
; VGPRBlocks: 0
; NumSGPRsForWavesPerEU: 1
; NumVGPRsForWavesPerEU: 1
; NamedBarCnt: 0
; Occupancy: 16
; WaveLimiterHint : 0
; COMPUTE_PGM_RSRC2:SCRATCH_EN: 0
; COMPUTE_PGM_RSRC2:USER_SGPR: 2
; COMPUTE_PGM_RSRC2:TRAP_HANDLER: 0
; COMPUTE_PGM_RSRC2:TGID_X_EN: 1
; COMPUTE_PGM_RSRC2:TGID_Y_EN: 0
; COMPUTE_PGM_RSRC2:TGID_Z_EN: 0
; COMPUTE_PGM_RSRC2:TIDIG_COMP_CNT: 0
	.section	.text._ZN7rocprim17ROCPRIM_400000_NS6detail17trampoline_kernelINS0_14default_configENS1_27scan_by_key_config_selectorIiiEEZZNS1_16scan_by_key_implILNS1_25lookback_scan_determinismE0ELb0ES3_PKiN6hipcub16HIPCUB_304000_NS21ConstantInputIteratorIilEEPiiNSB_3SumENSB_8EqualityEiEE10hipError_tPvRmT2_T3_T4_T5_mT6_T7_P12ihipStream_tbENKUlT_T0_E_clISt17integral_constantIbLb0EESX_EEDaSS_ST_EUlSS_E_NS1_11comp_targetILNS1_3genE2ELNS1_11target_archE906ELNS1_3gpuE6ELNS1_3repE0EEENS1_30default_config_static_selectorELNS0_4arch9wavefront6targetE0EEEvT1_,"axG",@progbits,_ZN7rocprim17ROCPRIM_400000_NS6detail17trampoline_kernelINS0_14default_configENS1_27scan_by_key_config_selectorIiiEEZZNS1_16scan_by_key_implILNS1_25lookback_scan_determinismE0ELb0ES3_PKiN6hipcub16HIPCUB_304000_NS21ConstantInputIteratorIilEEPiiNSB_3SumENSB_8EqualityEiEE10hipError_tPvRmT2_T3_T4_T5_mT6_T7_P12ihipStream_tbENKUlT_T0_E_clISt17integral_constantIbLb0EESX_EEDaSS_ST_EUlSS_E_NS1_11comp_targetILNS1_3genE2ELNS1_11target_archE906ELNS1_3gpuE6ELNS1_3repE0EEENS1_30default_config_static_selectorELNS0_4arch9wavefront6targetE0EEEvT1_,comdat
	.protected	_ZN7rocprim17ROCPRIM_400000_NS6detail17trampoline_kernelINS0_14default_configENS1_27scan_by_key_config_selectorIiiEEZZNS1_16scan_by_key_implILNS1_25lookback_scan_determinismE0ELb0ES3_PKiN6hipcub16HIPCUB_304000_NS21ConstantInputIteratorIilEEPiiNSB_3SumENSB_8EqualityEiEE10hipError_tPvRmT2_T3_T4_T5_mT6_T7_P12ihipStream_tbENKUlT_T0_E_clISt17integral_constantIbLb0EESX_EEDaSS_ST_EUlSS_E_NS1_11comp_targetILNS1_3genE2ELNS1_11target_archE906ELNS1_3gpuE6ELNS1_3repE0EEENS1_30default_config_static_selectorELNS0_4arch9wavefront6targetE0EEEvT1_ ; -- Begin function _ZN7rocprim17ROCPRIM_400000_NS6detail17trampoline_kernelINS0_14default_configENS1_27scan_by_key_config_selectorIiiEEZZNS1_16scan_by_key_implILNS1_25lookback_scan_determinismE0ELb0ES3_PKiN6hipcub16HIPCUB_304000_NS21ConstantInputIteratorIilEEPiiNSB_3SumENSB_8EqualityEiEE10hipError_tPvRmT2_T3_T4_T5_mT6_T7_P12ihipStream_tbENKUlT_T0_E_clISt17integral_constantIbLb0EESX_EEDaSS_ST_EUlSS_E_NS1_11comp_targetILNS1_3genE2ELNS1_11target_archE906ELNS1_3gpuE6ELNS1_3repE0EEENS1_30default_config_static_selectorELNS0_4arch9wavefront6targetE0EEEvT1_
	.globl	_ZN7rocprim17ROCPRIM_400000_NS6detail17trampoline_kernelINS0_14default_configENS1_27scan_by_key_config_selectorIiiEEZZNS1_16scan_by_key_implILNS1_25lookback_scan_determinismE0ELb0ES3_PKiN6hipcub16HIPCUB_304000_NS21ConstantInputIteratorIilEEPiiNSB_3SumENSB_8EqualityEiEE10hipError_tPvRmT2_T3_T4_T5_mT6_T7_P12ihipStream_tbENKUlT_T0_E_clISt17integral_constantIbLb0EESX_EEDaSS_ST_EUlSS_E_NS1_11comp_targetILNS1_3genE2ELNS1_11target_archE906ELNS1_3gpuE6ELNS1_3repE0EEENS1_30default_config_static_selectorELNS0_4arch9wavefront6targetE0EEEvT1_
	.p2align	8
	.type	_ZN7rocprim17ROCPRIM_400000_NS6detail17trampoline_kernelINS0_14default_configENS1_27scan_by_key_config_selectorIiiEEZZNS1_16scan_by_key_implILNS1_25lookback_scan_determinismE0ELb0ES3_PKiN6hipcub16HIPCUB_304000_NS21ConstantInputIteratorIilEEPiiNSB_3SumENSB_8EqualityEiEE10hipError_tPvRmT2_T3_T4_T5_mT6_T7_P12ihipStream_tbENKUlT_T0_E_clISt17integral_constantIbLb0EESX_EEDaSS_ST_EUlSS_E_NS1_11comp_targetILNS1_3genE2ELNS1_11target_archE906ELNS1_3gpuE6ELNS1_3repE0EEENS1_30default_config_static_selectorELNS0_4arch9wavefront6targetE0EEEvT1_,@function
_ZN7rocprim17ROCPRIM_400000_NS6detail17trampoline_kernelINS0_14default_configENS1_27scan_by_key_config_selectorIiiEEZZNS1_16scan_by_key_implILNS1_25lookback_scan_determinismE0ELb0ES3_PKiN6hipcub16HIPCUB_304000_NS21ConstantInputIteratorIilEEPiiNSB_3SumENSB_8EqualityEiEE10hipError_tPvRmT2_T3_T4_T5_mT6_T7_P12ihipStream_tbENKUlT_T0_E_clISt17integral_constantIbLb0EESX_EEDaSS_ST_EUlSS_E_NS1_11comp_targetILNS1_3genE2ELNS1_11target_archE906ELNS1_3gpuE6ELNS1_3repE0EEENS1_30default_config_static_selectorELNS0_4arch9wavefront6targetE0EEEvT1_: ; @_ZN7rocprim17ROCPRIM_400000_NS6detail17trampoline_kernelINS0_14default_configENS1_27scan_by_key_config_selectorIiiEEZZNS1_16scan_by_key_implILNS1_25lookback_scan_determinismE0ELb0ES3_PKiN6hipcub16HIPCUB_304000_NS21ConstantInputIteratorIilEEPiiNSB_3SumENSB_8EqualityEiEE10hipError_tPvRmT2_T3_T4_T5_mT6_T7_P12ihipStream_tbENKUlT_T0_E_clISt17integral_constantIbLb0EESX_EEDaSS_ST_EUlSS_E_NS1_11comp_targetILNS1_3genE2ELNS1_11target_archE906ELNS1_3gpuE6ELNS1_3repE0EEENS1_30default_config_static_selectorELNS0_4arch9wavefront6targetE0EEEvT1_
; %bb.0:
	.section	.rodata,"a",@progbits
	.p2align	6, 0x0
	.amdhsa_kernel _ZN7rocprim17ROCPRIM_400000_NS6detail17trampoline_kernelINS0_14default_configENS1_27scan_by_key_config_selectorIiiEEZZNS1_16scan_by_key_implILNS1_25lookback_scan_determinismE0ELb0ES3_PKiN6hipcub16HIPCUB_304000_NS21ConstantInputIteratorIilEEPiiNSB_3SumENSB_8EqualityEiEE10hipError_tPvRmT2_T3_T4_T5_mT6_T7_P12ihipStream_tbENKUlT_T0_E_clISt17integral_constantIbLb0EESX_EEDaSS_ST_EUlSS_E_NS1_11comp_targetILNS1_3genE2ELNS1_11target_archE906ELNS1_3gpuE6ELNS1_3repE0EEENS1_30default_config_static_selectorELNS0_4arch9wavefront6targetE0EEEvT1_
		.amdhsa_group_segment_fixed_size 0
		.amdhsa_private_segment_fixed_size 0
		.amdhsa_kernarg_size 120
		.amdhsa_user_sgpr_count 2
		.amdhsa_user_sgpr_dispatch_ptr 0
		.amdhsa_user_sgpr_queue_ptr 0
		.amdhsa_user_sgpr_kernarg_segment_ptr 1
		.amdhsa_user_sgpr_dispatch_id 0
		.amdhsa_user_sgpr_kernarg_preload_length 0
		.amdhsa_user_sgpr_kernarg_preload_offset 0
		.amdhsa_user_sgpr_private_segment_size 0
		.amdhsa_wavefront_size32 1
		.amdhsa_uses_dynamic_stack 0
		.amdhsa_enable_private_segment 0
		.amdhsa_system_sgpr_workgroup_id_x 1
		.amdhsa_system_sgpr_workgroup_id_y 0
		.amdhsa_system_sgpr_workgroup_id_z 0
		.amdhsa_system_sgpr_workgroup_info 0
		.amdhsa_system_vgpr_workitem_id 0
		.amdhsa_next_free_vgpr 1
		.amdhsa_next_free_sgpr 1
		.amdhsa_named_barrier_count 0
		.amdhsa_reserve_vcc 0
		.amdhsa_float_round_mode_32 0
		.amdhsa_float_round_mode_16_64 0
		.amdhsa_float_denorm_mode_32 3
		.amdhsa_float_denorm_mode_16_64 3
		.amdhsa_fp16_overflow 0
		.amdhsa_memory_ordered 1
		.amdhsa_forward_progress 1
		.amdhsa_inst_pref_size 0
		.amdhsa_round_robin_scheduling 0
		.amdhsa_exception_fp_ieee_invalid_op 0
		.amdhsa_exception_fp_denorm_src 0
		.amdhsa_exception_fp_ieee_div_zero 0
		.amdhsa_exception_fp_ieee_overflow 0
		.amdhsa_exception_fp_ieee_underflow 0
		.amdhsa_exception_fp_ieee_inexact 0
		.amdhsa_exception_int_div_zero 0
	.end_amdhsa_kernel
	.section	.text._ZN7rocprim17ROCPRIM_400000_NS6detail17trampoline_kernelINS0_14default_configENS1_27scan_by_key_config_selectorIiiEEZZNS1_16scan_by_key_implILNS1_25lookback_scan_determinismE0ELb0ES3_PKiN6hipcub16HIPCUB_304000_NS21ConstantInputIteratorIilEEPiiNSB_3SumENSB_8EqualityEiEE10hipError_tPvRmT2_T3_T4_T5_mT6_T7_P12ihipStream_tbENKUlT_T0_E_clISt17integral_constantIbLb0EESX_EEDaSS_ST_EUlSS_E_NS1_11comp_targetILNS1_3genE2ELNS1_11target_archE906ELNS1_3gpuE6ELNS1_3repE0EEENS1_30default_config_static_selectorELNS0_4arch9wavefront6targetE0EEEvT1_,"axG",@progbits,_ZN7rocprim17ROCPRIM_400000_NS6detail17trampoline_kernelINS0_14default_configENS1_27scan_by_key_config_selectorIiiEEZZNS1_16scan_by_key_implILNS1_25lookback_scan_determinismE0ELb0ES3_PKiN6hipcub16HIPCUB_304000_NS21ConstantInputIteratorIilEEPiiNSB_3SumENSB_8EqualityEiEE10hipError_tPvRmT2_T3_T4_T5_mT6_T7_P12ihipStream_tbENKUlT_T0_E_clISt17integral_constantIbLb0EESX_EEDaSS_ST_EUlSS_E_NS1_11comp_targetILNS1_3genE2ELNS1_11target_archE906ELNS1_3gpuE6ELNS1_3repE0EEENS1_30default_config_static_selectorELNS0_4arch9wavefront6targetE0EEEvT1_,comdat
.Lfunc_end15:
	.size	_ZN7rocprim17ROCPRIM_400000_NS6detail17trampoline_kernelINS0_14default_configENS1_27scan_by_key_config_selectorIiiEEZZNS1_16scan_by_key_implILNS1_25lookback_scan_determinismE0ELb0ES3_PKiN6hipcub16HIPCUB_304000_NS21ConstantInputIteratorIilEEPiiNSB_3SumENSB_8EqualityEiEE10hipError_tPvRmT2_T3_T4_T5_mT6_T7_P12ihipStream_tbENKUlT_T0_E_clISt17integral_constantIbLb0EESX_EEDaSS_ST_EUlSS_E_NS1_11comp_targetILNS1_3genE2ELNS1_11target_archE906ELNS1_3gpuE6ELNS1_3repE0EEENS1_30default_config_static_selectorELNS0_4arch9wavefront6targetE0EEEvT1_, .Lfunc_end15-_ZN7rocprim17ROCPRIM_400000_NS6detail17trampoline_kernelINS0_14default_configENS1_27scan_by_key_config_selectorIiiEEZZNS1_16scan_by_key_implILNS1_25lookback_scan_determinismE0ELb0ES3_PKiN6hipcub16HIPCUB_304000_NS21ConstantInputIteratorIilEEPiiNSB_3SumENSB_8EqualityEiEE10hipError_tPvRmT2_T3_T4_T5_mT6_T7_P12ihipStream_tbENKUlT_T0_E_clISt17integral_constantIbLb0EESX_EEDaSS_ST_EUlSS_E_NS1_11comp_targetILNS1_3genE2ELNS1_11target_archE906ELNS1_3gpuE6ELNS1_3repE0EEENS1_30default_config_static_selectorELNS0_4arch9wavefront6targetE0EEEvT1_
                                        ; -- End function
	.set _ZN7rocprim17ROCPRIM_400000_NS6detail17trampoline_kernelINS0_14default_configENS1_27scan_by_key_config_selectorIiiEEZZNS1_16scan_by_key_implILNS1_25lookback_scan_determinismE0ELb0ES3_PKiN6hipcub16HIPCUB_304000_NS21ConstantInputIteratorIilEEPiiNSB_3SumENSB_8EqualityEiEE10hipError_tPvRmT2_T3_T4_T5_mT6_T7_P12ihipStream_tbENKUlT_T0_E_clISt17integral_constantIbLb0EESX_EEDaSS_ST_EUlSS_E_NS1_11comp_targetILNS1_3genE2ELNS1_11target_archE906ELNS1_3gpuE6ELNS1_3repE0EEENS1_30default_config_static_selectorELNS0_4arch9wavefront6targetE0EEEvT1_.num_vgpr, 0
	.set _ZN7rocprim17ROCPRIM_400000_NS6detail17trampoline_kernelINS0_14default_configENS1_27scan_by_key_config_selectorIiiEEZZNS1_16scan_by_key_implILNS1_25lookback_scan_determinismE0ELb0ES3_PKiN6hipcub16HIPCUB_304000_NS21ConstantInputIteratorIilEEPiiNSB_3SumENSB_8EqualityEiEE10hipError_tPvRmT2_T3_T4_T5_mT6_T7_P12ihipStream_tbENKUlT_T0_E_clISt17integral_constantIbLb0EESX_EEDaSS_ST_EUlSS_E_NS1_11comp_targetILNS1_3genE2ELNS1_11target_archE906ELNS1_3gpuE6ELNS1_3repE0EEENS1_30default_config_static_selectorELNS0_4arch9wavefront6targetE0EEEvT1_.num_agpr, 0
	.set _ZN7rocprim17ROCPRIM_400000_NS6detail17trampoline_kernelINS0_14default_configENS1_27scan_by_key_config_selectorIiiEEZZNS1_16scan_by_key_implILNS1_25lookback_scan_determinismE0ELb0ES3_PKiN6hipcub16HIPCUB_304000_NS21ConstantInputIteratorIilEEPiiNSB_3SumENSB_8EqualityEiEE10hipError_tPvRmT2_T3_T4_T5_mT6_T7_P12ihipStream_tbENKUlT_T0_E_clISt17integral_constantIbLb0EESX_EEDaSS_ST_EUlSS_E_NS1_11comp_targetILNS1_3genE2ELNS1_11target_archE906ELNS1_3gpuE6ELNS1_3repE0EEENS1_30default_config_static_selectorELNS0_4arch9wavefront6targetE0EEEvT1_.numbered_sgpr, 0
	.set _ZN7rocprim17ROCPRIM_400000_NS6detail17trampoline_kernelINS0_14default_configENS1_27scan_by_key_config_selectorIiiEEZZNS1_16scan_by_key_implILNS1_25lookback_scan_determinismE0ELb0ES3_PKiN6hipcub16HIPCUB_304000_NS21ConstantInputIteratorIilEEPiiNSB_3SumENSB_8EqualityEiEE10hipError_tPvRmT2_T3_T4_T5_mT6_T7_P12ihipStream_tbENKUlT_T0_E_clISt17integral_constantIbLb0EESX_EEDaSS_ST_EUlSS_E_NS1_11comp_targetILNS1_3genE2ELNS1_11target_archE906ELNS1_3gpuE6ELNS1_3repE0EEENS1_30default_config_static_selectorELNS0_4arch9wavefront6targetE0EEEvT1_.num_named_barrier, 0
	.set _ZN7rocprim17ROCPRIM_400000_NS6detail17trampoline_kernelINS0_14default_configENS1_27scan_by_key_config_selectorIiiEEZZNS1_16scan_by_key_implILNS1_25lookback_scan_determinismE0ELb0ES3_PKiN6hipcub16HIPCUB_304000_NS21ConstantInputIteratorIilEEPiiNSB_3SumENSB_8EqualityEiEE10hipError_tPvRmT2_T3_T4_T5_mT6_T7_P12ihipStream_tbENKUlT_T0_E_clISt17integral_constantIbLb0EESX_EEDaSS_ST_EUlSS_E_NS1_11comp_targetILNS1_3genE2ELNS1_11target_archE906ELNS1_3gpuE6ELNS1_3repE0EEENS1_30default_config_static_selectorELNS0_4arch9wavefront6targetE0EEEvT1_.private_seg_size, 0
	.set _ZN7rocprim17ROCPRIM_400000_NS6detail17trampoline_kernelINS0_14default_configENS1_27scan_by_key_config_selectorIiiEEZZNS1_16scan_by_key_implILNS1_25lookback_scan_determinismE0ELb0ES3_PKiN6hipcub16HIPCUB_304000_NS21ConstantInputIteratorIilEEPiiNSB_3SumENSB_8EqualityEiEE10hipError_tPvRmT2_T3_T4_T5_mT6_T7_P12ihipStream_tbENKUlT_T0_E_clISt17integral_constantIbLb0EESX_EEDaSS_ST_EUlSS_E_NS1_11comp_targetILNS1_3genE2ELNS1_11target_archE906ELNS1_3gpuE6ELNS1_3repE0EEENS1_30default_config_static_selectorELNS0_4arch9wavefront6targetE0EEEvT1_.uses_vcc, 0
	.set _ZN7rocprim17ROCPRIM_400000_NS6detail17trampoline_kernelINS0_14default_configENS1_27scan_by_key_config_selectorIiiEEZZNS1_16scan_by_key_implILNS1_25lookback_scan_determinismE0ELb0ES3_PKiN6hipcub16HIPCUB_304000_NS21ConstantInputIteratorIilEEPiiNSB_3SumENSB_8EqualityEiEE10hipError_tPvRmT2_T3_T4_T5_mT6_T7_P12ihipStream_tbENKUlT_T0_E_clISt17integral_constantIbLb0EESX_EEDaSS_ST_EUlSS_E_NS1_11comp_targetILNS1_3genE2ELNS1_11target_archE906ELNS1_3gpuE6ELNS1_3repE0EEENS1_30default_config_static_selectorELNS0_4arch9wavefront6targetE0EEEvT1_.uses_flat_scratch, 0
	.set _ZN7rocprim17ROCPRIM_400000_NS6detail17trampoline_kernelINS0_14default_configENS1_27scan_by_key_config_selectorIiiEEZZNS1_16scan_by_key_implILNS1_25lookback_scan_determinismE0ELb0ES3_PKiN6hipcub16HIPCUB_304000_NS21ConstantInputIteratorIilEEPiiNSB_3SumENSB_8EqualityEiEE10hipError_tPvRmT2_T3_T4_T5_mT6_T7_P12ihipStream_tbENKUlT_T0_E_clISt17integral_constantIbLb0EESX_EEDaSS_ST_EUlSS_E_NS1_11comp_targetILNS1_3genE2ELNS1_11target_archE906ELNS1_3gpuE6ELNS1_3repE0EEENS1_30default_config_static_selectorELNS0_4arch9wavefront6targetE0EEEvT1_.has_dyn_sized_stack, 0
	.set _ZN7rocprim17ROCPRIM_400000_NS6detail17trampoline_kernelINS0_14default_configENS1_27scan_by_key_config_selectorIiiEEZZNS1_16scan_by_key_implILNS1_25lookback_scan_determinismE0ELb0ES3_PKiN6hipcub16HIPCUB_304000_NS21ConstantInputIteratorIilEEPiiNSB_3SumENSB_8EqualityEiEE10hipError_tPvRmT2_T3_T4_T5_mT6_T7_P12ihipStream_tbENKUlT_T0_E_clISt17integral_constantIbLb0EESX_EEDaSS_ST_EUlSS_E_NS1_11comp_targetILNS1_3genE2ELNS1_11target_archE906ELNS1_3gpuE6ELNS1_3repE0EEENS1_30default_config_static_selectorELNS0_4arch9wavefront6targetE0EEEvT1_.has_recursion, 0
	.set _ZN7rocprim17ROCPRIM_400000_NS6detail17trampoline_kernelINS0_14default_configENS1_27scan_by_key_config_selectorIiiEEZZNS1_16scan_by_key_implILNS1_25lookback_scan_determinismE0ELb0ES3_PKiN6hipcub16HIPCUB_304000_NS21ConstantInputIteratorIilEEPiiNSB_3SumENSB_8EqualityEiEE10hipError_tPvRmT2_T3_T4_T5_mT6_T7_P12ihipStream_tbENKUlT_T0_E_clISt17integral_constantIbLb0EESX_EEDaSS_ST_EUlSS_E_NS1_11comp_targetILNS1_3genE2ELNS1_11target_archE906ELNS1_3gpuE6ELNS1_3repE0EEENS1_30default_config_static_selectorELNS0_4arch9wavefront6targetE0EEEvT1_.has_indirect_call, 0
	.section	.AMDGPU.csdata,"",@progbits
; Kernel info:
; codeLenInByte = 0
; TotalNumSgprs: 0
; NumVgprs: 0
; ScratchSize: 0
; MemoryBound: 0
; FloatMode: 240
; IeeeMode: 1
; LDSByteSize: 0 bytes/workgroup (compile time only)
; SGPRBlocks: 0
; VGPRBlocks: 0
; NumSGPRsForWavesPerEU: 1
; NumVGPRsForWavesPerEU: 1
; NamedBarCnt: 0
; Occupancy: 16
; WaveLimiterHint : 0
; COMPUTE_PGM_RSRC2:SCRATCH_EN: 0
; COMPUTE_PGM_RSRC2:USER_SGPR: 2
; COMPUTE_PGM_RSRC2:TRAP_HANDLER: 0
; COMPUTE_PGM_RSRC2:TGID_X_EN: 1
; COMPUTE_PGM_RSRC2:TGID_Y_EN: 0
; COMPUTE_PGM_RSRC2:TGID_Z_EN: 0
; COMPUTE_PGM_RSRC2:TIDIG_COMP_CNT: 0
	.section	.text._ZN7rocprim17ROCPRIM_400000_NS6detail17trampoline_kernelINS0_14default_configENS1_27scan_by_key_config_selectorIiiEEZZNS1_16scan_by_key_implILNS1_25lookback_scan_determinismE0ELb0ES3_PKiN6hipcub16HIPCUB_304000_NS21ConstantInputIteratorIilEEPiiNSB_3SumENSB_8EqualityEiEE10hipError_tPvRmT2_T3_T4_T5_mT6_T7_P12ihipStream_tbENKUlT_T0_E_clISt17integral_constantIbLb0EESX_EEDaSS_ST_EUlSS_E_NS1_11comp_targetILNS1_3genE10ELNS1_11target_archE1200ELNS1_3gpuE4ELNS1_3repE0EEENS1_30default_config_static_selectorELNS0_4arch9wavefront6targetE0EEEvT1_,"axG",@progbits,_ZN7rocprim17ROCPRIM_400000_NS6detail17trampoline_kernelINS0_14default_configENS1_27scan_by_key_config_selectorIiiEEZZNS1_16scan_by_key_implILNS1_25lookback_scan_determinismE0ELb0ES3_PKiN6hipcub16HIPCUB_304000_NS21ConstantInputIteratorIilEEPiiNSB_3SumENSB_8EqualityEiEE10hipError_tPvRmT2_T3_T4_T5_mT6_T7_P12ihipStream_tbENKUlT_T0_E_clISt17integral_constantIbLb0EESX_EEDaSS_ST_EUlSS_E_NS1_11comp_targetILNS1_3genE10ELNS1_11target_archE1200ELNS1_3gpuE4ELNS1_3repE0EEENS1_30default_config_static_selectorELNS0_4arch9wavefront6targetE0EEEvT1_,comdat
	.protected	_ZN7rocprim17ROCPRIM_400000_NS6detail17trampoline_kernelINS0_14default_configENS1_27scan_by_key_config_selectorIiiEEZZNS1_16scan_by_key_implILNS1_25lookback_scan_determinismE0ELb0ES3_PKiN6hipcub16HIPCUB_304000_NS21ConstantInputIteratorIilEEPiiNSB_3SumENSB_8EqualityEiEE10hipError_tPvRmT2_T3_T4_T5_mT6_T7_P12ihipStream_tbENKUlT_T0_E_clISt17integral_constantIbLb0EESX_EEDaSS_ST_EUlSS_E_NS1_11comp_targetILNS1_3genE10ELNS1_11target_archE1200ELNS1_3gpuE4ELNS1_3repE0EEENS1_30default_config_static_selectorELNS0_4arch9wavefront6targetE0EEEvT1_ ; -- Begin function _ZN7rocprim17ROCPRIM_400000_NS6detail17trampoline_kernelINS0_14default_configENS1_27scan_by_key_config_selectorIiiEEZZNS1_16scan_by_key_implILNS1_25lookback_scan_determinismE0ELb0ES3_PKiN6hipcub16HIPCUB_304000_NS21ConstantInputIteratorIilEEPiiNSB_3SumENSB_8EqualityEiEE10hipError_tPvRmT2_T3_T4_T5_mT6_T7_P12ihipStream_tbENKUlT_T0_E_clISt17integral_constantIbLb0EESX_EEDaSS_ST_EUlSS_E_NS1_11comp_targetILNS1_3genE10ELNS1_11target_archE1200ELNS1_3gpuE4ELNS1_3repE0EEENS1_30default_config_static_selectorELNS0_4arch9wavefront6targetE0EEEvT1_
	.globl	_ZN7rocprim17ROCPRIM_400000_NS6detail17trampoline_kernelINS0_14default_configENS1_27scan_by_key_config_selectorIiiEEZZNS1_16scan_by_key_implILNS1_25lookback_scan_determinismE0ELb0ES3_PKiN6hipcub16HIPCUB_304000_NS21ConstantInputIteratorIilEEPiiNSB_3SumENSB_8EqualityEiEE10hipError_tPvRmT2_T3_T4_T5_mT6_T7_P12ihipStream_tbENKUlT_T0_E_clISt17integral_constantIbLb0EESX_EEDaSS_ST_EUlSS_E_NS1_11comp_targetILNS1_3genE10ELNS1_11target_archE1200ELNS1_3gpuE4ELNS1_3repE0EEENS1_30default_config_static_selectorELNS0_4arch9wavefront6targetE0EEEvT1_
	.p2align	8
	.type	_ZN7rocprim17ROCPRIM_400000_NS6detail17trampoline_kernelINS0_14default_configENS1_27scan_by_key_config_selectorIiiEEZZNS1_16scan_by_key_implILNS1_25lookback_scan_determinismE0ELb0ES3_PKiN6hipcub16HIPCUB_304000_NS21ConstantInputIteratorIilEEPiiNSB_3SumENSB_8EqualityEiEE10hipError_tPvRmT2_T3_T4_T5_mT6_T7_P12ihipStream_tbENKUlT_T0_E_clISt17integral_constantIbLb0EESX_EEDaSS_ST_EUlSS_E_NS1_11comp_targetILNS1_3genE10ELNS1_11target_archE1200ELNS1_3gpuE4ELNS1_3repE0EEENS1_30default_config_static_selectorELNS0_4arch9wavefront6targetE0EEEvT1_,@function
_ZN7rocprim17ROCPRIM_400000_NS6detail17trampoline_kernelINS0_14default_configENS1_27scan_by_key_config_selectorIiiEEZZNS1_16scan_by_key_implILNS1_25lookback_scan_determinismE0ELb0ES3_PKiN6hipcub16HIPCUB_304000_NS21ConstantInputIteratorIilEEPiiNSB_3SumENSB_8EqualityEiEE10hipError_tPvRmT2_T3_T4_T5_mT6_T7_P12ihipStream_tbENKUlT_T0_E_clISt17integral_constantIbLb0EESX_EEDaSS_ST_EUlSS_E_NS1_11comp_targetILNS1_3genE10ELNS1_11target_archE1200ELNS1_3gpuE4ELNS1_3repE0EEENS1_30default_config_static_selectorELNS0_4arch9wavefront6targetE0EEEvT1_: ; @_ZN7rocprim17ROCPRIM_400000_NS6detail17trampoline_kernelINS0_14default_configENS1_27scan_by_key_config_selectorIiiEEZZNS1_16scan_by_key_implILNS1_25lookback_scan_determinismE0ELb0ES3_PKiN6hipcub16HIPCUB_304000_NS21ConstantInputIteratorIilEEPiiNSB_3SumENSB_8EqualityEiEE10hipError_tPvRmT2_T3_T4_T5_mT6_T7_P12ihipStream_tbENKUlT_T0_E_clISt17integral_constantIbLb0EESX_EEDaSS_ST_EUlSS_E_NS1_11comp_targetILNS1_3genE10ELNS1_11target_archE1200ELNS1_3gpuE4ELNS1_3repE0EEENS1_30default_config_static_selectorELNS0_4arch9wavefront6targetE0EEEvT1_
; %bb.0:
	.section	.rodata,"a",@progbits
	.p2align	6, 0x0
	.amdhsa_kernel _ZN7rocprim17ROCPRIM_400000_NS6detail17trampoline_kernelINS0_14default_configENS1_27scan_by_key_config_selectorIiiEEZZNS1_16scan_by_key_implILNS1_25lookback_scan_determinismE0ELb0ES3_PKiN6hipcub16HIPCUB_304000_NS21ConstantInputIteratorIilEEPiiNSB_3SumENSB_8EqualityEiEE10hipError_tPvRmT2_T3_T4_T5_mT6_T7_P12ihipStream_tbENKUlT_T0_E_clISt17integral_constantIbLb0EESX_EEDaSS_ST_EUlSS_E_NS1_11comp_targetILNS1_3genE10ELNS1_11target_archE1200ELNS1_3gpuE4ELNS1_3repE0EEENS1_30default_config_static_selectorELNS0_4arch9wavefront6targetE0EEEvT1_
		.amdhsa_group_segment_fixed_size 0
		.amdhsa_private_segment_fixed_size 0
		.amdhsa_kernarg_size 120
		.amdhsa_user_sgpr_count 2
		.amdhsa_user_sgpr_dispatch_ptr 0
		.amdhsa_user_sgpr_queue_ptr 0
		.amdhsa_user_sgpr_kernarg_segment_ptr 1
		.amdhsa_user_sgpr_dispatch_id 0
		.amdhsa_user_sgpr_kernarg_preload_length 0
		.amdhsa_user_sgpr_kernarg_preload_offset 0
		.amdhsa_user_sgpr_private_segment_size 0
		.amdhsa_wavefront_size32 1
		.amdhsa_uses_dynamic_stack 0
		.amdhsa_enable_private_segment 0
		.amdhsa_system_sgpr_workgroup_id_x 1
		.amdhsa_system_sgpr_workgroup_id_y 0
		.amdhsa_system_sgpr_workgroup_id_z 0
		.amdhsa_system_sgpr_workgroup_info 0
		.amdhsa_system_vgpr_workitem_id 0
		.amdhsa_next_free_vgpr 1
		.amdhsa_next_free_sgpr 1
		.amdhsa_named_barrier_count 0
		.amdhsa_reserve_vcc 0
		.amdhsa_float_round_mode_32 0
		.amdhsa_float_round_mode_16_64 0
		.amdhsa_float_denorm_mode_32 3
		.amdhsa_float_denorm_mode_16_64 3
		.amdhsa_fp16_overflow 0
		.amdhsa_memory_ordered 1
		.amdhsa_forward_progress 1
		.amdhsa_inst_pref_size 0
		.amdhsa_round_robin_scheduling 0
		.amdhsa_exception_fp_ieee_invalid_op 0
		.amdhsa_exception_fp_denorm_src 0
		.amdhsa_exception_fp_ieee_div_zero 0
		.amdhsa_exception_fp_ieee_overflow 0
		.amdhsa_exception_fp_ieee_underflow 0
		.amdhsa_exception_fp_ieee_inexact 0
		.amdhsa_exception_int_div_zero 0
	.end_amdhsa_kernel
	.section	.text._ZN7rocprim17ROCPRIM_400000_NS6detail17trampoline_kernelINS0_14default_configENS1_27scan_by_key_config_selectorIiiEEZZNS1_16scan_by_key_implILNS1_25lookback_scan_determinismE0ELb0ES3_PKiN6hipcub16HIPCUB_304000_NS21ConstantInputIteratorIilEEPiiNSB_3SumENSB_8EqualityEiEE10hipError_tPvRmT2_T3_T4_T5_mT6_T7_P12ihipStream_tbENKUlT_T0_E_clISt17integral_constantIbLb0EESX_EEDaSS_ST_EUlSS_E_NS1_11comp_targetILNS1_3genE10ELNS1_11target_archE1200ELNS1_3gpuE4ELNS1_3repE0EEENS1_30default_config_static_selectorELNS0_4arch9wavefront6targetE0EEEvT1_,"axG",@progbits,_ZN7rocprim17ROCPRIM_400000_NS6detail17trampoline_kernelINS0_14default_configENS1_27scan_by_key_config_selectorIiiEEZZNS1_16scan_by_key_implILNS1_25lookback_scan_determinismE0ELb0ES3_PKiN6hipcub16HIPCUB_304000_NS21ConstantInputIteratorIilEEPiiNSB_3SumENSB_8EqualityEiEE10hipError_tPvRmT2_T3_T4_T5_mT6_T7_P12ihipStream_tbENKUlT_T0_E_clISt17integral_constantIbLb0EESX_EEDaSS_ST_EUlSS_E_NS1_11comp_targetILNS1_3genE10ELNS1_11target_archE1200ELNS1_3gpuE4ELNS1_3repE0EEENS1_30default_config_static_selectorELNS0_4arch9wavefront6targetE0EEEvT1_,comdat
.Lfunc_end16:
	.size	_ZN7rocprim17ROCPRIM_400000_NS6detail17trampoline_kernelINS0_14default_configENS1_27scan_by_key_config_selectorIiiEEZZNS1_16scan_by_key_implILNS1_25lookback_scan_determinismE0ELb0ES3_PKiN6hipcub16HIPCUB_304000_NS21ConstantInputIteratorIilEEPiiNSB_3SumENSB_8EqualityEiEE10hipError_tPvRmT2_T3_T4_T5_mT6_T7_P12ihipStream_tbENKUlT_T0_E_clISt17integral_constantIbLb0EESX_EEDaSS_ST_EUlSS_E_NS1_11comp_targetILNS1_3genE10ELNS1_11target_archE1200ELNS1_3gpuE4ELNS1_3repE0EEENS1_30default_config_static_selectorELNS0_4arch9wavefront6targetE0EEEvT1_, .Lfunc_end16-_ZN7rocprim17ROCPRIM_400000_NS6detail17trampoline_kernelINS0_14default_configENS1_27scan_by_key_config_selectorIiiEEZZNS1_16scan_by_key_implILNS1_25lookback_scan_determinismE0ELb0ES3_PKiN6hipcub16HIPCUB_304000_NS21ConstantInputIteratorIilEEPiiNSB_3SumENSB_8EqualityEiEE10hipError_tPvRmT2_T3_T4_T5_mT6_T7_P12ihipStream_tbENKUlT_T0_E_clISt17integral_constantIbLb0EESX_EEDaSS_ST_EUlSS_E_NS1_11comp_targetILNS1_3genE10ELNS1_11target_archE1200ELNS1_3gpuE4ELNS1_3repE0EEENS1_30default_config_static_selectorELNS0_4arch9wavefront6targetE0EEEvT1_
                                        ; -- End function
	.set _ZN7rocprim17ROCPRIM_400000_NS6detail17trampoline_kernelINS0_14default_configENS1_27scan_by_key_config_selectorIiiEEZZNS1_16scan_by_key_implILNS1_25lookback_scan_determinismE0ELb0ES3_PKiN6hipcub16HIPCUB_304000_NS21ConstantInputIteratorIilEEPiiNSB_3SumENSB_8EqualityEiEE10hipError_tPvRmT2_T3_T4_T5_mT6_T7_P12ihipStream_tbENKUlT_T0_E_clISt17integral_constantIbLb0EESX_EEDaSS_ST_EUlSS_E_NS1_11comp_targetILNS1_3genE10ELNS1_11target_archE1200ELNS1_3gpuE4ELNS1_3repE0EEENS1_30default_config_static_selectorELNS0_4arch9wavefront6targetE0EEEvT1_.num_vgpr, 0
	.set _ZN7rocprim17ROCPRIM_400000_NS6detail17trampoline_kernelINS0_14default_configENS1_27scan_by_key_config_selectorIiiEEZZNS1_16scan_by_key_implILNS1_25lookback_scan_determinismE0ELb0ES3_PKiN6hipcub16HIPCUB_304000_NS21ConstantInputIteratorIilEEPiiNSB_3SumENSB_8EqualityEiEE10hipError_tPvRmT2_T3_T4_T5_mT6_T7_P12ihipStream_tbENKUlT_T0_E_clISt17integral_constantIbLb0EESX_EEDaSS_ST_EUlSS_E_NS1_11comp_targetILNS1_3genE10ELNS1_11target_archE1200ELNS1_3gpuE4ELNS1_3repE0EEENS1_30default_config_static_selectorELNS0_4arch9wavefront6targetE0EEEvT1_.num_agpr, 0
	.set _ZN7rocprim17ROCPRIM_400000_NS6detail17trampoline_kernelINS0_14default_configENS1_27scan_by_key_config_selectorIiiEEZZNS1_16scan_by_key_implILNS1_25lookback_scan_determinismE0ELb0ES3_PKiN6hipcub16HIPCUB_304000_NS21ConstantInputIteratorIilEEPiiNSB_3SumENSB_8EqualityEiEE10hipError_tPvRmT2_T3_T4_T5_mT6_T7_P12ihipStream_tbENKUlT_T0_E_clISt17integral_constantIbLb0EESX_EEDaSS_ST_EUlSS_E_NS1_11comp_targetILNS1_3genE10ELNS1_11target_archE1200ELNS1_3gpuE4ELNS1_3repE0EEENS1_30default_config_static_selectorELNS0_4arch9wavefront6targetE0EEEvT1_.numbered_sgpr, 0
	.set _ZN7rocprim17ROCPRIM_400000_NS6detail17trampoline_kernelINS0_14default_configENS1_27scan_by_key_config_selectorIiiEEZZNS1_16scan_by_key_implILNS1_25lookback_scan_determinismE0ELb0ES3_PKiN6hipcub16HIPCUB_304000_NS21ConstantInputIteratorIilEEPiiNSB_3SumENSB_8EqualityEiEE10hipError_tPvRmT2_T3_T4_T5_mT6_T7_P12ihipStream_tbENKUlT_T0_E_clISt17integral_constantIbLb0EESX_EEDaSS_ST_EUlSS_E_NS1_11comp_targetILNS1_3genE10ELNS1_11target_archE1200ELNS1_3gpuE4ELNS1_3repE0EEENS1_30default_config_static_selectorELNS0_4arch9wavefront6targetE0EEEvT1_.num_named_barrier, 0
	.set _ZN7rocprim17ROCPRIM_400000_NS6detail17trampoline_kernelINS0_14default_configENS1_27scan_by_key_config_selectorIiiEEZZNS1_16scan_by_key_implILNS1_25lookback_scan_determinismE0ELb0ES3_PKiN6hipcub16HIPCUB_304000_NS21ConstantInputIteratorIilEEPiiNSB_3SumENSB_8EqualityEiEE10hipError_tPvRmT2_T3_T4_T5_mT6_T7_P12ihipStream_tbENKUlT_T0_E_clISt17integral_constantIbLb0EESX_EEDaSS_ST_EUlSS_E_NS1_11comp_targetILNS1_3genE10ELNS1_11target_archE1200ELNS1_3gpuE4ELNS1_3repE0EEENS1_30default_config_static_selectorELNS0_4arch9wavefront6targetE0EEEvT1_.private_seg_size, 0
	.set _ZN7rocprim17ROCPRIM_400000_NS6detail17trampoline_kernelINS0_14default_configENS1_27scan_by_key_config_selectorIiiEEZZNS1_16scan_by_key_implILNS1_25lookback_scan_determinismE0ELb0ES3_PKiN6hipcub16HIPCUB_304000_NS21ConstantInputIteratorIilEEPiiNSB_3SumENSB_8EqualityEiEE10hipError_tPvRmT2_T3_T4_T5_mT6_T7_P12ihipStream_tbENKUlT_T0_E_clISt17integral_constantIbLb0EESX_EEDaSS_ST_EUlSS_E_NS1_11comp_targetILNS1_3genE10ELNS1_11target_archE1200ELNS1_3gpuE4ELNS1_3repE0EEENS1_30default_config_static_selectorELNS0_4arch9wavefront6targetE0EEEvT1_.uses_vcc, 0
	.set _ZN7rocprim17ROCPRIM_400000_NS6detail17trampoline_kernelINS0_14default_configENS1_27scan_by_key_config_selectorIiiEEZZNS1_16scan_by_key_implILNS1_25lookback_scan_determinismE0ELb0ES3_PKiN6hipcub16HIPCUB_304000_NS21ConstantInputIteratorIilEEPiiNSB_3SumENSB_8EqualityEiEE10hipError_tPvRmT2_T3_T4_T5_mT6_T7_P12ihipStream_tbENKUlT_T0_E_clISt17integral_constantIbLb0EESX_EEDaSS_ST_EUlSS_E_NS1_11comp_targetILNS1_3genE10ELNS1_11target_archE1200ELNS1_3gpuE4ELNS1_3repE0EEENS1_30default_config_static_selectorELNS0_4arch9wavefront6targetE0EEEvT1_.uses_flat_scratch, 0
	.set _ZN7rocprim17ROCPRIM_400000_NS6detail17trampoline_kernelINS0_14default_configENS1_27scan_by_key_config_selectorIiiEEZZNS1_16scan_by_key_implILNS1_25lookback_scan_determinismE0ELb0ES3_PKiN6hipcub16HIPCUB_304000_NS21ConstantInputIteratorIilEEPiiNSB_3SumENSB_8EqualityEiEE10hipError_tPvRmT2_T3_T4_T5_mT6_T7_P12ihipStream_tbENKUlT_T0_E_clISt17integral_constantIbLb0EESX_EEDaSS_ST_EUlSS_E_NS1_11comp_targetILNS1_3genE10ELNS1_11target_archE1200ELNS1_3gpuE4ELNS1_3repE0EEENS1_30default_config_static_selectorELNS0_4arch9wavefront6targetE0EEEvT1_.has_dyn_sized_stack, 0
	.set _ZN7rocprim17ROCPRIM_400000_NS6detail17trampoline_kernelINS0_14default_configENS1_27scan_by_key_config_selectorIiiEEZZNS1_16scan_by_key_implILNS1_25lookback_scan_determinismE0ELb0ES3_PKiN6hipcub16HIPCUB_304000_NS21ConstantInputIteratorIilEEPiiNSB_3SumENSB_8EqualityEiEE10hipError_tPvRmT2_T3_T4_T5_mT6_T7_P12ihipStream_tbENKUlT_T0_E_clISt17integral_constantIbLb0EESX_EEDaSS_ST_EUlSS_E_NS1_11comp_targetILNS1_3genE10ELNS1_11target_archE1200ELNS1_3gpuE4ELNS1_3repE0EEENS1_30default_config_static_selectorELNS0_4arch9wavefront6targetE0EEEvT1_.has_recursion, 0
	.set _ZN7rocprim17ROCPRIM_400000_NS6detail17trampoline_kernelINS0_14default_configENS1_27scan_by_key_config_selectorIiiEEZZNS1_16scan_by_key_implILNS1_25lookback_scan_determinismE0ELb0ES3_PKiN6hipcub16HIPCUB_304000_NS21ConstantInputIteratorIilEEPiiNSB_3SumENSB_8EqualityEiEE10hipError_tPvRmT2_T3_T4_T5_mT6_T7_P12ihipStream_tbENKUlT_T0_E_clISt17integral_constantIbLb0EESX_EEDaSS_ST_EUlSS_E_NS1_11comp_targetILNS1_3genE10ELNS1_11target_archE1200ELNS1_3gpuE4ELNS1_3repE0EEENS1_30default_config_static_selectorELNS0_4arch9wavefront6targetE0EEEvT1_.has_indirect_call, 0
	.section	.AMDGPU.csdata,"",@progbits
; Kernel info:
; codeLenInByte = 0
; TotalNumSgprs: 0
; NumVgprs: 0
; ScratchSize: 0
; MemoryBound: 0
; FloatMode: 240
; IeeeMode: 1
; LDSByteSize: 0 bytes/workgroup (compile time only)
; SGPRBlocks: 0
; VGPRBlocks: 0
; NumSGPRsForWavesPerEU: 1
; NumVGPRsForWavesPerEU: 1
; NamedBarCnt: 0
; Occupancy: 16
; WaveLimiterHint : 0
; COMPUTE_PGM_RSRC2:SCRATCH_EN: 0
; COMPUTE_PGM_RSRC2:USER_SGPR: 2
; COMPUTE_PGM_RSRC2:TRAP_HANDLER: 0
; COMPUTE_PGM_RSRC2:TGID_X_EN: 1
; COMPUTE_PGM_RSRC2:TGID_Y_EN: 0
; COMPUTE_PGM_RSRC2:TGID_Z_EN: 0
; COMPUTE_PGM_RSRC2:TIDIG_COMP_CNT: 0
	.section	.text._ZN7rocprim17ROCPRIM_400000_NS6detail17trampoline_kernelINS0_14default_configENS1_27scan_by_key_config_selectorIiiEEZZNS1_16scan_by_key_implILNS1_25lookback_scan_determinismE0ELb0ES3_PKiN6hipcub16HIPCUB_304000_NS21ConstantInputIteratorIilEEPiiNSB_3SumENSB_8EqualityEiEE10hipError_tPvRmT2_T3_T4_T5_mT6_T7_P12ihipStream_tbENKUlT_T0_E_clISt17integral_constantIbLb0EESX_EEDaSS_ST_EUlSS_E_NS1_11comp_targetILNS1_3genE9ELNS1_11target_archE1100ELNS1_3gpuE3ELNS1_3repE0EEENS1_30default_config_static_selectorELNS0_4arch9wavefront6targetE0EEEvT1_,"axG",@progbits,_ZN7rocprim17ROCPRIM_400000_NS6detail17trampoline_kernelINS0_14default_configENS1_27scan_by_key_config_selectorIiiEEZZNS1_16scan_by_key_implILNS1_25lookback_scan_determinismE0ELb0ES3_PKiN6hipcub16HIPCUB_304000_NS21ConstantInputIteratorIilEEPiiNSB_3SumENSB_8EqualityEiEE10hipError_tPvRmT2_T3_T4_T5_mT6_T7_P12ihipStream_tbENKUlT_T0_E_clISt17integral_constantIbLb0EESX_EEDaSS_ST_EUlSS_E_NS1_11comp_targetILNS1_3genE9ELNS1_11target_archE1100ELNS1_3gpuE3ELNS1_3repE0EEENS1_30default_config_static_selectorELNS0_4arch9wavefront6targetE0EEEvT1_,comdat
	.protected	_ZN7rocprim17ROCPRIM_400000_NS6detail17trampoline_kernelINS0_14default_configENS1_27scan_by_key_config_selectorIiiEEZZNS1_16scan_by_key_implILNS1_25lookback_scan_determinismE0ELb0ES3_PKiN6hipcub16HIPCUB_304000_NS21ConstantInputIteratorIilEEPiiNSB_3SumENSB_8EqualityEiEE10hipError_tPvRmT2_T3_T4_T5_mT6_T7_P12ihipStream_tbENKUlT_T0_E_clISt17integral_constantIbLb0EESX_EEDaSS_ST_EUlSS_E_NS1_11comp_targetILNS1_3genE9ELNS1_11target_archE1100ELNS1_3gpuE3ELNS1_3repE0EEENS1_30default_config_static_selectorELNS0_4arch9wavefront6targetE0EEEvT1_ ; -- Begin function _ZN7rocprim17ROCPRIM_400000_NS6detail17trampoline_kernelINS0_14default_configENS1_27scan_by_key_config_selectorIiiEEZZNS1_16scan_by_key_implILNS1_25lookback_scan_determinismE0ELb0ES3_PKiN6hipcub16HIPCUB_304000_NS21ConstantInputIteratorIilEEPiiNSB_3SumENSB_8EqualityEiEE10hipError_tPvRmT2_T3_T4_T5_mT6_T7_P12ihipStream_tbENKUlT_T0_E_clISt17integral_constantIbLb0EESX_EEDaSS_ST_EUlSS_E_NS1_11comp_targetILNS1_3genE9ELNS1_11target_archE1100ELNS1_3gpuE3ELNS1_3repE0EEENS1_30default_config_static_selectorELNS0_4arch9wavefront6targetE0EEEvT1_
	.globl	_ZN7rocprim17ROCPRIM_400000_NS6detail17trampoline_kernelINS0_14default_configENS1_27scan_by_key_config_selectorIiiEEZZNS1_16scan_by_key_implILNS1_25lookback_scan_determinismE0ELb0ES3_PKiN6hipcub16HIPCUB_304000_NS21ConstantInputIteratorIilEEPiiNSB_3SumENSB_8EqualityEiEE10hipError_tPvRmT2_T3_T4_T5_mT6_T7_P12ihipStream_tbENKUlT_T0_E_clISt17integral_constantIbLb0EESX_EEDaSS_ST_EUlSS_E_NS1_11comp_targetILNS1_3genE9ELNS1_11target_archE1100ELNS1_3gpuE3ELNS1_3repE0EEENS1_30default_config_static_selectorELNS0_4arch9wavefront6targetE0EEEvT1_
	.p2align	8
	.type	_ZN7rocprim17ROCPRIM_400000_NS6detail17trampoline_kernelINS0_14default_configENS1_27scan_by_key_config_selectorIiiEEZZNS1_16scan_by_key_implILNS1_25lookback_scan_determinismE0ELb0ES3_PKiN6hipcub16HIPCUB_304000_NS21ConstantInputIteratorIilEEPiiNSB_3SumENSB_8EqualityEiEE10hipError_tPvRmT2_T3_T4_T5_mT6_T7_P12ihipStream_tbENKUlT_T0_E_clISt17integral_constantIbLb0EESX_EEDaSS_ST_EUlSS_E_NS1_11comp_targetILNS1_3genE9ELNS1_11target_archE1100ELNS1_3gpuE3ELNS1_3repE0EEENS1_30default_config_static_selectorELNS0_4arch9wavefront6targetE0EEEvT1_,@function
_ZN7rocprim17ROCPRIM_400000_NS6detail17trampoline_kernelINS0_14default_configENS1_27scan_by_key_config_selectorIiiEEZZNS1_16scan_by_key_implILNS1_25lookback_scan_determinismE0ELb0ES3_PKiN6hipcub16HIPCUB_304000_NS21ConstantInputIteratorIilEEPiiNSB_3SumENSB_8EqualityEiEE10hipError_tPvRmT2_T3_T4_T5_mT6_T7_P12ihipStream_tbENKUlT_T0_E_clISt17integral_constantIbLb0EESX_EEDaSS_ST_EUlSS_E_NS1_11comp_targetILNS1_3genE9ELNS1_11target_archE1100ELNS1_3gpuE3ELNS1_3repE0EEENS1_30default_config_static_selectorELNS0_4arch9wavefront6targetE0EEEvT1_: ; @_ZN7rocprim17ROCPRIM_400000_NS6detail17trampoline_kernelINS0_14default_configENS1_27scan_by_key_config_selectorIiiEEZZNS1_16scan_by_key_implILNS1_25lookback_scan_determinismE0ELb0ES3_PKiN6hipcub16HIPCUB_304000_NS21ConstantInputIteratorIilEEPiiNSB_3SumENSB_8EqualityEiEE10hipError_tPvRmT2_T3_T4_T5_mT6_T7_P12ihipStream_tbENKUlT_T0_E_clISt17integral_constantIbLb0EESX_EEDaSS_ST_EUlSS_E_NS1_11comp_targetILNS1_3genE9ELNS1_11target_archE1100ELNS1_3gpuE3ELNS1_3repE0EEENS1_30default_config_static_selectorELNS0_4arch9wavefront6targetE0EEEvT1_
; %bb.0:
	.section	.rodata,"a",@progbits
	.p2align	6, 0x0
	.amdhsa_kernel _ZN7rocprim17ROCPRIM_400000_NS6detail17trampoline_kernelINS0_14default_configENS1_27scan_by_key_config_selectorIiiEEZZNS1_16scan_by_key_implILNS1_25lookback_scan_determinismE0ELb0ES3_PKiN6hipcub16HIPCUB_304000_NS21ConstantInputIteratorIilEEPiiNSB_3SumENSB_8EqualityEiEE10hipError_tPvRmT2_T3_T4_T5_mT6_T7_P12ihipStream_tbENKUlT_T0_E_clISt17integral_constantIbLb0EESX_EEDaSS_ST_EUlSS_E_NS1_11comp_targetILNS1_3genE9ELNS1_11target_archE1100ELNS1_3gpuE3ELNS1_3repE0EEENS1_30default_config_static_selectorELNS0_4arch9wavefront6targetE0EEEvT1_
		.amdhsa_group_segment_fixed_size 0
		.amdhsa_private_segment_fixed_size 0
		.amdhsa_kernarg_size 120
		.amdhsa_user_sgpr_count 2
		.amdhsa_user_sgpr_dispatch_ptr 0
		.amdhsa_user_sgpr_queue_ptr 0
		.amdhsa_user_sgpr_kernarg_segment_ptr 1
		.amdhsa_user_sgpr_dispatch_id 0
		.amdhsa_user_sgpr_kernarg_preload_length 0
		.amdhsa_user_sgpr_kernarg_preload_offset 0
		.amdhsa_user_sgpr_private_segment_size 0
		.amdhsa_wavefront_size32 1
		.amdhsa_uses_dynamic_stack 0
		.amdhsa_enable_private_segment 0
		.amdhsa_system_sgpr_workgroup_id_x 1
		.amdhsa_system_sgpr_workgroup_id_y 0
		.amdhsa_system_sgpr_workgroup_id_z 0
		.amdhsa_system_sgpr_workgroup_info 0
		.amdhsa_system_vgpr_workitem_id 0
		.amdhsa_next_free_vgpr 1
		.amdhsa_next_free_sgpr 1
		.amdhsa_named_barrier_count 0
		.amdhsa_reserve_vcc 0
		.amdhsa_float_round_mode_32 0
		.amdhsa_float_round_mode_16_64 0
		.amdhsa_float_denorm_mode_32 3
		.amdhsa_float_denorm_mode_16_64 3
		.amdhsa_fp16_overflow 0
		.amdhsa_memory_ordered 1
		.amdhsa_forward_progress 1
		.amdhsa_inst_pref_size 0
		.amdhsa_round_robin_scheduling 0
		.amdhsa_exception_fp_ieee_invalid_op 0
		.amdhsa_exception_fp_denorm_src 0
		.amdhsa_exception_fp_ieee_div_zero 0
		.amdhsa_exception_fp_ieee_overflow 0
		.amdhsa_exception_fp_ieee_underflow 0
		.amdhsa_exception_fp_ieee_inexact 0
		.amdhsa_exception_int_div_zero 0
	.end_amdhsa_kernel
	.section	.text._ZN7rocprim17ROCPRIM_400000_NS6detail17trampoline_kernelINS0_14default_configENS1_27scan_by_key_config_selectorIiiEEZZNS1_16scan_by_key_implILNS1_25lookback_scan_determinismE0ELb0ES3_PKiN6hipcub16HIPCUB_304000_NS21ConstantInputIteratorIilEEPiiNSB_3SumENSB_8EqualityEiEE10hipError_tPvRmT2_T3_T4_T5_mT6_T7_P12ihipStream_tbENKUlT_T0_E_clISt17integral_constantIbLb0EESX_EEDaSS_ST_EUlSS_E_NS1_11comp_targetILNS1_3genE9ELNS1_11target_archE1100ELNS1_3gpuE3ELNS1_3repE0EEENS1_30default_config_static_selectorELNS0_4arch9wavefront6targetE0EEEvT1_,"axG",@progbits,_ZN7rocprim17ROCPRIM_400000_NS6detail17trampoline_kernelINS0_14default_configENS1_27scan_by_key_config_selectorIiiEEZZNS1_16scan_by_key_implILNS1_25lookback_scan_determinismE0ELb0ES3_PKiN6hipcub16HIPCUB_304000_NS21ConstantInputIteratorIilEEPiiNSB_3SumENSB_8EqualityEiEE10hipError_tPvRmT2_T3_T4_T5_mT6_T7_P12ihipStream_tbENKUlT_T0_E_clISt17integral_constantIbLb0EESX_EEDaSS_ST_EUlSS_E_NS1_11comp_targetILNS1_3genE9ELNS1_11target_archE1100ELNS1_3gpuE3ELNS1_3repE0EEENS1_30default_config_static_selectorELNS0_4arch9wavefront6targetE0EEEvT1_,comdat
.Lfunc_end17:
	.size	_ZN7rocprim17ROCPRIM_400000_NS6detail17trampoline_kernelINS0_14default_configENS1_27scan_by_key_config_selectorIiiEEZZNS1_16scan_by_key_implILNS1_25lookback_scan_determinismE0ELb0ES3_PKiN6hipcub16HIPCUB_304000_NS21ConstantInputIteratorIilEEPiiNSB_3SumENSB_8EqualityEiEE10hipError_tPvRmT2_T3_T4_T5_mT6_T7_P12ihipStream_tbENKUlT_T0_E_clISt17integral_constantIbLb0EESX_EEDaSS_ST_EUlSS_E_NS1_11comp_targetILNS1_3genE9ELNS1_11target_archE1100ELNS1_3gpuE3ELNS1_3repE0EEENS1_30default_config_static_selectorELNS0_4arch9wavefront6targetE0EEEvT1_, .Lfunc_end17-_ZN7rocprim17ROCPRIM_400000_NS6detail17trampoline_kernelINS0_14default_configENS1_27scan_by_key_config_selectorIiiEEZZNS1_16scan_by_key_implILNS1_25lookback_scan_determinismE0ELb0ES3_PKiN6hipcub16HIPCUB_304000_NS21ConstantInputIteratorIilEEPiiNSB_3SumENSB_8EqualityEiEE10hipError_tPvRmT2_T3_T4_T5_mT6_T7_P12ihipStream_tbENKUlT_T0_E_clISt17integral_constantIbLb0EESX_EEDaSS_ST_EUlSS_E_NS1_11comp_targetILNS1_3genE9ELNS1_11target_archE1100ELNS1_3gpuE3ELNS1_3repE0EEENS1_30default_config_static_selectorELNS0_4arch9wavefront6targetE0EEEvT1_
                                        ; -- End function
	.set _ZN7rocprim17ROCPRIM_400000_NS6detail17trampoline_kernelINS0_14default_configENS1_27scan_by_key_config_selectorIiiEEZZNS1_16scan_by_key_implILNS1_25lookback_scan_determinismE0ELb0ES3_PKiN6hipcub16HIPCUB_304000_NS21ConstantInputIteratorIilEEPiiNSB_3SumENSB_8EqualityEiEE10hipError_tPvRmT2_T3_T4_T5_mT6_T7_P12ihipStream_tbENKUlT_T0_E_clISt17integral_constantIbLb0EESX_EEDaSS_ST_EUlSS_E_NS1_11comp_targetILNS1_3genE9ELNS1_11target_archE1100ELNS1_3gpuE3ELNS1_3repE0EEENS1_30default_config_static_selectorELNS0_4arch9wavefront6targetE0EEEvT1_.num_vgpr, 0
	.set _ZN7rocprim17ROCPRIM_400000_NS6detail17trampoline_kernelINS0_14default_configENS1_27scan_by_key_config_selectorIiiEEZZNS1_16scan_by_key_implILNS1_25lookback_scan_determinismE0ELb0ES3_PKiN6hipcub16HIPCUB_304000_NS21ConstantInputIteratorIilEEPiiNSB_3SumENSB_8EqualityEiEE10hipError_tPvRmT2_T3_T4_T5_mT6_T7_P12ihipStream_tbENKUlT_T0_E_clISt17integral_constantIbLb0EESX_EEDaSS_ST_EUlSS_E_NS1_11comp_targetILNS1_3genE9ELNS1_11target_archE1100ELNS1_3gpuE3ELNS1_3repE0EEENS1_30default_config_static_selectorELNS0_4arch9wavefront6targetE0EEEvT1_.num_agpr, 0
	.set _ZN7rocprim17ROCPRIM_400000_NS6detail17trampoline_kernelINS0_14default_configENS1_27scan_by_key_config_selectorIiiEEZZNS1_16scan_by_key_implILNS1_25lookback_scan_determinismE0ELb0ES3_PKiN6hipcub16HIPCUB_304000_NS21ConstantInputIteratorIilEEPiiNSB_3SumENSB_8EqualityEiEE10hipError_tPvRmT2_T3_T4_T5_mT6_T7_P12ihipStream_tbENKUlT_T0_E_clISt17integral_constantIbLb0EESX_EEDaSS_ST_EUlSS_E_NS1_11comp_targetILNS1_3genE9ELNS1_11target_archE1100ELNS1_3gpuE3ELNS1_3repE0EEENS1_30default_config_static_selectorELNS0_4arch9wavefront6targetE0EEEvT1_.numbered_sgpr, 0
	.set _ZN7rocprim17ROCPRIM_400000_NS6detail17trampoline_kernelINS0_14default_configENS1_27scan_by_key_config_selectorIiiEEZZNS1_16scan_by_key_implILNS1_25lookback_scan_determinismE0ELb0ES3_PKiN6hipcub16HIPCUB_304000_NS21ConstantInputIteratorIilEEPiiNSB_3SumENSB_8EqualityEiEE10hipError_tPvRmT2_T3_T4_T5_mT6_T7_P12ihipStream_tbENKUlT_T0_E_clISt17integral_constantIbLb0EESX_EEDaSS_ST_EUlSS_E_NS1_11comp_targetILNS1_3genE9ELNS1_11target_archE1100ELNS1_3gpuE3ELNS1_3repE0EEENS1_30default_config_static_selectorELNS0_4arch9wavefront6targetE0EEEvT1_.num_named_barrier, 0
	.set _ZN7rocprim17ROCPRIM_400000_NS6detail17trampoline_kernelINS0_14default_configENS1_27scan_by_key_config_selectorIiiEEZZNS1_16scan_by_key_implILNS1_25lookback_scan_determinismE0ELb0ES3_PKiN6hipcub16HIPCUB_304000_NS21ConstantInputIteratorIilEEPiiNSB_3SumENSB_8EqualityEiEE10hipError_tPvRmT2_T3_T4_T5_mT6_T7_P12ihipStream_tbENKUlT_T0_E_clISt17integral_constantIbLb0EESX_EEDaSS_ST_EUlSS_E_NS1_11comp_targetILNS1_3genE9ELNS1_11target_archE1100ELNS1_3gpuE3ELNS1_3repE0EEENS1_30default_config_static_selectorELNS0_4arch9wavefront6targetE0EEEvT1_.private_seg_size, 0
	.set _ZN7rocprim17ROCPRIM_400000_NS6detail17trampoline_kernelINS0_14default_configENS1_27scan_by_key_config_selectorIiiEEZZNS1_16scan_by_key_implILNS1_25lookback_scan_determinismE0ELb0ES3_PKiN6hipcub16HIPCUB_304000_NS21ConstantInputIteratorIilEEPiiNSB_3SumENSB_8EqualityEiEE10hipError_tPvRmT2_T3_T4_T5_mT6_T7_P12ihipStream_tbENKUlT_T0_E_clISt17integral_constantIbLb0EESX_EEDaSS_ST_EUlSS_E_NS1_11comp_targetILNS1_3genE9ELNS1_11target_archE1100ELNS1_3gpuE3ELNS1_3repE0EEENS1_30default_config_static_selectorELNS0_4arch9wavefront6targetE0EEEvT1_.uses_vcc, 0
	.set _ZN7rocprim17ROCPRIM_400000_NS6detail17trampoline_kernelINS0_14default_configENS1_27scan_by_key_config_selectorIiiEEZZNS1_16scan_by_key_implILNS1_25lookback_scan_determinismE0ELb0ES3_PKiN6hipcub16HIPCUB_304000_NS21ConstantInputIteratorIilEEPiiNSB_3SumENSB_8EqualityEiEE10hipError_tPvRmT2_T3_T4_T5_mT6_T7_P12ihipStream_tbENKUlT_T0_E_clISt17integral_constantIbLb0EESX_EEDaSS_ST_EUlSS_E_NS1_11comp_targetILNS1_3genE9ELNS1_11target_archE1100ELNS1_3gpuE3ELNS1_3repE0EEENS1_30default_config_static_selectorELNS0_4arch9wavefront6targetE0EEEvT1_.uses_flat_scratch, 0
	.set _ZN7rocprim17ROCPRIM_400000_NS6detail17trampoline_kernelINS0_14default_configENS1_27scan_by_key_config_selectorIiiEEZZNS1_16scan_by_key_implILNS1_25lookback_scan_determinismE0ELb0ES3_PKiN6hipcub16HIPCUB_304000_NS21ConstantInputIteratorIilEEPiiNSB_3SumENSB_8EqualityEiEE10hipError_tPvRmT2_T3_T4_T5_mT6_T7_P12ihipStream_tbENKUlT_T0_E_clISt17integral_constantIbLb0EESX_EEDaSS_ST_EUlSS_E_NS1_11comp_targetILNS1_3genE9ELNS1_11target_archE1100ELNS1_3gpuE3ELNS1_3repE0EEENS1_30default_config_static_selectorELNS0_4arch9wavefront6targetE0EEEvT1_.has_dyn_sized_stack, 0
	.set _ZN7rocprim17ROCPRIM_400000_NS6detail17trampoline_kernelINS0_14default_configENS1_27scan_by_key_config_selectorIiiEEZZNS1_16scan_by_key_implILNS1_25lookback_scan_determinismE0ELb0ES3_PKiN6hipcub16HIPCUB_304000_NS21ConstantInputIteratorIilEEPiiNSB_3SumENSB_8EqualityEiEE10hipError_tPvRmT2_T3_T4_T5_mT6_T7_P12ihipStream_tbENKUlT_T0_E_clISt17integral_constantIbLb0EESX_EEDaSS_ST_EUlSS_E_NS1_11comp_targetILNS1_3genE9ELNS1_11target_archE1100ELNS1_3gpuE3ELNS1_3repE0EEENS1_30default_config_static_selectorELNS0_4arch9wavefront6targetE0EEEvT1_.has_recursion, 0
	.set _ZN7rocprim17ROCPRIM_400000_NS6detail17trampoline_kernelINS0_14default_configENS1_27scan_by_key_config_selectorIiiEEZZNS1_16scan_by_key_implILNS1_25lookback_scan_determinismE0ELb0ES3_PKiN6hipcub16HIPCUB_304000_NS21ConstantInputIteratorIilEEPiiNSB_3SumENSB_8EqualityEiEE10hipError_tPvRmT2_T3_T4_T5_mT6_T7_P12ihipStream_tbENKUlT_T0_E_clISt17integral_constantIbLb0EESX_EEDaSS_ST_EUlSS_E_NS1_11comp_targetILNS1_3genE9ELNS1_11target_archE1100ELNS1_3gpuE3ELNS1_3repE0EEENS1_30default_config_static_selectorELNS0_4arch9wavefront6targetE0EEEvT1_.has_indirect_call, 0
	.section	.AMDGPU.csdata,"",@progbits
; Kernel info:
; codeLenInByte = 0
; TotalNumSgprs: 0
; NumVgprs: 0
; ScratchSize: 0
; MemoryBound: 0
; FloatMode: 240
; IeeeMode: 1
; LDSByteSize: 0 bytes/workgroup (compile time only)
; SGPRBlocks: 0
; VGPRBlocks: 0
; NumSGPRsForWavesPerEU: 1
; NumVGPRsForWavesPerEU: 1
; NamedBarCnt: 0
; Occupancy: 16
; WaveLimiterHint : 0
; COMPUTE_PGM_RSRC2:SCRATCH_EN: 0
; COMPUTE_PGM_RSRC2:USER_SGPR: 2
; COMPUTE_PGM_RSRC2:TRAP_HANDLER: 0
; COMPUTE_PGM_RSRC2:TGID_X_EN: 1
; COMPUTE_PGM_RSRC2:TGID_Y_EN: 0
; COMPUTE_PGM_RSRC2:TGID_Z_EN: 0
; COMPUTE_PGM_RSRC2:TIDIG_COMP_CNT: 0
	.section	.text._ZN7rocprim17ROCPRIM_400000_NS6detail17trampoline_kernelINS0_14default_configENS1_27scan_by_key_config_selectorIiiEEZZNS1_16scan_by_key_implILNS1_25lookback_scan_determinismE0ELb0ES3_PKiN6hipcub16HIPCUB_304000_NS21ConstantInputIteratorIilEEPiiNSB_3SumENSB_8EqualityEiEE10hipError_tPvRmT2_T3_T4_T5_mT6_T7_P12ihipStream_tbENKUlT_T0_E_clISt17integral_constantIbLb0EESX_EEDaSS_ST_EUlSS_E_NS1_11comp_targetILNS1_3genE8ELNS1_11target_archE1030ELNS1_3gpuE2ELNS1_3repE0EEENS1_30default_config_static_selectorELNS0_4arch9wavefront6targetE0EEEvT1_,"axG",@progbits,_ZN7rocprim17ROCPRIM_400000_NS6detail17trampoline_kernelINS0_14default_configENS1_27scan_by_key_config_selectorIiiEEZZNS1_16scan_by_key_implILNS1_25lookback_scan_determinismE0ELb0ES3_PKiN6hipcub16HIPCUB_304000_NS21ConstantInputIteratorIilEEPiiNSB_3SumENSB_8EqualityEiEE10hipError_tPvRmT2_T3_T4_T5_mT6_T7_P12ihipStream_tbENKUlT_T0_E_clISt17integral_constantIbLb0EESX_EEDaSS_ST_EUlSS_E_NS1_11comp_targetILNS1_3genE8ELNS1_11target_archE1030ELNS1_3gpuE2ELNS1_3repE0EEENS1_30default_config_static_selectorELNS0_4arch9wavefront6targetE0EEEvT1_,comdat
	.protected	_ZN7rocprim17ROCPRIM_400000_NS6detail17trampoline_kernelINS0_14default_configENS1_27scan_by_key_config_selectorIiiEEZZNS1_16scan_by_key_implILNS1_25lookback_scan_determinismE0ELb0ES3_PKiN6hipcub16HIPCUB_304000_NS21ConstantInputIteratorIilEEPiiNSB_3SumENSB_8EqualityEiEE10hipError_tPvRmT2_T3_T4_T5_mT6_T7_P12ihipStream_tbENKUlT_T0_E_clISt17integral_constantIbLb0EESX_EEDaSS_ST_EUlSS_E_NS1_11comp_targetILNS1_3genE8ELNS1_11target_archE1030ELNS1_3gpuE2ELNS1_3repE0EEENS1_30default_config_static_selectorELNS0_4arch9wavefront6targetE0EEEvT1_ ; -- Begin function _ZN7rocprim17ROCPRIM_400000_NS6detail17trampoline_kernelINS0_14default_configENS1_27scan_by_key_config_selectorIiiEEZZNS1_16scan_by_key_implILNS1_25lookback_scan_determinismE0ELb0ES3_PKiN6hipcub16HIPCUB_304000_NS21ConstantInputIteratorIilEEPiiNSB_3SumENSB_8EqualityEiEE10hipError_tPvRmT2_T3_T4_T5_mT6_T7_P12ihipStream_tbENKUlT_T0_E_clISt17integral_constantIbLb0EESX_EEDaSS_ST_EUlSS_E_NS1_11comp_targetILNS1_3genE8ELNS1_11target_archE1030ELNS1_3gpuE2ELNS1_3repE0EEENS1_30default_config_static_selectorELNS0_4arch9wavefront6targetE0EEEvT1_
	.globl	_ZN7rocprim17ROCPRIM_400000_NS6detail17trampoline_kernelINS0_14default_configENS1_27scan_by_key_config_selectorIiiEEZZNS1_16scan_by_key_implILNS1_25lookback_scan_determinismE0ELb0ES3_PKiN6hipcub16HIPCUB_304000_NS21ConstantInputIteratorIilEEPiiNSB_3SumENSB_8EqualityEiEE10hipError_tPvRmT2_T3_T4_T5_mT6_T7_P12ihipStream_tbENKUlT_T0_E_clISt17integral_constantIbLb0EESX_EEDaSS_ST_EUlSS_E_NS1_11comp_targetILNS1_3genE8ELNS1_11target_archE1030ELNS1_3gpuE2ELNS1_3repE0EEENS1_30default_config_static_selectorELNS0_4arch9wavefront6targetE0EEEvT1_
	.p2align	8
	.type	_ZN7rocprim17ROCPRIM_400000_NS6detail17trampoline_kernelINS0_14default_configENS1_27scan_by_key_config_selectorIiiEEZZNS1_16scan_by_key_implILNS1_25lookback_scan_determinismE0ELb0ES3_PKiN6hipcub16HIPCUB_304000_NS21ConstantInputIteratorIilEEPiiNSB_3SumENSB_8EqualityEiEE10hipError_tPvRmT2_T3_T4_T5_mT6_T7_P12ihipStream_tbENKUlT_T0_E_clISt17integral_constantIbLb0EESX_EEDaSS_ST_EUlSS_E_NS1_11comp_targetILNS1_3genE8ELNS1_11target_archE1030ELNS1_3gpuE2ELNS1_3repE0EEENS1_30default_config_static_selectorELNS0_4arch9wavefront6targetE0EEEvT1_,@function
_ZN7rocprim17ROCPRIM_400000_NS6detail17trampoline_kernelINS0_14default_configENS1_27scan_by_key_config_selectorIiiEEZZNS1_16scan_by_key_implILNS1_25lookback_scan_determinismE0ELb0ES3_PKiN6hipcub16HIPCUB_304000_NS21ConstantInputIteratorIilEEPiiNSB_3SumENSB_8EqualityEiEE10hipError_tPvRmT2_T3_T4_T5_mT6_T7_P12ihipStream_tbENKUlT_T0_E_clISt17integral_constantIbLb0EESX_EEDaSS_ST_EUlSS_E_NS1_11comp_targetILNS1_3genE8ELNS1_11target_archE1030ELNS1_3gpuE2ELNS1_3repE0EEENS1_30default_config_static_selectorELNS0_4arch9wavefront6targetE0EEEvT1_: ; @_ZN7rocprim17ROCPRIM_400000_NS6detail17trampoline_kernelINS0_14default_configENS1_27scan_by_key_config_selectorIiiEEZZNS1_16scan_by_key_implILNS1_25lookback_scan_determinismE0ELb0ES3_PKiN6hipcub16HIPCUB_304000_NS21ConstantInputIteratorIilEEPiiNSB_3SumENSB_8EqualityEiEE10hipError_tPvRmT2_T3_T4_T5_mT6_T7_P12ihipStream_tbENKUlT_T0_E_clISt17integral_constantIbLb0EESX_EEDaSS_ST_EUlSS_E_NS1_11comp_targetILNS1_3genE8ELNS1_11target_archE1030ELNS1_3gpuE2ELNS1_3repE0EEENS1_30default_config_static_selectorELNS0_4arch9wavefront6targetE0EEEvT1_
; %bb.0:
	.section	.rodata,"a",@progbits
	.p2align	6, 0x0
	.amdhsa_kernel _ZN7rocprim17ROCPRIM_400000_NS6detail17trampoline_kernelINS0_14default_configENS1_27scan_by_key_config_selectorIiiEEZZNS1_16scan_by_key_implILNS1_25lookback_scan_determinismE0ELb0ES3_PKiN6hipcub16HIPCUB_304000_NS21ConstantInputIteratorIilEEPiiNSB_3SumENSB_8EqualityEiEE10hipError_tPvRmT2_T3_T4_T5_mT6_T7_P12ihipStream_tbENKUlT_T0_E_clISt17integral_constantIbLb0EESX_EEDaSS_ST_EUlSS_E_NS1_11comp_targetILNS1_3genE8ELNS1_11target_archE1030ELNS1_3gpuE2ELNS1_3repE0EEENS1_30default_config_static_selectorELNS0_4arch9wavefront6targetE0EEEvT1_
		.amdhsa_group_segment_fixed_size 0
		.amdhsa_private_segment_fixed_size 0
		.amdhsa_kernarg_size 120
		.amdhsa_user_sgpr_count 2
		.amdhsa_user_sgpr_dispatch_ptr 0
		.amdhsa_user_sgpr_queue_ptr 0
		.amdhsa_user_sgpr_kernarg_segment_ptr 1
		.amdhsa_user_sgpr_dispatch_id 0
		.amdhsa_user_sgpr_kernarg_preload_length 0
		.amdhsa_user_sgpr_kernarg_preload_offset 0
		.amdhsa_user_sgpr_private_segment_size 0
		.amdhsa_wavefront_size32 1
		.amdhsa_uses_dynamic_stack 0
		.amdhsa_enable_private_segment 0
		.amdhsa_system_sgpr_workgroup_id_x 1
		.amdhsa_system_sgpr_workgroup_id_y 0
		.amdhsa_system_sgpr_workgroup_id_z 0
		.amdhsa_system_sgpr_workgroup_info 0
		.amdhsa_system_vgpr_workitem_id 0
		.amdhsa_next_free_vgpr 1
		.amdhsa_next_free_sgpr 1
		.amdhsa_named_barrier_count 0
		.amdhsa_reserve_vcc 0
		.amdhsa_float_round_mode_32 0
		.amdhsa_float_round_mode_16_64 0
		.amdhsa_float_denorm_mode_32 3
		.amdhsa_float_denorm_mode_16_64 3
		.amdhsa_fp16_overflow 0
		.amdhsa_memory_ordered 1
		.amdhsa_forward_progress 1
		.amdhsa_inst_pref_size 0
		.amdhsa_round_robin_scheduling 0
		.amdhsa_exception_fp_ieee_invalid_op 0
		.amdhsa_exception_fp_denorm_src 0
		.amdhsa_exception_fp_ieee_div_zero 0
		.amdhsa_exception_fp_ieee_overflow 0
		.amdhsa_exception_fp_ieee_underflow 0
		.amdhsa_exception_fp_ieee_inexact 0
		.amdhsa_exception_int_div_zero 0
	.end_amdhsa_kernel
	.section	.text._ZN7rocprim17ROCPRIM_400000_NS6detail17trampoline_kernelINS0_14default_configENS1_27scan_by_key_config_selectorIiiEEZZNS1_16scan_by_key_implILNS1_25lookback_scan_determinismE0ELb0ES3_PKiN6hipcub16HIPCUB_304000_NS21ConstantInputIteratorIilEEPiiNSB_3SumENSB_8EqualityEiEE10hipError_tPvRmT2_T3_T4_T5_mT6_T7_P12ihipStream_tbENKUlT_T0_E_clISt17integral_constantIbLb0EESX_EEDaSS_ST_EUlSS_E_NS1_11comp_targetILNS1_3genE8ELNS1_11target_archE1030ELNS1_3gpuE2ELNS1_3repE0EEENS1_30default_config_static_selectorELNS0_4arch9wavefront6targetE0EEEvT1_,"axG",@progbits,_ZN7rocprim17ROCPRIM_400000_NS6detail17trampoline_kernelINS0_14default_configENS1_27scan_by_key_config_selectorIiiEEZZNS1_16scan_by_key_implILNS1_25lookback_scan_determinismE0ELb0ES3_PKiN6hipcub16HIPCUB_304000_NS21ConstantInputIteratorIilEEPiiNSB_3SumENSB_8EqualityEiEE10hipError_tPvRmT2_T3_T4_T5_mT6_T7_P12ihipStream_tbENKUlT_T0_E_clISt17integral_constantIbLb0EESX_EEDaSS_ST_EUlSS_E_NS1_11comp_targetILNS1_3genE8ELNS1_11target_archE1030ELNS1_3gpuE2ELNS1_3repE0EEENS1_30default_config_static_selectorELNS0_4arch9wavefront6targetE0EEEvT1_,comdat
.Lfunc_end18:
	.size	_ZN7rocprim17ROCPRIM_400000_NS6detail17trampoline_kernelINS0_14default_configENS1_27scan_by_key_config_selectorIiiEEZZNS1_16scan_by_key_implILNS1_25lookback_scan_determinismE0ELb0ES3_PKiN6hipcub16HIPCUB_304000_NS21ConstantInputIteratorIilEEPiiNSB_3SumENSB_8EqualityEiEE10hipError_tPvRmT2_T3_T4_T5_mT6_T7_P12ihipStream_tbENKUlT_T0_E_clISt17integral_constantIbLb0EESX_EEDaSS_ST_EUlSS_E_NS1_11comp_targetILNS1_3genE8ELNS1_11target_archE1030ELNS1_3gpuE2ELNS1_3repE0EEENS1_30default_config_static_selectorELNS0_4arch9wavefront6targetE0EEEvT1_, .Lfunc_end18-_ZN7rocprim17ROCPRIM_400000_NS6detail17trampoline_kernelINS0_14default_configENS1_27scan_by_key_config_selectorIiiEEZZNS1_16scan_by_key_implILNS1_25lookback_scan_determinismE0ELb0ES3_PKiN6hipcub16HIPCUB_304000_NS21ConstantInputIteratorIilEEPiiNSB_3SumENSB_8EqualityEiEE10hipError_tPvRmT2_T3_T4_T5_mT6_T7_P12ihipStream_tbENKUlT_T0_E_clISt17integral_constantIbLb0EESX_EEDaSS_ST_EUlSS_E_NS1_11comp_targetILNS1_3genE8ELNS1_11target_archE1030ELNS1_3gpuE2ELNS1_3repE0EEENS1_30default_config_static_selectorELNS0_4arch9wavefront6targetE0EEEvT1_
                                        ; -- End function
	.set _ZN7rocprim17ROCPRIM_400000_NS6detail17trampoline_kernelINS0_14default_configENS1_27scan_by_key_config_selectorIiiEEZZNS1_16scan_by_key_implILNS1_25lookback_scan_determinismE0ELb0ES3_PKiN6hipcub16HIPCUB_304000_NS21ConstantInputIteratorIilEEPiiNSB_3SumENSB_8EqualityEiEE10hipError_tPvRmT2_T3_T4_T5_mT6_T7_P12ihipStream_tbENKUlT_T0_E_clISt17integral_constantIbLb0EESX_EEDaSS_ST_EUlSS_E_NS1_11comp_targetILNS1_3genE8ELNS1_11target_archE1030ELNS1_3gpuE2ELNS1_3repE0EEENS1_30default_config_static_selectorELNS0_4arch9wavefront6targetE0EEEvT1_.num_vgpr, 0
	.set _ZN7rocprim17ROCPRIM_400000_NS6detail17trampoline_kernelINS0_14default_configENS1_27scan_by_key_config_selectorIiiEEZZNS1_16scan_by_key_implILNS1_25lookback_scan_determinismE0ELb0ES3_PKiN6hipcub16HIPCUB_304000_NS21ConstantInputIteratorIilEEPiiNSB_3SumENSB_8EqualityEiEE10hipError_tPvRmT2_T3_T4_T5_mT6_T7_P12ihipStream_tbENKUlT_T0_E_clISt17integral_constantIbLb0EESX_EEDaSS_ST_EUlSS_E_NS1_11comp_targetILNS1_3genE8ELNS1_11target_archE1030ELNS1_3gpuE2ELNS1_3repE0EEENS1_30default_config_static_selectorELNS0_4arch9wavefront6targetE0EEEvT1_.num_agpr, 0
	.set _ZN7rocprim17ROCPRIM_400000_NS6detail17trampoline_kernelINS0_14default_configENS1_27scan_by_key_config_selectorIiiEEZZNS1_16scan_by_key_implILNS1_25lookback_scan_determinismE0ELb0ES3_PKiN6hipcub16HIPCUB_304000_NS21ConstantInputIteratorIilEEPiiNSB_3SumENSB_8EqualityEiEE10hipError_tPvRmT2_T3_T4_T5_mT6_T7_P12ihipStream_tbENKUlT_T0_E_clISt17integral_constantIbLb0EESX_EEDaSS_ST_EUlSS_E_NS1_11comp_targetILNS1_3genE8ELNS1_11target_archE1030ELNS1_3gpuE2ELNS1_3repE0EEENS1_30default_config_static_selectorELNS0_4arch9wavefront6targetE0EEEvT1_.numbered_sgpr, 0
	.set _ZN7rocprim17ROCPRIM_400000_NS6detail17trampoline_kernelINS0_14default_configENS1_27scan_by_key_config_selectorIiiEEZZNS1_16scan_by_key_implILNS1_25lookback_scan_determinismE0ELb0ES3_PKiN6hipcub16HIPCUB_304000_NS21ConstantInputIteratorIilEEPiiNSB_3SumENSB_8EqualityEiEE10hipError_tPvRmT2_T3_T4_T5_mT6_T7_P12ihipStream_tbENKUlT_T0_E_clISt17integral_constantIbLb0EESX_EEDaSS_ST_EUlSS_E_NS1_11comp_targetILNS1_3genE8ELNS1_11target_archE1030ELNS1_3gpuE2ELNS1_3repE0EEENS1_30default_config_static_selectorELNS0_4arch9wavefront6targetE0EEEvT1_.num_named_barrier, 0
	.set _ZN7rocprim17ROCPRIM_400000_NS6detail17trampoline_kernelINS0_14default_configENS1_27scan_by_key_config_selectorIiiEEZZNS1_16scan_by_key_implILNS1_25lookback_scan_determinismE0ELb0ES3_PKiN6hipcub16HIPCUB_304000_NS21ConstantInputIteratorIilEEPiiNSB_3SumENSB_8EqualityEiEE10hipError_tPvRmT2_T3_T4_T5_mT6_T7_P12ihipStream_tbENKUlT_T0_E_clISt17integral_constantIbLb0EESX_EEDaSS_ST_EUlSS_E_NS1_11comp_targetILNS1_3genE8ELNS1_11target_archE1030ELNS1_3gpuE2ELNS1_3repE0EEENS1_30default_config_static_selectorELNS0_4arch9wavefront6targetE0EEEvT1_.private_seg_size, 0
	.set _ZN7rocprim17ROCPRIM_400000_NS6detail17trampoline_kernelINS0_14default_configENS1_27scan_by_key_config_selectorIiiEEZZNS1_16scan_by_key_implILNS1_25lookback_scan_determinismE0ELb0ES3_PKiN6hipcub16HIPCUB_304000_NS21ConstantInputIteratorIilEEPiiNSB_3SumENSB_8EqualityEiEE10hipError_tPvRmT2_T3_T4_T5_mT6_T7_P12ihipStream_tbENKUlT_T0_E_clISt17integral_constantIbLb0EESX_EEDaSS_ST_EUlSS_E_NS1_11comp_targetILNS1_3genE8ELNS1_11target_archE1030ELNS1_3gpuE2ELNS1_3repE0EEENS1_30default_config_static_selectorELNS0_4arch9wavefront6targetE0EEEvT1_.uses_vcc, 0
	.set _ZN7rocprim17ROCPRIM_400000_NS6detail17trampoline_kernelINS0_14default_configENS1_27scan_by_key_config_selectorIiiEEZZNS1_16scan_by_key_implILNS1_25lookback_scan_determinismE0ELb0ES3_PKiN6hipcub16HIPCUB_304000_NS21ConstantInputIteratorIilEEPiiNSB_3SumENSB_8EqualityEiEE10hipError_tPvRmT2_T3_T4_T5_mT6_T7_P12ihipStream_tbENKUlT_T0_E_clISt17integral_constantIbLb0EESX_EEDaSS_ST_EUlSS_E_NS1_11comp_targetILNS1_3genE8ELNS1_11target_archE1030ELNS1_3gpuE2ELNS1_3repE0EEENS1_30default_config_static_selectorELNS0_4arch9wavefront6targetE0EEEvT1_.uses_flat_scratch, 0
	.set _ZN7rocprim17ROCPRIM_400000_NS6detail17trampoline_kernelINS0_14default_configENS1_27scan_by_key_config_selectorIiiEEZZNS1_16scan_by_key_implILNS1_25lookback_scan_determinismE0ELb0ES3_PKiN6hipcub16HIPCUB_304000_NS21ConstantInputIteratorIilEEPiiNSB_3SumENSB_8EqualityEiEE10hipError_tPvRmT2_T3_T4_T5_mT6_T7_P12ihipStream_tbENKUlT_T0_E_clISt17integral_constantIbLb0EESX_EEDaSS_ST_EUlSS_E_NS1_11comp_targetILNS1_3genE8ELNS1_11target_archE1030ELNS1_3gpuE2ELNS1_3repE0EEENS1_30default_config_static_selectorELNS0_4arch9wavefront6targetE0EEEvT1_.has_dyn_sized_stack, 0
	.set _ZN7rocprim17ROCPRIM_400000_NS6detail17trampoline_kernelINS0_14default_configENS1_27scan_by_key_config_selectorIiiEEZZNS1_16scan_by_key_implILNS1_25lookback_scan_determinismE0ELb0ES3_PKiN6hipcub16HIPCUB_304000_NS21ConstantInputIteratorIilEEPiiNSB_3SumENSB_8EqualityEiEE10hipError_tPvRmT2_T3_T4_T5_mT6_T7_P12ihipStream_tbENKUlT_T0_E_clISt17integral_constantIbLb0EESX_EEDaSS_ST_EUlSS_E_NS1_11comp_targetILNS1_3genE8ELNS1_11target_archE1030ELNS1_3gpuE2ELNS1_3repE0EEENS1_30default_config_static_selectorELNS0_4arch9wavefront6targetE0EEEvT1_.has_recursion, 0
	.set _ZN7rocprim17ROCPRIM_400000_NS6detail17trampoline_kernelINS0_14default_configENS1_27scan_by_key_config_selectorIiiEEZZNS1_16scan_by_key_implILNS1_25lookback_scan_determinismE0ELb0ES3_PKiN6hipcub16HIPCUB_304000_NS21ConstantInputIteratorIilEEPiiNSB_3SumENSB_8EqualityEiEE10hipError_tPvRmT2_T3_T4_T5_mT6_T7_P12ihipStream_tbENKUlT_T0_E_clISt17integral_constantIbLb0EESX_EEDaSS_ST_EUlSS_E_NS1_11comp_targetILNS1_3genE8ELNS1_11target_archE1030ELNS1_3gpuE2ELNS1_3repE0EEENS1_30default_config_static_selectorELNS0_4arch9wavefront6targetE0EEEvT1_.has_indirect_call, 0
	.section	.AMDGPU.csdata,"",@progbits
; Kernel info:
; codeLenInByte = 0
; TotalNumSgprs: 0
; NumVgprs: 0
; ScratchSize: 0
; MemoryBound: 0
; FloatMode: 240
; IeeeMode: 1
; LDSByteSize: 0 bytes/workgroup (compile time only)
; SGPRBlocks: 0
; VGPRBlocks: 0
; NumSGPRsForWavesPerEU: 1
; NumVGPRsForWavesPerEU: 1
; NamedBarCnt: 0
; Occupancy: 16
; WaveLimiterHint : 0
; COMPUTE_PGM_RSRC2:SCRATCH_EN: 0
; COMPUTE_PGM_RSRC2:USER_SGPR: 2
; COMPUTE_PGM_RSRC2:TRAP_HANDLER: 0
; COMPUTE_PGM_RSRC2:TGID_X_EN: 1
; COMPUTE_PGM_RSRC2:TGID_Y_EN: 0
; COMPUTE_PGM_RSRC2:TGID_Z_EN: 0
; COMPUTE_PGM_RSRC2:TIDIG_COMP_CNT: 0
	.section	.text._ZN7rocprim17ROCPRIM_400000_NS6detail30init_device_scan_by_key_kernelINS1_19lookback_scan_stateINS0_5tupleIJibEEELb1ELb1EEEPKijNS1_16block_id_wrapperIjLb1EEEEEvT_jjPNSB_10value_typeET0_PNSt15iterator_traitsISE_E10value_typeEmT1_T2_,"axG",@progbits,_ZN7rocprim17ROCPRIM_400000_NS6detail30init_device_scan_by_key_kernelINS1_19lookback_scan_stateINS0_5tupleIJibEEELb1ELb1EEEPKijNS1_16block_id_wrapperIjLb1EEEEEvT_jjPNSB_10value_typeET0_PNSt15iterator_traitsISE_E10value_typeEmT1_T2_,comdat
	.protected	_ZN7rocprim17ROCPRIM_400000_NS6detail30init_device_scan_by_key_kernelINS1_19lookback_scan_stateINS0_5tupleIJibEEELb1ELb1EEEPKijNS1_16block_id_wrapperIjLb1EEEEEvT_jjPNSB_10value_typeET0_PNSt15iterator_traitsISE_E10value_typeEmT1_T2_ ; -- Begin function _ZN7rocprim17ROCPRIM_400000_NS6detail30init_device_scan_by_key_kernelINS1_19lookback_scan_stateINS0_5tupleIJibEEELb1ELb1EEEPKijNS1_16block_id_wrapperIjLb1EEEEEvT_jjPNSB_10value_typeET0_PNSt15iterator_traitsISE_E10value_typeEmT1_T2_
	.globl	_ZN7rocprim17ROCPRIM_400000_NS6detail30init_device_scan_by_key_kernelINS1_19lookback_scan_stateINS0_5tupleIJibEEELb1ELb1EEEPKijNS1_16block_id_wrapperIjLb1EEEEEvT_jjPNSB_10value_typeET0_PNSt15iterator_traitsISE_E10value_typeEmT1_T2_
	.p2align	8
	.type	_ZN7rocprim17ROCPRIM_400000_NS6detail30init_device_scan_by_key_kernelINS1_19lookback_scan_stateINS0_5tupleIJibEEELb1ELb1EEEPKijNS1_16block_id_wrapperIjLb1EEEEEvT_jjPNSB_10value_typeET0_PNSt15iterator_traitsISE_E10value_typeEmT1_T2_,@function
_ZN7rocprim17ROCPRIM_400000_NS6detail30init_device_scan_by_key_kernelINS1_19lookback_scan_stateINS0_5tupleIJibEEELb1ELb1EEEPKijNS1_16block_id_wrapperIjLb1EEEEEvT_jjPNSB_10value_typeET0_PNSt15iterator_traitsISE_E10value_typeEmT1_T2_: ; @_ZN7rocprim17ROCPRIM_400000_NS6detail30init_device_scan_by_key_kernelINS1_19lookback_scan_stateINS0_5tupleIJibEEELb1ELb1EEEPKijNS1_16block_id_wrapperIjLb1EEEEEvT_jjPNSB_10value_typeET0_PNSt15iterator_traitsISE_E10value_typeEmT1_T2_
; %bb.0:
	s_clause 0x2
	s_load_b32 s2, s[0:1], 0x4c
	s_load_b32 s14, s[0:1], 0x40
	s_load_b256 s[4:11], s[0:1], 0x0
	s_bfe_u32 s3, ttmp6, 0x4000c
	s_and_b32 s12, ttmp6, 15
	s_add_co_i32 s3, s3, 1
	s_getreg_b32 s13, hwreg(HW_REG_IB_STS2, 6, 4)
	s_mul_i32 s3, ttmp9, s3
	s_delay_alu instid0(SALU_CYCLE_1)
	s_add_co_i32 s12, s12, s3
	s_wait_kmcnt 0x0
	s_and_b32 s15, s2, 0xffff
	s_cmp_eq_u32 s13, 0
	s_cselect_b32 s2, ttmp9, s12
	s_cmp_eq_u64 s[8:9], 0
	v_mad_u32 v4, s2, s15, v0
	s_cbranch_scc1 .LBB19_10
; %bb.1:
	s_cmp_lt_u32 s7, s6
	s_mov_b32 s16, exec_lo
	s_cselect_b32 s2, s7, 0
	s_delay_alu instid0(VALU_DEP_1) | instid1(SALU_CYCLE_1)
	v_cmpx_eq_u32_e64 s2, v4
	s_cbranch_execz .LBB19_9
; %bb.2:
	s_add_co_i32 s2, s7, 32
	s_mov_b32 s3, 0
	v_mov_b32_e32 v7, 0
	s_lshl_b64 s[12:13], s[2:3], 4
	s_mov_b32 s2, exec_lo
	s_add_nc_u64 s[12:13], s[4:5], s[12:13]
	s_delay_alu instid0(SALU_CYCLE_1) | instskip(SKIP_2) | instid1(VALU_DEP_1)
	v_mov_b64_e32 v[0:1], s[12:13]
	;;#ASMSTART
	global_load_b128 v[0:3], v[0:1] off scope:SCOPE_DEV	
s_wait_loadcnt 0x0
	;;#ASMEND
	v_and_b32_e32 v6, 0xff, v2
	v_cmpx_eq_u64_e32 0, v[6:7]
	s_cbranch_execz .LBB19_8
; %bb.3:
	v_mov_b64_e32 v[8:9], s[12:13]
	s_mov_b32 s7, 1
.LBB19_4:                               ; =>This Loop Header: Depth=1
                                        ;     Child Loop BB19_5 Depth 2
	s_delay_alu instid0(SALU_CYCLE_1)
	s_mov_b32 s12, s7
.LBB19_5:                               ;   Parent Loop BB19_4 Depth=1
                                        ; =>  This Inner Loop Header: Depth=2
	s_delay_alu instid0(SALU_CYCLE_1)
	s_add_co_i32 s12, s12, -1
	s_sleep 1
	s_cmp_eq_u32 s12, 0
	s_cbranch_scc0 .LBB19_5
; %bb.6:                                ;   in Loop: Header=BB19_4 Depth=1
	;;#ASMSTART
	global_load_b128 v[0:3], v[8:9] off scope:SCOPE_DEV	
s_wait_loadcnt 0x0
	;;#ASMEND
	v_and_b32_e32 v6, 0xff, v2
	s_cmp_lt_u32 s7, 32
	s_cselect_b32 s12, -1, 0
	s_delay_alu instid0(VALU_DEP_1) | instskip(SKIP_3) | instid1(SALU_CYCLE_1)
	v_cmp_ne_u64_e32 vcc_lo, 0, v[6:7]
	s_cmp_lg_u32 s12, 0
	s_add_co_ci_u32 s7, s7, 0
	s_or_b32 s3, vcc_lo, s3
	s_and_not1_b32 exec_lo, exec_lo, s3
	s_cbranch_execnz .LBB19_4
; %bb.7:
	s_or_b32 exec_lo, exec_lo, s3
.LBB19_8:
	s_delay_alu instid0(SALU_CYCLE_1)
	s_or_b32 exec_lo, exec_lo, s2
	v_mov_b32_e32 v2, 0
	s_clause 0x1
	global_store_b32 v2, v0, s[8:9]
	global_store_b8 v2, v1, s[8:9] offset:4
.LBB19_9:
	s_wait_xcnt 0x0
	s_or_b32 exec_lo, exec_lo, s16
.LBB19_10:
	s_delay_alu instid0(SALU_CYCLE_1) | instskip(NEXT) | instid1(VALU_DEP_1)
	s_mov_b32 s2, exec_lo
	v_cmpx_eq_u32_e32 0, v4
	s_cbranch_execz .LBB19_12
; %bb.11:
	s_load_b64 s[8:9], s[0:1], 0x38
	v_mov_b32_e32 v0, 0
	s_wait_kmcnt 0x0
	global_store_b32 v0, v0, s[8:9]
.LBB19_12:
	s_wait_xcnt 0x0
	s_or_b32 exec_lo, exec_lo, s2
	s_delay_alu instid0(SALU_CYCLE_1)
	s_mov_b32 s2, exec_lo
	v_cmpx_gt_u32_e64 s6, v4
	s_cbranch_execz .LBB19_14
; %bb.13:
	v_dual_mov_b32 v0, 0 :: v_dual_add_nc_u32 v5, 32, v4
	s_delay_alu instid0(VALU_DEP_1)
	v_dual_mov_b32 v1, v0 :: v_dual_mov_b32 v2, v0
	v_mov_b32_e32 v3, v0
	global_store_b128 v5, v[0:3], s[4:5] scale_offset
.LBB19_14:
	s_wait_xcnt 0x0
	s_or_b32 exec_lo, exec_lo, s2
	v_mov_b32_e32 v5, 0
	s_mov_b32 s2, exec_lo
	v_cmpx_gt_u32_e32 32, v4
	s_cbranch_execz .LBB19_16
; %bb.15:
	s_delay_alu instid0(VALU_DEP_2)
	v_lshl_add_u64 v[6:7], v[4:5], 4, s[4:5]
	v_dual_mov_b32 v2, 0xff :: v_dual_mov_b32 v1, v5
	v_dual_mov_b32 v0, v5 :: v_dual_mov_b32 v3, v5
	global_store_b128 v[6:7], v[0:3], off
.LBB19_16:
	s_wait_xcnt 0x0
	s_or_b32 exec_lo, exec_lo, s2
	s_load_b64 s[2:3], s[0:1], 0x28
	s_mov_b32 s4, exec_lo
	s_wait_kmcnt 0x0
	v_cmpx_gt_u64_e64 s[2:3], v[4:5]
	s_cbranch_execz .LBB19_19
; %bb.17:
	s_clause 0x1
	s_load_b32 s4, s[0:1], 0x30
	s_load_b64 s[6:7], s[0:1], 0x20
	s_mov_b32 s5, 0
	s_wait_xcnt 0x0
	s_mul_i32 s0, s14, s15
	s_mov_b32 s9, s5
	s_mov_b32 s1, s5
	s_wait_kmcnt 0x0
	v_mul_u64_e32 v[0:1], s[4:5], v[4:5]
	s_add_co_i32 s8, s4, -1
	v_lshl_add_u64 v[2:3], v[4:5], 2, s[6:7]
	s_lshl_b64 s[8:9], s[8:9], 2
	s_delay_alu instid0(SALU_CYCLE_1) | instskip(SKIP_1) | instid1(SALU_CYCLE_1)
	s_add_nc_u64 s[8:9], s[10:11], s[8:9]
	s_mul_u64 s[10:11], s[4:5], s[0:1]
	s_lshl_b64 s[6:7], s[10:11], 2
	s_delay_alu instid0(VALU_DEP_2)
	v_lshl_add_u64 v[0:1], v[0:1], 2, s[8:9]
	s_lshl_b64 s[8:9], s[0:1], 2
.LBB19_18:                              ; =>This Inner Loop Header: Depth=1
	global_load_b32 v6, v[0:1], off
	v_add_nc_u64_e32 v[4:5], s[0:1], v[4:5]
	s_wait_xcnt 0x0
	v_add_nc_u64_e32 v[0:1], s[6:7], v[0:1]
	s_delay_alu instid0(VALU_DEP_2)
	v_cmp_le_u64_e32 vcc_lo, s[2:3], v[4:5]
	s_or_b32 s5, vcc_lo, s5
	s_wait_loadcnt 0x0
	global_store_b32 v[2:3], v6, off
	s_wait_xcnt 0x0
	v_add_nc_u64_e32 v[2:3], s[8:9], v[2:3]
	s_and_not1_b32 exec_lo, exec_lo, s5
	s_cbranch_execnz .LBB19_18
.LBB19_19:
	s_endpgm
	.section	.rodata,"a",@progbits
	.p2align	6, 0x0
	.amdhsa_kernel _ZN7rocprim17ROCPRIM_400000_NS6detail30init_device_scan_by_key_kernelINS1_19lookback_scan_stateINS0_5tupleIJibEEELb1ELb1EEEPKijNS1_16block_id_wrapperIjLb1EEEEEvT_jjPNSB_10value_typeET0_PNSt15iterator_traitsISE_E10value_typeEmT1_T2_
		.amdhsa_group_segment_fixed_size 0
		.amdhsa_private_segment_fixed_size 0
		.amdhsa_kernarg_size 320
		.amdhsa_user_sgpr_count 2
		.amdhsa_user_sgpr_dispatch_ptr 0
		.amdhsa_user_sgpr_queue_ptr 0
		.amdhsa_user_sgpr_kernarg_segment_ptr 1
		.amdhsa_user_sgpr_dispatch_id 0
		.amdhsa_user_sgpr_kernarg_preload_length 0
		.amdhsa_user_sgpr_kernarg_preload_offset 0
		.amdhsa_user_sgpr_private_segment_size 0
		.amdhsa_wavefront_size32 1
		.amdhsa_uses_dynamic_stack 0
		.amdhsa_enable_private_segment 0
		.amdhsa_system_sgpr_workgroup_id_x 1
		.amdhsa_system_sgpr_workgroup_id_y 0
		.amdhsa_system_sgpr_workgroup_id_z 0
		.amdhsa_system_sgpr_workgroup_info 0
		.amdhsa_system_vgpr_workitem_id 0
		.amdhsa_next_free_vgpr 10
		.amdhsa_next_free_sgpr 17
		.amdhsa_named_barrier_count 0
		.amdhsa_reserve_vcc 1
		.amdhsa_float_round_mode_32 0
		.amdhsa_float_round_mode_16_64 0
		.amdhsa_float_denorm_mode_32 3
		.amdhsa_float_denorm_mode_16_64 3
		.amdhsa_fp16_overflow 0
		.amdhsa_memory_ordered 1
		.amdhsa_forward_progress 1
		.amdhsa_inst_pref_size 6
		.amdhsa_round_robin_scheduling 0
		.amdhsa_exception_fp_ieee_invalid_op 0
		.amdhsa_exception_fp_denorm_src 0
		.amdhsa_exception_fp_ieee_div_zero 0
		.amdhsa_exception_fp_ieee_overflow 0
		.amdhsa_exception_fp_ieee_underflow 0
		.amdhsa_exception_fp_ieee_inexact 0
		.amdhsa_exception_int_div_zero 0
	.end_amdhsa_kernel
	.section	.text._ZN7rocprim17ROCPRIM_400000_NS6detail30init_device_scan_by_key_kernelINS1_19lookback_scan_stateINS0_5tupleIJibEEELb1ELb1EEEPKijNS1_16block_id_wrapperIjLb1EEEEEvT_jjPNSB_10value_typeET0_PNSt15iterator_traitsISE_E10value_typeEmT1_T2_,"axG",@progbits,_ZN7rocprim17ROCPRIM_400000_NS6detail30init_device_scan_by_key_kernelINS1_19lookback_scan_stateINS0_5tupleIJibEEELb1ELb1EEEPKijNS1_16block_id_wrapperIjLb1EEEEEvT_jjPNSB_10value_typeET0_PNSt15iterator_traitsISE_E10value_typeEmT1_T2_,comdat
.Lfunc_end19:
	.size	_ZN7rocprim17ROCPRIM_400000_NS6detail30init_device_scan_by_key_kernelINS1_19lookback_scan_stateINS0_5tupleIJibEEELb1ELb1EEEPKijNS1_16block_id_wrapperIjLb1EEEEEvT_jjPNSB_10value_typeET0_PNSt15iterator_traitsISE_E10value_typeEmT1_T2_, .Lfunc_end19-_ZN7rocprim17ROCPRIM_400000_NS6detail30init_device_scan_by_key_kernelINS1_19lookback_scan_stateINS0_5tupleIJibEEELb1ELb1EEEPKijNS1_16block_id_wrapperIjLb1EEEEEvT_jjPNSB_10value_typeET0_PNSt15iterator_traitsISE_E10value_typeEmT1_T2_
                                        ; -- End function
	.set _ZN7rocprim17ROCPRIM_400000_NS6detail30init_device_scan_by_key_kernelINS1_19lookback_scan_stateINS0_5tupleIJibEEELb1ELb1EEEPKijNS1_16block_id_wrapperIjLb1EEEEEvT_jjPNSB_10value_typeET0_PNSt15iterator_traitsISE_E10value_typeEmT1_T2_.num_vgpr, 10
	.set _ZN7rocprim17ROCPRIM_400000_NS6detail30init_device_scan_by_key_kernelINS1_19lookback_scan_stateINS0_5tupleIJibEEELb1ELb1EEEPKijNS1_16block_id_wrapperIjLb1EEEEEvT_jjPNSB_10value_typeET0_PNSt15iterator_traitsISE_E10value_typeEmT1_T2_.num_agpr, 0
	.set _ZN7rocprim17ROCPRIM_400000_NS6detail30init_device_scan_by_key_kernelINS1_19lookback_scan_stateINS0_5tupleIJibEEELb1ELb1EEEPKijNS1_16block_id_wrapperIjLb1EEEEEvT_jjPNSB_10value_typeET0_PNSt15iterator_traitsISE_E10value_typeEmT1_T2_.numbered_sgpr, 17
	.set _ZN7rocprim17ROCPRIM_400000_NS6detail30init_device_scan_by_key_kernelINS1_19lookback_scan_stateINS0_5tupleIJibEEELb1ELb1EEEPKijNS1_16block_id_wrapperIjLb1EEEEEvT_jjPNSB_10value_typeET0_PNSt15iterator_traitsISE_E10value_typeEmT1_T2_.num_named_barrier, 0
	.set _ZN7rocprim17ROCPRIM_400000_NS6detail30init_device_scan_by_key_kernelINS1_19lookback_scan_stateINS0_5tupleIJibEEELb1ELb1EEEPKijNS1_16block_id_wrapperIjLb1EEEEEvT_jjPNSB_10value_typeET0_PNSt15iterator_traitsISE_E10value_typeEmT1_T2_.private_seg_size, 0
	.set _ZN7rocprim17ROCPRIM_400000_NS6detail30init_device_scan_by_key_kernelINS1_19lookback_scan_stateINS0_5tupleIJibEEELb1ELb1EEEPKijNS1_16block_id_wrapperIjLb1EEEEEvT_jjPNSB_10value_typeET0_PNSt15iterator_traitsISE_E10value_typeEmT1_T2_.uses_vcc, 1
	.set _ZN7rocprim17ROCPRIM_400000_NS6detail30init_device_scan_by_key_kernelINS1_19lookback_scan_stateINS0_5tupleIJibEEELb1ELb1EEEPKijNS1_16block_id_wrapperIjLb1EEEEEvT_jjPNSB_10value_typeET0_PNSt15iterator_traitsISE_E10value_typeEmT1_T2_.uses_flat_scratch, 0
	.set _ZN7rocprim17ROCPRIM_400000_NS6detail30init_device_scan_by_key_kernelINS1_19lookback_scan_stateINS0_5tupleIJibEEELb1ELb1EEEPKijNS1_16block_id_wrapperIjLb1EEEEEvT_jjPNSB_10value_typeET0_PNSt15iterator_traitsISE_E10value_typeEmT1_T2_.has_dyn_sized_stack, 0
	.set _ZN7rocprim17ROCPRIM_400000_NS6detail30init_device_scan_by_key_kernelINS1_19lookback_scan_stateINS0_5tupleIJibEEELb1ELb1EEEPKijNS1_16block_id_wrapperIjLb1EEEEEvT_jjPNSB_10value_typeET0_PNSt15iterator_traitsISE_E10value_typeEmT1_T2_.has_recursion, 0
	.set _ZN7rocprim17ROCPRIM_400000_NS6detail30init_device_scan_by_key_kernelINS1_19lookback_scan_stateINS0_5tupleIJibEEELb1ELb1EEEPKijNS1_16block_id_wrapperIjLb1EEEEEvT_jjPNSB_10value_typeET0_PNSt15iterator_traitsISE_E10value_typeEmT1_T2_.has_indirect_call, 0
	.section	.AMDGPU.csdata,"",@progbits
; Kernel info:
; codeLenInByte = 684
; TotalNumSgprs: 19
; NumVgprs: 10
; ScratchSize: 0
; MemoryBound: 0
; FloatMode: 240
; IeeeMode: 1
; LDSByteSize: 0 bytes/workgroup (compile time only)
; SGPRBlocks: 0
; VGPRBlocks: 0
; NumSGPRsForWavesPerEU: 19
; NumVGPRsForWavesPerEU: 10
; NamedBarCnt: 0
; Occupancy: 16
; WaveLimiterHint : 0
; COMPUTE_PGM_RSRC2:SCRATCH_EN: 0
; COMPUTE_PGM_RSRC2:USER_SGPR: 2
; COMPUTE_PGM_RSRC2:TRAP_HANDLER: 0
; COMPUTE_PGM_RSRC2:TGID_X_EN: 1
; COMPUTE_PGM_RSRC2:TGID_Y_EN: 0
; COMPUTE_PGM_RSRC2:TGID_Z_EN: 0
; COMPUTE_PGM_RSRC2:TIDIG_COMP_CNT: 0
	.section	.text._ZN7rocprim17ROCPRIM_400000_NS6detail30init_device_scan_by_key_kernelINS1_19lookback_scan_stateINS0_5tupleIJibEEELb1ELb1EEENS1_16block_id_wrapperIjLb1EEEEEvT_jjPNS9_10value_typeET0_,"axG",@progbits,_ZN7rocprim17ROCPRIM_400000_NS6detail30init_device_scan_by_key_kernelINS1_19lookback_scan_stateINS0_5tupleIJibEEELb1ELb1EEENS1_16block_id_wrapperIjLb1EEEEEvT_jjPNS9_10value_typeET0_,comdat
	.protected	_ZN7rocprim17ROCPRIM_400000_NS6detail30init_device_scan_by_key_kernelINS1_19lookback_scan_stateINS0_5tupleIJibEEELb1ELb1EEENS1_16block_id_wrapperIjLb1EEEEEvT_jjPNS9_10value_typeET0_ ; -- Begin function _ZN7rocprim17ROCPRIM_400000_NS6detail30init_device_scan_by_key_kernelINS1_19lookback_scan_stateINS0_5tupleIJibEEELb1ELb1EEENS1_16block_id_wrapperIjLb1EEEEEvT_jjPNS9_10value_typeET0_
	.globl	_ZN7rocprim17ROCPRIM_400000_NS6detail30init_device_scan_by_key_kernelINS1_19lookback_scan_stateINS0_5tupleIJibEEELb1ELb1EEENS1_16block_id_wrapperIjLb1EEEEEvT_jjPNS9_10value_typeET0_
	.p2align	8
	.type	_ZN7rocprim17ROCPRIM_400000_NS6detail30init_device_scan_by_key_kernelINS1_19lookback_scan_stateINS0_5tupleIJibEEELb1ELb1EEENS1_16block_id_wrapperIjLb1EEEEEvT_jjPNS9_10value_typeET0_,@function
_ZN7rocprim17ROCPRIM_400000_NS6detail30init_device_scan_by_key_kernelINS1_19lookback_scan_stateINS0_5tupleIJibEEELb1ELb1EEENS1_16block_id_wrapperIjLb1EEEEEvT_jjPNS9_10value_typeET0_: ; @_ZN7rocprim17ROCPRIM_400000_NS6detail30init_device_scan_by_key_kernelINS1_19lookback_scan_stateINS0_5tupleIJibEEELb1ELb1EEENS1_16block_id_wrapperIjLb1EEEEEvT_jjPNS9_10value_typeET0_
; %bb.0:
	s_clause 0x1
	s_load_b32 s2, s[0:1], 0x2c
	s_load_b256 s[4:11], s[0:1], 0x0
	s_wait_xcnt 0x0
	s_bfe_u32 s0, ttmp6, 0x4000c
	s_and_b32 s1, ttmp6, 15
	s_add_co_i32 s0, s0, 1
	s_getreg_b32 s3, hwreg(HW_REG_IB_STS2, 6, 4)
	s_mul_i32 s0, ttmp9, s0
	s_delay_alu instid0(SALU_CYCLE_1)
	s_add_co_i32 s1, s1, s0
	s_wait_kmcnt 0x0
	s_and_b32 s2, s2, 0xffff
	s_cmp_eq_u32 s3, 0
	s_cselect_b32 s0, ttmp9, s1
	s_cmp_eq_u64 s[8:9], 0
	v_mad_u32 v8, s0, s2, v0
	s_cbranch_scc1 .LBB20_10
; %bb.1:
	s_cmp_lt_u32 s7, s6
	s_mov_b32 s12, exec_lo
	s_cselect_b32 s0, s7, 0
	s_delay_alu instid0(VALU_DEP_1) | instid1(SALU_CYCLE_1)
	v_cmpx_eq_u32_e64 s0, v8
	s_cbranch_execz .LBB20_9
; %bb.2:
	s_add_co_i32 s0, s7, 32
	s_mov_b32 s1, 0
	v_mov_b32_e32 v5, 0
	s_lshl_b64 s[2:3], s[0:1], 4
	s_mov_b32 s0, exec_lo
	s_add_nc_u64 s[2:3], s[4:5], s[2:3]
	s_delay_alu instid0(SALU_CYCLE_1) | instskip(SKIP_2) | instid1(VALU_DEP_1)
	v_mov_b64_e32 v[0:1], s[2:3]
	;;#ASMSTART
	global_load_b128 v[0:3], v[0:1] off scope:SCOPE_DEV	
s_wait_loadcnt 0x0
	;;#ASMEND
	v_and_b32_e32 v4, 0xff, v2
	v_cmpx_eq_u64_e32 0, v[4:5]
	s_cbranch_execz .LBB20_8
; %bb.3:
	v_mov_b64_e32 v[6:7], s[2:3]
	s_mov_b32 s2, 1
.LBB20_4:                               ; =>This Loop Header: Depth=1
                                        ;     Child Loop BB20_5 Depth 2
	s_delay_alu instid0(SALU_CYCLE_1)
	s_mov_b32 s3, s2
.LBB20_5:                               ;   Parent Loop BB20_4 Depth=1
                                        ; =>  This Inner Loop Header: Depth=2
	s_delay_alu instid0(SALU_CYCLE_1)
	s_add_co_i32 s3, s3, -1
	s_sleep 1
	s_cmp_eq_u32 s3, 0
	s_cbranch_scc0 .LBB20_5
; %bb.6:                                ;   in Loop: Header=BB20_4 Depth=1
	;;#ASMSTART
	global_load_b128 v[0:3], v[6:7] off scope:SCOPE_DEV	
s_wait_loadcnt 0x0
	;;#ASMEND
	v_and_b32_e32 v4, 0xff, v2
	s_cmp_lt_u32 s2, 32
	s_cselect_b32 s3, -1, 0
	s_delay_alu instid0(VALU_DEP_1) | instskip(SKIP_3) | instid1(SALU_CYCLE_1)
	v_cmp_ne_u64_e32 vcc_lo, 0, v[4:5]
	s_cmp_lg_u32 s3, 0
	s_add_co_ci_u32 s2, s2, 0
	s_or_b32 s1, vcc_lo, s1
	s_and_not1_b32 exec_lo, exec_lo, s1
	s_cbranch_execnz .LBB20_4
; %bb.7:
	s_or_b32 exec_lo, exec_lo, s1
.LBB20_8:
	s_delay_alu instid0(SALU_CYCLE_1)
	s_or_b32 exec_lo, exec_lo, s0
	v_mov_b32_e32 v2, 0
	s_clause 0x1
	global_store_b32 v2, v0, s[8:9]
	global_store_b8 v2, v1, s[8:9] offset:4
.LBB20_9:
	s_wait_xcnt 0x0
	s_or_b32 exec_lo, exec_lo, s12
.LBB20_10:
	s_delay_alu instid0(SALU_CYCLE_1) | instskip(NEXT) | instid1(VALU_DEP_1)
	s_mov_b32 s0, exec_lo
	v_cmpx_eq_u32_e32 0, v8
	s_cbranch_execz .LBB20_12
; %bb.11:
	v_mov_b32_e32 v0, 0
	global_store_b32 v0, v0, s[10:11]
.LBB20_12:
	s_wait_xcnt 0x0
	s_or_b32 exec_lo, exec_lo, s0
	s_delay_alu instid0(SALU_CYCLE_1)
	s_mov_b32 s0, exec_lo
	v_cmpx_gt_u32_e64 s6, v8
	s_cbranch_execz .LBB20_14
; %bb.13:
	v_dual_mov_b32 v0, 0 :: v_dual_add_nc_u32 v4, 32, v8
	s_delay_alu instid0(VALU_DEP_1)
	v_dual_mov_b32 v1, v0 :: v_dual_mov_b32 v2, v0
	v_mov_b32_e32 v3, v0
	global_store_b128 v4, v[0:3], s[4:5] scale_offset
.LBB20_14:
	s_wait_xcnt 0x0
	s_or_b32 exec_lo, exec_lo, s0
	s_delay_alu instid0(SALU_CYCLE_1)
	s_mov_b32 s0, exec_lo
	v_cmpx_gt_u32_e32 32, v8
	s_cbranch_execz .LBB20_16
; %bb.15:
	v_mov_b32_e32 v0, 0
	s_delay_alu instid0(VALU_DEP_1)
	v_dual_mov_b32 v2, 0xff :: v_dual_mov_b32 v1, v0
	v_mov_b32_e32 v3, v0
	global_store_b128 v8, v[0:3], s[4:5] scale_offset
.LBB20_16:
	s_endpgm
	.section	.rodata,"a",@progbits
	.p2align	6, 0x0
	.amdhsa_kernel _ZN7rocprim17ROCPRIM_400000_NS6detail30init_device_scan_by_key_kernelINS1_19lookback_scan_stateINS0_5tupleIJibEEELb1ELb1EEENS1_16block_id_wrapperIjLb1EEEEEvT_jjPNS9_10value_typeET0_
		.amdhsa_group_segment_fixed_size 0
		.amdhsa_private_segment_fixed_size 0
		.amdhsa_kernarg_size 288
		.amdhsa_user_sgpr_count 2
		.amdhsa_user_sgpr_dispatch_ptr 0
		.amdhsa_user_sgpr_queue_ptr 0
		.amdhsa_user_sgpr_kernarg_segment_ptr 1
		.amdhsa_user_sgpr_dispatch_id 0
		.amdhsa_user_sgpr_kernarg_preload_length 0
		.amdhsa_user_sgpr_kernarg_preload_offset 0
		.amdhsa_user_sgpr_private_segment_size 0
		.amdhsa_wavefront_size32 1
		.amdhsa_uses_dynamic_stack 0
		.amdhsa_enable_private_segment 0
		.amdhsa_system_sgpr_workgroup_id_x 1
		.amdhsa_system_sgpr_workgroup_id_y 0
		.amdhsa_system_sgpr_workgroup_id_z 0
		.amdhsa_system_sgpr_workgroup_info 0
		.amdhsa_system_vgpr_workitem_id 0
		.amdhsa_next_free_vgpr 9
		.amdhsa_next_free_sgpr 13
		.amdhsa_named_barrier_count 0
		.amdhsa_reserve_vcc 1
		.amdhsa_float_round_mode_32 0
		.amdhsa_float_round_mode_16_64 0
		.amdhsa_float_denorm_mode_32 3
		.amdhsa_float_denorm_mode_16_64 3
		.amdhsa_fp16_overflow 0
		.amdhsa_memory_ordered 1
		.amdhsa_forward_progress 1
		.amdhsa_inst_pref_size 4
		.amdhsa_round_robin_scheduling 0
		.amdhsa_exception_fp_ieee_invalid_op 0
		.amdhsa_exception_fp_denorm_src 0
		.amdhsa_exception_fp_ieee_div_zero 0
		.amdhsa_exception_fp_ieee_overflow 0
		.amdhsa_exception_fp_ieee_underflow 0
		.amdhsa_exception_fp_ieee_inexact 0
		.amdhsa_exception_int_div_zero 0
	.end_amdhsa_kernel
	.section	.text._ZN7rocprim17ROCPRIM_400000_NS6detail30init_device_scan_by_key_kernelINS1_19lookback_scan_stateINS0_5tupleIJibEEELb1ELb1EEENS1_16block_id_wrapperIjLb1EEEEEvT_jjPNS9_10value_typeET0_,"axG",@progbits,_ZN7rocprim17ROCPRIM_400000_NS6detail30init_device_scan_by_key_kernelINS1_19lookback_scan_stateINS0_5tupleIJibEEELb1ELb1EEENS1_16block_id_wrapperIjLb1EEEEEvT_jjPNS9_10value_typeET0_,comdat
.Lfunc_end20:
	.size	_ZN7rocprim17ROCPRIM_400000_NS6detail30init_device_scan_by_key_kernelINS1_19lookback_scan_stateINS0_5tupleIJibEEELb1ELb1EEENS1_16block_id_wrapperIjLb1EEEEEvT_jjPNS9_10value_typeET0_, .Lfunc_end20-_ZN7rocprim17ROCPRIM_400000_NS6detail30init_device_scan_by_key_kernelINS1_19lookback_scan_stateINS0_5tupleIJibEEELb1ELb1EEENS1_16block_id_wrapperIjLb1EEEEEvT_jjPNS9_10value_typeET0_
                                        ; -- End function
	.set _ZN7rocprim17ROCPRIM_400000_NS6detail30init_device_scan_by_key_kernelINS1_19lookback_scan_stateINS0_5tupleIJibEEELb1ELb1EEENS1_16block_id_wrapperIjLb1EEEEEvT_jjPNS9_10value_typeET0_.num_vgpr, 9
	.set _ZN7rocprim17ROCPRIM_400000_NS6detail30init_device_scan_by_key_kernelINS1_19lookback_scan_stateINS0_5tupleIJibEEELb1ELb1EEENS1_16block_id_wrapperIjLb1EEEEEvT_jjPNS9_10value_typeET0_.num_agpr, 0
	.set _ZN7rocprim17ROCPRIM_400000_NS6detail30init_device_scan_by_key_kernelINS1_19lookback_scan_stateINS0_5tupleIJibEEELb1ELb1EEENS1_16block_id_wrapperIjLb1EEEEEvT_jjPNS9_10value_typeET0_.numbered_sgpr, 13
	.set _ZN7rocprim17ROCPRIM_400000_NS6detail30init_device_scan_by_key_kernelINS1_19lookback_scan_stateINS0_5tupleIJibEEELb1ELb1EEENS1_16block_id_wrapperIjLb1EEEEEvT_jjPNS9_10value_typeET0_.num_named_barrier, 0
	.set _ZN7rocprim17ROCPRIM_400000_NS6detail30init_device_scan_by_key_kernelINS1_19lookback_scan_stateINS0_5tupleIJibEEELb1ELb1EEENS1_16block_id_wrapperIjLb1EEEEEvT_jjPNS9_10value_typeET0_.private_seg_size, 0
	.set _ZN7rocprim17ROCPRIM_400000_NS6detail30init_device_scan_by_key_kernelINS1_19lookback_scan_stateINS0_5tupleIJibEEELb1ELb1EEENS1_16block_id_wrapperIjLb1EEEEEvT_jjPNS9_10value_typeET0_.uses_vcc, 1
	.set _ZN7rocprim17ROCPRIM_400000_NS6detail30init_device_scan_by_key_kernelINS1_19lookback_scan_stateINS0_5tupleIJibEEELb1ELb1EEENS1_16block_id_wrapperIjLb1EEEEEvT_jjPNS9_10value_typeET0_.uses_flat_scratch, 0
	.set _ZN7rocprim17ROCPRIM_400000_NS6detail30init_device_scan_by_key_kernelINS1_19lookback_scan_stateINS0_5tupleIJibEEELb1ELb1EEENS1_16block_id_wrapperIjLb1EEEEEvT_jjPNS9_10value_typeET0_.has_dyn_sized_stack, 0
	.set _ZN7rocprim17ROCPRIM_400000_NS6detail30init_device_scan_by_key_kernelINS1_19lookback_scan_stateINS0_5tupleIJibEEELb1ELb1EEENS1_16block_id_wrapperIjLb1EEEEEvT_jjPNS9_10value_typeET0_.has_recursion, 0
	.set _ZN7rocprim17ROCPRIM_400000_NS6detail30init_device_scan_by_key_kernelINS1_19lookback_scan_stateINS0_5tupleIJibEEELb1ELb1EEENS1_16block_id_wrapperIjLb1EEEEEvT_jjPNS9_10value_typeET0_.has_indirect_call, 0
	.section	.AMDGPU.csdata,"",@progbits
; Kernel info:
; codeLenInByte = 464
; TotalNumSgprs: 15
; NumVgprs: 9
; ScratchSize: 0
; MemoryBound: 0
; FloatMode: 240
; IeeeMode: 1
; LDSByteSize: 0 bytes/workgroup (compile time only)
; SGPRBlocks: 0
; VGPRBlocks: 0
; NumSGPRsForWavesPerEU: 15
; NumVGPRsForWavesPerEU: 9
; NamedBarCnt: 0
; Occupancy: 16
; WaveLimiterHint : 0
; COMPUTE_PGM_RSRC2:SCRATCH_EN: 0
; COMPUTE_PGM_RSRC2:USER_SGPR: 2
; COMPUTE_PGM_RSRC2:TRAP_HANDLER: 0
; COMPUTE_PGM_RSRC2:TGID_X_EN: 1
; COMPUTE_PGM_RSRC2:TGID_Y_EN: 0
; COMPUTE_PGM_RSRC2:TGID_Z_EN: 0
; COMPUTE_PGM_RSRC2:TIDIG_COMP_CNT: 0
	.section	.text._ZN7rocprim17ROCPRIM_400000_NS6detail17trampoline_kernelINS0_14default_configENS1_27scan_by_key_config_selectorIiiEEZZNS1_16scan_by_key_implILNS1_25lookback_scan_determinismE0ELb0ES3_PKiN6hipcub16HIPCUB_304000_NS21ConstantInputIteratorIilEEPiiNSB_3SumENSB_8EqualityEiEE10hipError_tPvRmT2_T3_T4_T5_mT6_T7_P12ihipStream_tbENKUlT_T0_E_clISt17integral_constantIbLb1EESX_EEDaSS_ST_EUlSS_E_NS1_11comp_targetILNS1_3genE0ELNS1_11target_archE4294967295ELNS1_3gpuE0ELNS1_3repE0EEENS1_30default_config_static_selectorELNS0_4arch9wavefront6targetE0EEEvT1_,"axG",@progbits,_ZN7rocprim17ROCPRIM_400000_NS6detail17trampoline_kernelINS0_14default_configENS1_27scan_by_key_config_selectorIiiEEZZNS1_16scan_by_key_implILNS1_25lookback_scan_determinismE0ELb0ES3_PKiN6hipcub16HIPCUB_304000_NS21ConstantInputIteratorIilEEPiiNSB_3SumENSB_8EqualityEiEE10hipError_tPvRmT2_T3_T4_T5_mT6_T7_P12ihipStream_tbENKUlT_T0_E_clISt17integral_constantIbLb1EESX_EEDaSS_ST_EUlSS_E_NS1_11comp_targetILNS1_3genE0ELNS1_11target_archE4294967295ELNS1_3gpuE0ELNS1_3repE0EEENS1_30default_config_static_selectorELNS0_4arch9wavefront6targetE0EEEvT1_,comdat
	.protected	_ZN7rocprim17ROCPRIM_400000_NS6detail17trampoline_kernelINS0_14default_configENS1_27scan_by_key_config_selectorIiiEEZZNS1_16scan_by_key_implILNS1_25lookback_scan_determinismE0ELb0ES3_PKiN6hipcub16HIPCUB_304000_NS21ConstantInputIteratorIilEEPiiNSB_3SumENSB_8EqualityEiEE10hipError_tPvRmT2_T3_T4_T5_mT6_T7_P12ihipStream_tbENKUlT_T0_E_clISt17integral_constantIbLb1EESX_EEDaSS_ST_EUlSS_E_NS1_11comp_targetILNS1_3genE0ELNS1_11target_archE4294967295ELNS1_3gpuE0ELNS1_3repE0EEENS1_30default_config_static_selectorELNS0_4arch9wavefront6targetE0EEEvT1_ ; -- Begin function _ZN7rocprim17ROCPRIM_400000_NS6detail17trampoline_kernelINS0_14default_configENS1_27scan_by_key_config_selectorIiiEEZZNS1_16scan_by_key_implILNS1_25lookback_scan_determinismE0ELb0ES3_PKiN6hipcub16HIPCUB_304000_NS21ConstantInputIteratorIilEEPiiNSB_3SumENSB_8EqualityEiEE10hipError_tPvRmT2_T3_T4_T5_mT6_T7_P12ihipStream_tbENKUlT_T0_E_clISt17integral_constantIbLb1EESX_EEDaSS_ST_EUlSS_E_NS1_11comp_targetILNS1_3genE0ELNS1_11target_archE4294967295ELNS1_3gpuE0ELNS1_3repE0EEENS1_30default_config_static_selectorELNS0_4arch9wavefront6targetE0EEEvT1_
	.globl	_ZN7rocprim17ROCPRIM_400000_NS6detail17trampoline_kernelINS0_14default_configENS1_27scan_by_key_config_selectorIiiEEZZNS1_16scan_by_key_implILNS1_25lookback_scan_determinismE0ELb0ES3_PKiN6hipcub16HIPCUB_304000_NS21ConstantInputIteratorIilEEPiiNSB_3SumENSB_8EqualityEiEE10hipError_tPvRmT2_T3_T4_T5_mT6_T7_P12ihipStream_tbENKUlT_T0_E_clISt17integral_constantIbLb1EESX_EEDaSS_ST_EUlSS_E_NS1_11comp_targetILNS1_3genE0ELNS1_11target_archE4294967295ELNS1_3gpuE0ELNS1_3repE0EEENS1_30default_config_static_selectorELNS0_4arch9wavefront6targetE0EEEvT1_
	.p2align	8
	.type	_ZN7rocprim17ROCPRIM_400000_NS6detail17trampoline_kernelINS0_14default_configENS1_27scan_by_key_config_selectorIiiEEZZNS1_16scan_by_key_implILNS1_25lookback_scan_determinismE0ELb0ES3_PKiN6hipcub16HIPCUB_304000_NS21ConstantInputIteratorIilEEPiiNSB_3SumENSB_8EqualityEiEE10hipError_tPvRmT2_T3_T4_T5_mT6_T7_P12ihipStream_tbENKUlT_T0_E_clISt17integral_constantIbLb1EESX_EEDaSS_ST_EUlSS_E_NS1_11comp_targetILNS1_3genE0ELNS1_11target_archE4294967295ELNS1_3gpuE0ELNS1_3repE0EEENS1_30default_config_static_selectorELNS0_4arch9wavefront6targetE0EEEvT1_,@function
_ZN7rocprim17ROCPRIM_400000_NS6detail17trampoline_kernelINS0_14default_configENS1_27scan_by_key_config_selectorIiiEEZZNS1_16scan_by_key_implILNS1_25lookback_scan_determinismE0ELb0ES3_PKiN6hipcub16HIPCUB_304000_NS21ConstantInputIteratorIilEEPiiNSB_3SumENSB_8EqualityEiEE10hipError_tPvRmT2_T3_T4_T5_mT6_T7_P12ihipStream_tbENKUlT_T0_E_clISt17integral_constantIbLb1EESX_EEDaSS_ST_EUlSS_E_NS1_11comp_targetILNS1_3genE0ELNS1_11target_archE4294967295ELNS1_3gpuE0ELNS1_3repE0EEENS1_30default_config_static_selectorELNS0_4arch9wavefront6targetE0EEEvT1_: ; @_ZN7rocprim17ROCPRIM_400000_NS6detail17trampoline_kernelINS0_14default_configENS1_27scan_by_key_config_selectorIiiEEZZNS1_16scan_by_key_implILNS1_25lookback_scan_determinismE0ELb0ES3_PKiN6hipcub16HIPCUB_304000_NS21ConstantInputIteratorIilEEPiiNSB_3SumENSB_8EqualityEiEE10hipError_tPvRmT2_T3_T4_T5_mT6_T7_P12ihipStream_tbENKUlT_T0_E_clISt17integral_constantIbLb1EESX_EEDaSS_ST_EUlSS_E_NS1_11comp_targetILNS1_3genE0ELNS1_11target_archE4294967295ELNS1_3gpuE0ELNS1_3repE0EEENS1_30default_config_static_selectorELNS0_4arch9wavefront6targetE0EEEvT1_
; %bb.0:
	s_endpgm
	.section	.rodata,"a",@progbits
	.p2align	6, 0x0
	.amdhsa_kernel _ZN7rocprim17ROCPRIM_400000_NS6detail17trampoline_kernelINS0_14default_configENS1_27scan_by_key_config_selectorIiiEEZZNS1_16scan_by_key_implILNS1_25lookback_scan_determinismE0ELb0ES3_PKiN6hipcub16HIPCUB_304000_NS21ConstantInputIteratorIilEEPiiNSB_3SumENSB_8EqualityEiEE10hipError_tPvRmT2_T3_T4_T5_mT6_T7_P12ihipStream_tbENKUlT_T0_E_clISt17integral_constantIbLb1EESX_EEDaSS_ST_EUlSS_E_NS1_11comp_targetILNS1_3genE0ELNS1_11target_archE4294967295ELNS1_3gpuE0ELNS1_3repE0EEENS1_30default_config_static_selectorELNS0_4arch9wavefront6targetE0EEEvT1_
		.amdhsa_group_segment_fixed_size 0
		.amdhsa_private_segment_fixed_size 0
		.amdhsa_kernarg_size 120
		.amdhsa_user_sgpr_count 2
		.amdhsa_user_sgpr_dispatch_ptr 0
		.amdhsa_user_sgpr_queue_ptr 0
		.amdhsa_user_sgpr_kernarg_segment_ptr 1
		.amdhsa_user_sgpr_dispatch_id 0
		.amdhsa_user_sgpr_kernarg_preload_length 0
		.amdhsa_user_sgpr_kernarg_preload_offset 0
		.amdhsa_user_sgpr_private_segment_size 0
		.amdhsa_wavefront_size32 1
		.amdhsa_uses_dynamic_stack 0
		.amdhsa_enable_private_segment 0
		.amdhsa_system_sgpr_workgroup_id_x 1
		.amdhsa_system_sgpr_workgroup_id_y 0
		.amdhsa_system_sgpr_workgroup_id_z 0
		.amdhsa_system_sgpr_workgroup_info 0
		.amdhsa_system_vgpr_workitem_id 0
		.amdhsa_next_free_vgpr 1
		.amdhsa_next_free_sgpr 1
		.amdhsa_named_barrier_count 0
		.amdhsa_reserve_vcc 0
		.amdhsa_float_round_mode_32 0
		.amdhsa_float_round_mode_16_64 0
		.amdhsa_float_denorm_mode_32 3
		.amdhsa_float_denorm_mode_16_64 3
		.amdhsa_fp16_overflow 0
		.amdhsa_memory_ordered 1
		.amdhsa_forward_progress 1
		.amdhsa_inst_pref_size 1
		.amdhsa_round_robin_scheduling 0
		.amdhsa_exception_fp_ieee_invalid_op 0
		.amdhsa_exception_fp_denorm_src 0
		.amdhsa_exception_fp_ieee_div_zero 0
		.amdhsa_exception_fp_ieee_overflow 0
		.amdhsa_exception_fp_ieee_underflow 0
		.amdhsa_exception_fp_ieee_inexact 0
		.amdhsa_exception_int_div_zero 0
	.end_amdhsa_kernel
	.section	.text._ZN7rocprim17ROCPRIM_400000_NS6detail17trampoline_kernelINS0_14default_configENS1_27scan_by_key_config_selectorIiiEEZZNS1_16scan_by_key_implILNS1_25lookback_scan_determinismE0ELb0ES3_PKiN6hipcub16HIPCUB_304000_NS21ConstantInputIteratorIilEEPiiNSB_3SumENSB_8EqualityEiEE10hipError_tPvRmT2_T3_T4_T5_mT6_T7_P12ihipStream_tbENKUlT_T0_E_clISt17integral_constantIbLb1EESX_EEDaSS_ST_EUlSS_E_NS1_11comp_targetILNS1_3genE0ELNS1_11target_archE4294967295ELNS1_3gpuE0ELNS1_3repE0EEENS1_30default_config_static_selectorELNS0_4arch9wavefront6targetE0EEEvT1_,"axG",@progbits,_ZN7rocprim17ROCPRIM_400000_NS6detail17trampoline_kernelINS0_14default_configENS1_27scan_by_key_config_selectorIiiEEZZNS1_16scan_by_key_implILNS1_25lookback_scan_determinismE0ELb0ES3_PKiN6hipcub16HIPCUB_304000_NS21ConstantInputIteratorIilEEPiiNSB_3SumENSB_8EqualityEiEE10hipError_tPvRmT2_T3_T4_T5_mT6_T7_P12ihipStream_tbENKUlT_T0_E_clISt17integral_constantIbLb1EESX_EEDaSS_ST_EUlSS_E_NS1_11comp_targetILNS1_3genE0ELNS1_11target_archE4294967295ELNS1_3gpuE0ELNS1_3repE0EEENS1_30default_config_static_selectorELNS0_4arch9wavefront6targetE0EEEvT1_,comdat
.Lfunc_end21:
	.size	_ZN7rocprim17ROCPRIM_400000_NS6detail17trampoline_kernelINS0_14default_configENS1_27scan_by_key_config_selectorIiiEEZZNS1_16scan_by_key_implILNS1_25lookback_scan_determinismE0ELb0ES3_PKiN6hipcub16HIPCUB_304000_NS21ConstantInputIteratorIilEEPiiNSB_3SumENSB_8EqualityEiEE10hipError_tPvRmT2_T3_T4_T5_mT6_T7_P12ihipStream_tbENKUlT_T0_E_clISt17integral_constantIbLb1EESX_EEDaSS_ST_EUlSS_E_NS1_11comp_targetILNS1_3genE0ELNS1_11target_archE4294967295ELNS1_3gpuE0ELNS1_3repE0EEENS1_30default_config_static_selectorELNS0_4arch9wavefront6targetE0EEEvT1_, .Lfunc_end21-_ZN7rocprim17ROCPRIM_400000_NS6detail17trampoline_kernelINS0_14default_configENS1_27scan_by_key_config_selectorIiiEEZZNS1_16scan_by_key_implILNS1_25lookback_scan_determinismE0ELb0ES3_PKiN6hipcub16HIPCUB_304000_NS21ConstantInputIteratorIilEEPiiNSB_3SumENSB_8EqualityEiEE10hipError_tPvRmT2_T3_T4_T5_mT6_T7_P12ihipStream_tbENKUlT_T0_E_clISt17integral_constantIbLb1EESX_EEDaSS_ST_EUlSS_E_NS1_11comp_targetILNS1_3genE0ELNS1_11target_archE4294967295ELNS1_3gpuE0ELNS1_3repE0EEENS1_30default_config_static_selectorELNS0_4arch9wavefront6targetE0EEEvT1_
                                        ; -- End function
	.set _ZN7rocprim17ROCPRIM_400000_NS6detail17trampoline_kernelINS0_14default_configENS1_27scan_by_key_config_selectorIiiEEZZNS1_16scan_by_key_implILNS1_25lookback_scan_determinismE0ELb0ES3_PKiN6hipcub16HIPCUB_304000_NS21ConstantInputIteratorIilEEPiiNSB_3SumENSB_8EqualityEiEE10hipError_tPvRmT2_T3_T4_T5_mT6_T7_P12ihipStream_tbENKUlT_T0_E_clISt17integral_constantIbLb1EESX_EEDaSS_ST_EUlSS_E_NS1_11comp_targetILNS1_3genE0ELNS1_11target_archE4294967295ELNS1_3gpuE0ELNS1_3repE0EEENS1_30default_config_static_selectorELNS0_4arch9wavefront6targetE0EEEvT1_.num_vgpr, 0
	.set _ZN7rocprim17ROCPRIM_400000_NS6detail17trampoline_kernelINS0_14default_configENS1_27scan_by_key_config_selectorIiiEEZZNS1_16scan_by_key_implILNS1_25lookback_scan_determinismE0ELb0ES3_PKiN6hipcub16HIPCUB_304000_NS21ConstantInputIteratorIilEEPiiNSB_3SumENSB_8EqualityEiEE10hipError_tPvRmT2_T3_T4_T5_mT6_T7_P12ihipStream_tbENKUlT_T0_E_clISt17integral_constantIbLb1EESX_EEDaSS_ST_EUlSS_E_NS1_11comp_targetILNS1_3genE0ELNS1_11target_archE4294967295ELNS1_3gpuE0ELNS1_3repE0EEENS1_30default_config_static_selectorELNS0_4arch9wavefront6targetE0EEEvT1_.num_agpr, 0
	.set _ZN7rocprim17ROCPRIM_400000_NS6detail17trampoline_kernelINS0_14default_configENS1_27scan_by_key_config_selectorIiiEEZZNS1_16scan_by_key_implILNS1_25lookback_scan_determinismE0ELb0ES3_PKiN6hipcub16HIPCUB_304000_NS21ConstantInputIteratorIilEEPiiNSB_3SumENSB_8EqualityEiEE10hipError_tPvRmT2_T3_T4_T5_mT6_T7_P12ihipStream_tbENKUlT_T0_E_clISt17integral_constantIbLb1EESX_EEDaSS_ST_EUlSS_E_NS1_11comp_targetILNS1_3genE0ELNS1_11target_archE4294967295ELNS1_3gpuE0ELNS1_3repE0EEENS1_30default_config_static_selectorELNS0_4arch9wavefront6targetE0EEEvT1_.numbered_sgpr, 0
	.set _ZN7rocprim17ROCPRIM_400000_NS6detail17trampoline_kernelINS0_14default_configENS1_27scan_by_key_config_selectorIiiEEZZNS1_16scan_by_key_implILNS1_25lookback_scan_determinismE0ELb0ES3_PKiN6hipcub16HIPCUB_304000_NS21ConstantInputIteratorIilEEPiiNSB_3SumENSB_8EqualityEiEE10hipError_tPvRmT2_T3_T4_T5_mT6_T7_P12ihipStream_tbENKUlT_T0_E_clISt17integral_constantIbLb1EESX_EEDaSS_ST_EUlSS_E_NS1_11comp_targetILNS1_3genE0ELNS1_11target_archE4294967295ELNS1_3gpuE0ELNS1_3repE0EEENS1_30default_config_static_selectorELNS0_4arch9wavefront6targetE0EEEvT1_.num_named_barrier, 0
	.set _ZN7rocprim17ROCPRIM_400000_NS6detail17trampoline_kernelINS0_14default_configENS1_27scan_by_key_config_selectorIiiEEZZNS1_16scan_by_key_implILNS1_25lookback_scan_determinismE0ELb0ES3_PKiN6hipcub16HIPCUB_304000_NS21ConstantInputIteratorIilEEPiiNSB_3SumENSB_8EqualityEiEE10hipError_tPvRmT2_T3_T4_T5_mT6_T7_P12ihipStream_tbENKUlT_T0_E_clISt17integral_constantIbLb1EESX_EEDaSS_ST_EUlSS_E_NS1_11comp_targetILNS1_3genE0ELNS1_11target_archE4294967295ELNS1_3gpuE0ELNS1_3repE0EEENS1_30default_config_static_selectorELNS0_4arch9wavefront6targetE0EEEvT1_.private_seg_size, 0
	.set _ZN7rocprim17ROCPRIM_400000_NS6detail17trampoline_kernelINS0_14default_configENS1_27scan_by_key_config_selectorIiiEEZZNS1_16scan_by_key_implILNS1_25lookback_scan_determinismE0ELb0ES3_PKiN6hipcub16HIPCUB_304000_NS21ConstantInputIteratorIilEEPiiNSB_3SumENSB_8EqualityEiEE10hipError_tPvRmT2_T3_T4_T5_mT6_T7_P12ihipStream_tbENKUlT_T0_E_clISt17integral_constantIbLb1EESX_EEDaSS_ST_EUlSS_E_NS1_11comp_targetILNS1_3genE0ELNS1_11target_archE4294967295ELNS1_3gpuE0ELNS1_3repE0EEENS1_30default_config_static_selectorELNS0_4arch9wavefront6targetE0EEEvT1_.uses_vcc, 0
	.set _ZN7rocprim17ROCPRIM_400000_NS6detail17trampoline_kernelINS0_14default_configENS1_27scan_by_key_config_selectorIiiEEZZNS1_16scan_by_key_implILNS1_25lookback_scan_determinismE0ELb0ES3_PKiN6hipcub16HIPCUB_304000_NS21ConstantInputIteratorIilEEPiiNSB_3SumENSB_8EqualityEiEE10hipError_tPvRmT2_T3_T4_T5_mT6_T7_P12ihipStream_tbENKUlT_T0_E_clISt17integral_constantIbLb1EESX_EEDaSS_ST_EUlSS_E_NS1_11comp_targetILNS1_3genE0ELNS1_11target_archE4294967295ELNS1_3gpuE0ELNS1_3repE0EEENS1_30default_config_static_selectorELNS0_4arch9wavefront6targetE0EEEvT1_.uses_flat_scratch, 0
	.set _ZN7rocprim17ROCPRIM_400000_NS6detail17trampoline_kernelINS0_14default_configENS1_27scan_by_key_config_selectorIiiEEZZNS1_16scan_by_key_implILNS1_25lookback_scan_determinismE0ELb0ES3_PKiN6hipcub16HIPCUB_304000_NS21ConstantInputIteratorIilEEPiiNSB_3SumENSB_8EqualityEiEE10hipError_tPvRmT2_T3_T4_T5_mT6_T7_P12ihipStream_tbENKUlT_T0_E_clISt17integral_constantIbLb1EESX_EEDaSS_ST_EUlSS_E_NS1_11comp_targetILNS1_3genE0ELNS1_11target_archE4294967295ELNS1_3gpuE0ELNS1_3repE0EEENS1_30default_config_static_selectorELNS0_4arch9wavefront6targetE0EEEvT1_.has_dyn_sized_stack, 0
	.set _ZN7rocprim17ROCPRIM_400000_NS6detail17trampoline_kernelINS0_14default_configENS1_27scan_by_key_config_selectorIiiEEZZNS1_16scan_by_key_implILNS1_25lookback_scan_determinismE0ELb0ES3_PKiN6hipcub16HIPCUB_304000_NS21ConstantInputIteratorIilEEPiiNSB_3SumENSB_8EqualityEiEE10hipError_tPvRmT2_T3_T4_T5_mT6_T7_P12ihipStream_tbENKUlT_T0_E_clISt17integral_constantIbLb1EESX_EEDaSS_ST_EUlSS_E_NS1_11comp_targetILNS1_3genE0ELNS1_11target_archE4294967295ELNS1_3gpuE0ELNS1_3repE0EEENS1_30default_config_static_selectorELNS0_4arch9wavefront6targetE0EEEvT1_.has_recursion, 0
	.set _ZN7rocprim17ROCPRIM_400000_NS6detail17trampoline_kernelINS0_14default_configENS1_27scan_by_key_config_selectorIiiEEZZNS1_16scan_by_key_implILNS1_25lookback_scan_determinismE0ELb0ES3_PKiN6hipcub16HIPCUB_304000_NS21ConstantInputIteratorIilEEPiiNSB_3SumENSB_8EqualityEiEE10hipError_tPvRmT2_T3_T4_T5_mT6_T7_P12ihipStream_tbENKUlT_T0_E_clISt17integral_constantIbLb1EESX_EEDaSS_ST_EUlSS_E_NS1_11comp_targetILNS1_3genE0ELNS1_11target_archE4294967295ELNS1_3gpuE0ELNS1_3repE0EEENS1_30default_config_static_selectorELNS0_4arch9wavefront6targetE0EEEvT1_.has_indirect_call, 0
	.section	.AMDGPU.csdata,"",@progbits
; Kernel info:
; codeLenInByte = 4
; TotalNumSgprs: 0
; NumVgprs: 0
; ScratchSize: 0
; MemoryBound: 0
; FloatMode: 240
; IeeeMode: 1
; LDSByteSize: 0 bytes/workgroup (compile time only)
; SGPRBlocks: 0
; VGPRBlocks: 0
; NumSGPRsForWavesPerEU: 1
; NumVGPRsForWavesPerEU: 1
; NamedBarCnt: 0
; Occupancy: 16
; WaveLimiterHint : 0
; COMPUTE_PGM_RSRC2:SCRATCH_EN: 0
; COMPUTE_PGM_RSRC2:USER_SGPR: 2
; COMPUTE_PGM_RSRC2:TRAP_HANDLER: 0
; COMPUTE_PGM_RSRC2:TGID_X_EN: 1
; COMPUTE_PGM_RSRC2:TGID_Y_EN: 0
; COMPUTE_PGM_RSRC2:TGID_Z_EN: 0
; COMPUTE_PGM_RSRC2:TIDIG_COMP_CNT: 0
	.section	.text._ZN7rocprim17ROCPRIM_400000_NS6detail17trampoline_kernelINS0_14default_configENS1_27scan_by_key_config_selectorIiiEEZZNS1_16scan_by_key_implILNS1_25lookback_scan_determinismE0ELb0ES3_PKiN6hipcub16HIPCUB_304000_NS21ConstantInputIteratorIilEEPiiNSB_3SumENSB_8EqualityEiEE10hipError_tPvRmT2_T3_T4_T5_mT6_T7_P12ihipStream_tbENKUlT_T0_E_clISt17integral_constantIbLb1EESX_EEDaSS_ST_EUlSS_E_NS1_11comp_targetILNS1_3genE10ELNS1_11target_archE1201ELNS1_3gpuE5ELNS1_3repE0EEENS1_30default_config_static_selectorELNS0_4arch9wavefront6targetE0EEEvT1_,"axG",@progbits,_ZN7rocprim17ROCPRIM_400000_NS6detail17trampoline_kernelINS0_14default_configENS1_27scan_by_key_config_selectorIiiEEZZNS1_16scan_by_key_implILNS1_25lookback_scan_determinismE0ELb0ES3_PKiN6hipcub16HIPCUB_304000_NS21ConstantInputIteratorIilEEPiiNSB_3SumENSB_8EqualityEiEE10hipError_tPvRmT2_T3_T4_T5_mT6_T7_P12ihipStream_tbENKUlT_T0_E_clISt17integral_constantIbLb1EESX_EEDaSS_ST_EUlSS_E_NS1_11comp_targetILNS1_3genE10ELNS1_11target_archE1201ELNS1_3gpuE5ELNS1_3repE0EEENS1_30default_config_static_selectorELNS0_4arch9wavefront6targetE0EEEvT1_,comdat
	.protected	_ZN7rocprim17ROCPRIM_400000_NS6detail17trampoline_kernelINS0_14default_configENS1_27scan_by_key_config_selectorIiiEEZZNS1_16scan_by_key_implILNS1_25lookback_scan_determinismE0ELb0ES3_PKiN6hipcub16HIPCUB_304000_NS21ConstantInputIteratorIilEEPiiNSB_3SumENSB_8EqualityEiEE10hipError_tPvRmT2_T3_T4_T5_mT6_T7_P12ihipStream_tbENKUlT_T0_E_clISt17integral_constantIbLb1EESX_EEDaSS_ST_EUlSS_E_NS1_11comp_targetILNS1_3genE10ELNS1_11target_archE1201ELNS1_3gpuE5ELNS1_3repE0EEENS1_30default_config_static_selectorELNS0_4arch9wavefront6targetE0EEEvT1_ ; -- Begin function _ZN7rocprim17ROCPRIM_400000_NS6detail17trampoline_kernelINS0_14default_configENS1_27scan_by_key_config_selectorIiiEEZZNS1_16scan_by_key_implILNS1_25lookback_scan_determinismE0ELb0ES3_PKiN6hipcub16HIPCUB_304000_NS21ConstantInputIteratorIilEEPiiNSB_3SumENSB_8EqualityEiEE10hipError_tPvRmT2_T3_T4_T5_mT6_T7_P12ihipStream_tbENKUlT_T0_E_clISt17integral_constantIbLb1EESX_EEDaSS_ST_EUlSS_E_NS1_11comp_targetILNS1_3genE10ELNS1_11target_archE1201ELNS1_3gpuE5ELNS1_3repE0EEENS1_30default_config_static_selectorELNS0_4arch9wavefront6targetE0EEEvT1_
	.globl	_ZN7rocprim17ROCPRIM_400000_NS6detail17trampoline_kernelINS0_14default_configENS1_27scan_by_key_config_selectorIiiEEZZNS1_16scan_by_key_implILNS1_25lookback_scan_determinismE0ELb0ES3_PKiN6hipcub16HIPCUB_304000_NS21ConstantInputIteratorIilEEPiiNSB_3SumENSB_8EqualityEiEE10hipError_tPvRmT2_T3_T4_T5_mT6_T7_P12ihipStream_tbENKUlT_T0_E_clISt17integral_constantIbLb1EESX_EEDaSS_ST_EUlSS_E_NS1_11comp_targetILNS1_3genE10ELNS1_11target_archE1201ELNS1_3gpuE5ELNS1_3repE0EEENS1_30default_config_static_selectorELNS0_4arch9wavefront6targetE0EEEvT1_
	.p2align	8
	.type	_ZN7rocprim17ROCPRIM_400000_NS6detail17trampoline_kernelINS0_14default_configENS1_27scan_by_key_config_selectorIiiEEZZNS1_16scan_by_key_implILNS1_25lookback_scan_determinismE0ELb0ES3_PKiN6hipcub16HIPCUB_304000_NS21ConstantInputIteratorIilEEPiiNSB_3SumENSB_8EqualityEiEE10hipError_tPvRmT2_T3_T4_T5_mT6_T7_P12ihipStream_tbENKUlT_T0_E_clISt17integral_constantIbLb1EESX_EEDaSS_ST_EUlSS_E_NS1_11comp_targetILNS1_3genE10ELNS1_11target_archE1201ELNS1_3gpuE5ELNS1_3repE0EEENS1_30default_config_static_selectorELNS0_4arch9wavefront6targetE0EEEvT1_,@function
_ZN7rocprim17ROCPRIM_400000_NS6detail17trampoline_kernelINS0_14default_configENS1_27scan_by_key_config_selectorIiiEEZZNS1_16scan_by_key_implILNS1_25lookback_scan_determinismE0ELb0ES3_PKiN6hipcub16HIPCUB_304000_NS21ConstantInputIteratorIilEEPiiNSB_3SumENSB_8EqualityEiEE10hipError_tPvRmT2_T3_T4_T5_mT6_T7_P12ihipStream_tbENKUlT_T0_E_clISt17integral_constantIbLb1EESX_EEDaSS_ST_EUlSS_E_NS1_11comp_targetILNS1_3genE10ELNS1_11target_archE1201ELNS1_3gpuE5ELNS1_3repE0EEENS1_30default_config_static_selectorELNS0_4arch9wavefront6targetE0EEEvT1_: ; @_ZN7rocprim17ROCPRIM_400000_NS6detail17trampoline_kernelINS0_14default_configENS1_27scan_by_key_config_selectorIiiEEZZNS1_16scan_by_key_implILNS1_25lookback_scan_determinismE0ELb0ES3_PKiN6hipcub16HIPCUB_304000_NS21ConstantInputIteratorIilEEPiiNSB_3SumENSB_8EqualityEiEE10hipError_tPvRmT2_T3_T4_T5_mT6_T7_P12ihipStream_tbENKUlT_T0_E_clISt17integral_constantIbLb1EESX_EEDaSS_ST_EUlSS_E_NS1_11comp_targetILNS1_3genE10ELNS1_11target_archE1201ELNS1_3gpuE5ELNS1_3repE0EEENS1_30default_config_static_selectorELNS0_4arch9wavefront6targetE0EEEvT1_
; %bb.0:
	.section	.rodata,"a",@progbits
	.p2align	6, 0x0
	.amdhsa_kernel _ZN7rocprim17ROCPRIM_400000_NS6detail17trampoline_kernelINS0_14default_configENS1_27scan_by_key_config_selectorIiiEEZZNS1_16scan_by_key_implILNS1_25lookback_scan_determinismE0ELb0ES3_PKiN6hipcub16HIPCUB_304000_NS21ConstantInputIteratorIilEEPiiNSB_3SumENSB_8EqualityEiEE10hipError_tPvRmT2_T3_T4_T5_mT6_T7_P12ihipStream_tbENKUlT_T0_E_clISt17integral_constantIbLb1EESX_EEDaSS_ST_EUlSS_E_NS1_11comp_targetILNS1_3genE10ELNS1_11target_archE1201ELNS1_3gpuE5ELNS1_3repE0EEENS1_30default_config_static_selectorELNS0_4arch9wavefront6targetE0EEEvT1_
		.amdhsa_group_segment_fixed_size 0
		.amdhsa_private_segment_fixed_size 0
		.amdhsa_kernarg_size 120
		.amdhsa_user_sgpr_count 2
		.amdhsa_user_sgpr_dispatch_ptr 0
		.amdhsa_user_sgpr_queue_ptr 0
		.amdhsa_user_sgpr_kernarg_segment_ptr 1
		.amdhsa_user_sgpr_dispatch_id 0
		.amdhsa_user_sgpr_kernarg_preload_length 0
		.amdhsa_user_sgpr_kernarg_preload_offset 0
		.amdhsa_user_sgpr_private_segment_size 0
		.amdhsa_wavefront_size32 1
		.amdhsa_uses_dynamic_stack 0
		.amdhsa_enable_private_segment 0
		.amdhsa_system_sgpr_workgroup_id_x 1
		.amdhsa_system_sgpr_workgroup_id_y 0
		.amdhsa_system_sgpr_workgroup_id_z 0
		.amdhsa_system_sgpr_workgroup_info 0
		.amdhsa_system_vgpr_workitem_id 0
		.amdhsa_next_free_vgpr 1
		.amdhsa_next_free_sgpr 1
		.amdhsa_named_barrier_count 0
		.amdhsa_reserve_vcc 0
		.amdhsa_float_round_mode_32 0
		.amdhsa_float_round_mode_16_64 0
		.amdhsa_float_denorm_mode_32 3
		.amdhsa_float_denorm_mode_16_64 3
		.amdhsa_fp16_overflow 0
		.amdhsa_memory_ordered 1
		.amdhsa_forward_progress 1
		.amdhsa_inst_pref_size 0
		.amdhsa_round_robin_scheduling 0
		.amdhsa_exception_fp_ieee_invalid_op 0
		.amdhsa_exception_fp_denorm_src 0
		.amdhsa_exception_fp_ieee_div_zero 0
		.amdhsa_exception_fp_ieee_overflow 0
		.amdhsa_exception_fp_ieee_underflow 0
		.amdhsa_exception_fp_ieee_inexact 0
		.amdhsa_exception_int_div_zero 0
	.end_amdhsa_kernel
	.section	.text._ZN7rocprim17ROCPRIM_400000_NS6detail17trampoline_kernelINS0_14default_configENS1_27scan_by_key_config_selectorIiiEEZZNS1_16scan_by_key_implILNS1_25lookback_scan_determinismE0ELb0ES3_PKiN6hipcub16HIPCUB_304000_NS21ConstantInputIteratorIilEEPiiNSB_3SumENSB_8EqualityEiEE10hipError_tPvRmT2_T3_T4_T5_mT6_T7_P12ihipStream_tbENKUlT_T0_E_clISt17integral_constantIbLb1EESX_EEDaSS_ST_EUlSS_E_NS1_11comp_targetILNS1_3genE10ELNS1_11target_archE1201ELNS1_3gpuE5ELNS1_3repE0EEENS1_30default_config_static_selectorELNS0_4arch9wavefront6targetE0EEEvT1_,"axG",@progbits,_ZN7rocprim17ROCPRIM_400000_NS6detail17trampoline_kernelINS0_14default_configENS1_27scan_by_key_config_selectorIiiEEZZNS1_16scan_by_key_implILNS1_25lookback_scan_determinismE0ELb0ES3_PKiN6hipcub16HIPCUB_304000_NS21ConstantInputIteratorIilEEPiiNSB_3SumENSB_8EqualityEiEE10hipError_tPvRmT2_T3_T4_T5_mT6_T7_P12ihipStream_tbENKUlT_T0_E_clISt17integral_constantIbLb1EESX_EEDaSS_ST_EUlSS_E_NS1_11comp_targetILNS1_3genE10ELNS1_11target_archE1201ELNS1_3gpuE5ELNS1_3repE0EEENS1_30default_config_static_selectorELNS0_4arch9wavefront6targetE0EEEvT1_,comdat
.Lfunc_end22:
	.size	_ZN7rocprim17ROCPRIM_400000_NS6detail17trampoline_kernelINS0_14default_configENS1_27scan_by_key_config_selectorIiiEEZZNS1_16scan_by_key_implILNS1_25lookback_scan_determinismE0ELb0ES3_PKiN6hipcub16HIPCUB_304000_NS21ConstantInputIteratorIilEEPiiNSB_3SumENSB_8EqualityEiEE10hipError_tPvRmT2_T3_T4_T5_mT6_T7_P12ihipStream_tbENKUlT_T0_E_clISt17integral_constantIbLb1EESX_EEDaSS_ST_EUlSS_E_NS1_11comp_targetILNS1_3genE10ELNS1_11target_archE1201ELNS1_3gpuE5ELNS1_3repE0EEENS1_30default_config_static_selectorELNS0_4arch9wavefront6targetE0EEEvT1_, .Lfunc_end22-_ZN7rocprim17ROCPRIM_400000_NS6detail17trampoline_kernelINS0_14default_configENS1_27scan_by_key_config_selectorIiiEEZZNS1_16scan_by_key_implILNS1_25lookback_scan_determinismE0ELb0ES3_PKiN6hipcub16HIPCUB_304000_NS21ConstantInputIteratorIilEEPiiNSB_3SumENSB_8EqualityEiEE10hipError_tPvRmT2_T3_T4_T5_mT6_T7_P12ihipStream_tbENKUlT_T0_E_clISt17integral_constantIbLb1EESX_EEDaSS_ST_EUlSS_E_NS1_11comp_targetILNS1_3genE10ELNS1_11target_archE1201ELNS1_3gpuE5ELNS1_3repE0EEENS1_30default_config_static_selectorELNS0_4arch9wavefront6targetE0EEEvT1_
                                        ; -- End function
	.set _ZN7rocprim17ROCPRIM_400000_NS6detail17trampoline_kernelINS0_14default_configENS1_27scan_by_key_config_selectorIiiEEZZNS1_16scan_by_key_implILNS1_25lookback_scan_determinismE0ELb0ES3_PKiN6hipcub16HIPCUB_304000_NS21ConstantInputIteratorIilEEPiiNSB_3SumENSB_8EqualityEiEE10hipError_tPvRmT2_T3_T4_T5_mT6_T7_P12ihipStream_tbENKUlT_T0_E_clISt17integral_constantIbLb1EESX_EEDaSS_ST_EUlSS_E_NS1_11comp_targetILNS1_3genE10ELNS1_11target_archE1201ELNS1_3gpuE5ELNS1_3repE0EEENS1_30default_config_static_selectorELNS0_4arch9wavefront6targetE0EEEvT1_.num_vgpr, 0
	.set _ZN7rocprim17ROCPRIM_400000_NS6detail17trampoline_kernelINS0_14default_configENS1_27scan_by_key_config_selectorIiiEEZZNS1_16scan_by_key_implILNS1_25lookback_scan_determinismE0ELb0ES3_PKiN6hipcub16HIPCUB_304000_NS21ConstantInputIteratorIilEEPiiNSB_3SumENSB_8EqualityEiEE10hipError_tPvRmT2_T3_T4_T5_mT6_T7_P12ihipStream_tbENKUlT_T0_E_clISt17integral_constantIbLb1EESX_EEDaSS_ST_EUlSS_E_NS1_11comp_targetILNS1_3genE10ELNS1_11target_archE1201ELNS1_3gpuE5ELNS1_3repE0EEENS1_30default_config_static_selectorELNS0_4arch9wavefront6targetE0EEEvT1_.num_agpr, 0
	.set _ZN7rocprim17ROCPRIM_400000_NS6detail17trampoline_kernelINS0_14default_configENS1_27scan_by_key_config_selectorIiiEEZZNS1_16scan_by_key_implILNS1_25lookback_scan_determinismE0ELb0ES3_PKiN6hipcub16HIPCUB_304000_NS21ConstantInputIteratorIilEEPiiNSB_3SumENSB_8EqualityEiEE10hipError_tPvRmT2_T3_T4_T5_mT6_T7_P12ihipStream_tbENKUlT_T0_E_clISt17integral_constantIbLb1EESX_EEDaSS_ST_EUlSS_E_NS1_11comp_targetILNS1_3genE10ELNS1_11target_archE1201ELNS1_3gpuE5ELNS1_3repE0EEENS1_30default_config_static_selectorELNS0_4arch9wavefront6targetE0EEEvT1_.numbered_sgpr, 0
	.set _ZN7rocprim17ROCPRIM_400000_NS6detail17trampoline_kernelINS0_14default_configENS1_27scan_by_key_config_selectorIiiEEZZNS1_16scan_by_key_implILNS1_25lookback_scan_determinismE0ELb0ES3_PKiN6hipcub16HIPCUB_304000_NS21ConstantInputIteratorIilEEPiiNSB_3SumENSB_8EqualityEiEE10hipError_tPvRmT2_T3_T4_T5_mT6_T7_P12ihipStream_tbENKUlT_T0_E_clISt17integral_constantIbLb1EESX_EEDaSS_ST_EUlSS_E_NS1_11comp_targetILNS1_3genE10ELNS1_11target_archE1201ELNS1_3gpuE5ELNS1_3repE0EEENS1_30default_config_static_selectorELNS0_4arch9wavefront6targetE0EEEvT1_.num_named_barrier, 0
	.set _ZN7rocprim17ROCPRIM_400000_NS6detail17trampoline_kernelINS0_14default_configENS1_27scan_by_key_config_selectorIiiEEZZNS1_16scan_by_key_implILNS1_25lookback_scan_determinismE0ELb0ES3_PKiN6hipcub16HIPCUB_304000_NS21ConstantInputIteratorIilEEPiiNSB_3SumENSB_8EqualityEiEE10hipError_tPvRmT2_T3_T4_T5_mT6_T7_P12ihipStream_tbENKUlT_T0_E_clISt17integral_constantIbLb1EESX_EEDaSS_ST_EUlSS_E_NS1_11comp_targetILNS1_3genE10ELNS1_11target_archE1201ELNS1_3gpuE5ELNS1_3repE0EEENS1_30default_config_static_selectorELNS0_4arch9wavefront6targetE0EEEvT1_.private_seg_size, 0
	.set _ZN7rocprim17ROCPRIM_400000_NS6detail17trampoline_kernelINS0_14default_configENS1_27scan_by_key_config_selectorIiiEEZZNS1_16scan_by_key_implILNS1_25lookback_scan_determinismE0ELb0ES3_PKiN6hipcub16HIPCUB_304000_NS21ConstantInputIteratorIilEEPiiNSB_3SumENSB_8EqualityEiEE10hipError_tPvRmT2_T3_T4_T5_mT6_T7_P12ihipStream_tbENKUlT_T0_E_clISt17integral_constantIbLb1EESX_EEDaSS_ST_EUlSS_E_NS1_11comp_targetILNS1_3genE10ELNS1_11target_archE1201ELNS1_3gpuE5ELNS1_3repE0EEENS1_30default_config_static_selectorELNS0_4arch9wavefront6targetE0EEEvT1_.uses_vcc, 0
	.set _ZN7rocprim17ROCPRIM_400000_NS6detail17trampoline_kernelINS0_14default_configENS1_27scan_by_key_config_selectorIiiEEZZNS1_16scan_by_key_implILNS1_25lookback_scan_determinismE0ELb0ES3_PKiN6hipcub16HIPCUB_304000_NS21ConstantInputIteratorIilEEPiiNSB_3SumENSB_8EqualityEiEE10hipError_tPvRmT2_T3_T4_T5_mT6_T7_P12ihipStream_tbENKUlT_T0_E_clISt17integral_constantIbLb1EESX_EEDaSS_ST_EUlSS_E_NS1_11comp_targetILNS1_3genE10ELNS1_11target_archE1201ELNS1_3gpuE5ELNS1_3repE0EEENS1_30default_config_static_selectorELNS0_4arch9wavefront6targetE0EEEvT1_.uses_flat_scratch, 0
	.set _ZN7rocprim17ROCPRIM_400000_NS6detail17trampoline_kernelINS0_14default_configENS1_27scan_by_key_config_selectorIiiEEZZNS1_16scan_by_key_implILNS1_25lookback_scan_determinismE0ELb0ES3_PKiN6hipcub16HIPCUB_304000_NS21ConstantInputIteratorIilEEPiiNSB_3SumENSB_8EqualityEiEE10hipError_tPvRmT2_T3_T4_T5_mT6_T7_P12ihipStream_tbENKUlT_T0_E_clISt17integral_constantIbLb1EESX_EEDaSS_ST_EUlSS_E_NS1_11comp_targetILNS1_3genE10ELNS1_11target_archE1201ELNS1_3gpuE5ELNS1_3repE0EEENS1_30default_config_static_selectorELNS0_4arch9wavefront6targetE0EEEvT1_.has_dyn_sized_stack, 0
	.set _ZN7rocprim17ROCPRIM_400000_NS6detail17trampoline_kernelINS0_14default_configENS1_27scan_by_key_config_selectorIiiEEZZNS1_16scan_by_key_implILNS1_25lookback_scan_determinismE0ELb0ES3_PKiN6hipcub16HIPCUB_304000_NS21ConstantInputIteratorIilEEPiiNSB_3SumENSB_8EqualityEiEE10hipError_tPvRmT2_T3_T4_T5_mT6_T7_P12ihipStream_tbENKUlT_T0_E_clISt17integral_constantIbLb1EESX_EEDaSS_ST_EUlSS_E_NS1_11comp_targetILNS1_3genE10ELNS1_11target_archE1201ELNS1_3gpuE5ELNS1_3repE0EEENS1_30default_config_static_selectorELNS0_4arch9wavefront6targetE0EEEvT1_.has_recursion, 0
	.set _ZN7rocprim17ROCPRIM_400000_NS6detail17trampoline_kernelINS0_14default_configENS1_27scan_by_key_config_selectorIiiEEZZNS1_16scan_by_key_implILNS1_25lookback_scan_determinismE0ELb0ES3_PKiN6hipcub16HIPCUB_304000_NS21ConstantInputIteratorIilEEPiiNSB_3SumENSB_8EqualityEiEE10hipError_tPvRmT2_T3_T4_T5_mT6_T7_P12ihipStream_tbENKUlT_T0_E_clISt17integral_constantIbLb1EESX_EEDaSS_ST_EUlSS_E_NS1_11comp_targetILNS1_3genE10ELNS1_11target_archE1201ELNS1_3gpuE5ELNS1_3repE0EEENS1_30default_config_static_selectorELNS0_4arch9wavefront6targetE0EEEvT1_.has_indirect_call, 0
	.section	.AMDGPU.csdata,"",@progbits
; Kernel info:
; codeLenInByte = 0
; TotalNumSgprs: 0
; NumVgprs: 0
; ScratchSize: 0
; MemoryBound: 0
; FloatMode: 240
; IeeeMode: 1
; LDSByteSize: 0 bytes/workgroup (compile time only)
; SGPRBlocks: 0
; VGPRBlocks: 0
; NumSGPRsForWavesPerEU: 1
; NumVGPRsForWavesPerEU: 1
; NamedBarCnt: 0
; Occupancy: 16
; WaveLimiterHint : 0
; COMPUTE_PGM_RSRC2:SCRATCH_EN: 0
; COMPUTE_PGM_RSRC2:USER_SGPR: 2
; COMPUTE_PGM_RSRC2:TRAP_HANDLER: 0
; COMPUTE_PGM_RSRC2:TGID_X_EN: 1
; COMPUTE_PGM_RSRC2:TGID_Y_EN: 0
; COMPUTE_PGM_RSRC2:TGID_Z_EN: 0
; COMPUTE_PGM_RSRC2:TIDIG_COMP_CNT: 0
	.section	.text._ZN7rocprim17ROCPRIM_400000_NS6detail17trampoline_kernelINS0_14default_configENS1_27scan_by_key_config_selectorIiiEEZZNS1_16scan_by_key_implILNS1_25lookback_scan_determinismE0ELb0ES3_PKiN6hipcub16HIPCUB_304000_NS21ConstantInputIteratorIilEEPiiNSB_3SumENSB_8EqualityEiEE10hipError_tPvRmT2_T3_T4_T5_mT6_T7_P12ihipStream_tbENKUlT_T0_E_clISt17integral_constantIbLb1EESX_EEDaSS_ST_EUlSS_E_NS1_11comp_targetILNS1_3genE5ELNS1_11target_archE942ELNS1_3gpuE9ELNS1_3repE0EEENS1_30default_config_static_selectorELNS0_4arch9wavefront6targetE0EEEvT1_,"axG",@progbits,_ZN7rocprim17ROCPRIM_400000_NS6detail17trampoline_kernelINS0_14default_configENS1_27scan_by_key_config_selectorIiiEEZZNS1_16scan_by_key_implILNS1_25lookback_scan_determinismE0ELb0ES3_PKiN6hipcub16HIPCUB_304000_NS21ConstantInputIteratorIilEEPiiNSB_3SumENSB_8EqualityEiEE10hipError_tPvRmT2_T3_T4_T5_mT6_T7_P12ihipStream_tbENKUlT_T0_E_clISt17integral_constantIbLb1EESX_EEDaSS_ST_EUlSS_E_NS1_11comp_targetILNS1_3genE5ELNS1_11target_archE942ELNS1_3gpuE9ELNS1_3repE0EEENS1_30default_config_static_selectorELNS0_4arch9wavefront6targetE0EEEvT1_,comdat
	.protected	_ZN7rocprim17ROCPRIM_400000_NS6detail17trampoline_kernelINS0_14default_configENS1_27scan_by_key_config_selectorIiiEEZZNS1_16scan_by_key_implILNS1_25lookback_scan_determinismE0ELb0ES3_PKiN6hipcub16HIPCUB_304000_NS21ConstantInputIteratorIilEEPiiNSB_3SumENSB_8EqualityEiEE10hipError_tPvRmT2_T3_T4_T5_mT6_T7_P12ihipStream_tbENKUlT_T0_E_clISt17integral_constantIbLb1EESX_EEDaSS_ST_EUlSS_E_NS1_11comp_targetILNS1_3genE5ELNS1_11target_archE942ELNS1_3gpuE9ELNS1_3repE0EEENS1_30default_config_static_selectorELNS0_4arch9wavefront6targetE0EEEvT1_ ; -- Begin function _ZN7rocprim17ROCPRIM_400000_NS6detail17trampoline_kernelINS0_14default_configENS1_27scan_by_key_config_selectorIiiEEZZNS1_16scan_by_key_implILNS1_25lookback_scan_determinismE0ELb0ES3_PKiN6hipcub16HIPCUB_304000_NS21ConstantInputIteratorIilEEPiiNSB_3SumENSB_8EqualityEiEE10hipError_tPvRmT2_T3_T4_T5_mT6_T7_P12ihipStream_tbENKUlT_T0_E_clISt17integral_constantIbLb1EESX_EEDaSS_ST_EUlSS_E_NS1_11comp_targetILNS1_3genE5ELNS1_11target_archE942ELNS1_3gpuE9ELNS1_3repE0EEENS1_30default_config_static_selectorELNS0_4arch9wavefront6targetE0EEEvT1_
	.globl	_ZN7rocprim17ROCPRIM_400000_NS6detail17trampoline_kernelINS0_14default_configENS1_27scan_by_key_config_selectorIiiEEZZNS1_16scan_by_key_implILNS1_25lookback_scan_determinismE0ELb0ES3_PKiN6hipcub16HIPCUB_304000_NS21ConstantInputIteratorIilEEPiiNSB_3SumENSB_8EqualityEiEE10hipError_tPvRmT2_T3_T4_T5_mT6_T7_P12ihipStream_tbENKUlT_T0_E_clISt17integral_constantIbLb1EESX_EEDaSS_ST_EUlSS_E_NS1_11comp_targetILNS1_3genE5ELNS1_11target_archE942ELNS1_3gpuE9ELNS1_3repE0EEENS1_30default_config_static_selectorELNS0_4arch9wavefront6targetE0EEEvT1_
	.p2align	8
	.type	_ZN7rocprim17ROCPRIM_400000_NS6detail17trampoline_kernelINS0_14default_configENS1_27scan_by_key_config_selectorIiiEEZZNS1_16scan_by_key_implILNS1_25lookback_scan_determinismE0ELb0ES3_PKiN6hipcub16HIPCUB_304000_NS21ConstantInputIteratorIilEEPiiNSB_3SumENSB_8EqualityEiEE10hipError_tPvRmT2_T3_T4_T5_mT6_T7_P12ihipStream_tbENKUlT_T0_E_clISt17integral_constantIbLb1EESX_EEDaSS_ST_EUlSS_E_NS1_11comp_targetILNS1_3genE5ELNS1_11target_archE942ELNS1_3gpuE9ELNS1_3repE0EEENS1_30default_config_static_selectorELNS0_4arch9wavefront6targetE0EEEvT1_,@function
_ZN7rocprim17ROCPRIM_400000_NS6detail17trampoline_kernelINS0_14default_configENS1_27scan_by_key_config_selectorIiiEEZZNS1_16scan_by_key_implILNS1_25lookback_scan_determinismE0ELb0ES3_PKiN6hipcub16HIPCUB_304000_NS21ConstantInputIteratorIilEEPiiNSB_3SumENSB_8EqualityEiEE10hipError_tPvRmT2_T3_T4_T5_mT6_T7_P12ihipStream_tbENKUlT_T0_E_clISt17integral_constantIbLb1EESX_EEDaSS_ST_EUlSS_E_NS1_11comp_targetILNS1_3genE5ELNS1_11target_archE942ELNS1_3gpuE9ELNS1_3repE0EEENS1_30default_config_static_selectorELNS0_4arch9wavefront6targetE0EEEvT1_: ; @_ZN7rocprim17ROCPRIM_400000_NS6detail17trampoline_kernelINS0_14default_configENS1_27scan_by_key_config_selectorIiiEEZZNS1_16scan_by_key_implILNS1_25lookback_scan_determinismE0ELb0ES3_PKiN6hipcub16HIPCUB_304000_NS21ConstantInputIteratorIilEEPiiNSB_3SumENSB_8EqualityEiEE10hipError_tPvRmT2_T3_T4_T5_mT6_T7_P12ihipStream_tbENKUlT_T0_E_clISt17integral_constantIbLb1EESX_EEDaSS_ST_EUlSS_E_NS1_11comp_targetILNS1_3genE5ELNS1_11target_archE942ELNS1_3gpuE9ELNS1_3repE0EEENS1_30default_config_static_selectorELNS0_4arch9wavefront6targetE0EEEvT1_
; %bb.0:
	.section	.rodata,"a",@progbits
	.p2align	6, 0x0
	.amdhsa_kernel _ZN7rocprim17ROCPRIM_400000_NS6detail17trampoline_kernelINS0_14default_configENS1_27scan_by_key_config_selectorIiiEEZZNS1_16scan_by_key_implILNS1_25lookback_scan_determinismE0ELb0ES3_PKiN6hipcub16HIPCUB_304000_NS21ConstantInputIteratorIilEEPiiNSB_3SumENSB_8EqualityEiEE10hipError_tPvRmT2_T3_T4_T5_mT6_T7_P12ihipStream_tbENKUlT_T0_E_clISt17integral_constantIbLb1EESX_EEDaSS_ST_EUlSS_E_NS1_11comp_targetILNS1_3genE5ELNS1_11target_archE942ELNS1_3gpuE9ELNS1_3repE0EEENS1_30default_config_static_selectorELNS0_4arch9wavefront6targetE0EEEvT1_
		.amdhsa_group_segment_fixed_size 0
		.amdhsa_private_segment_fixed_size 0
		.amdhsa_kernarg_size 120
		.amdhsa_user_sgpr_count 2
		.amdhsa_user_sgpr_dispatch_ptr 0
		.amdhsa_user_sgpr_queue_ptr 0
		.amdhsa_user_sgpr_kernarg_segment_ptr 1
		.amdhsa_user_sgpr_dispatch_id 0
		.amdhsa_user_sgpr_kernarg_preload_length 0
		.amdhsa_user_sgpr_kernarg_preload_offset 0
		.amdhsa_user_sgpr_private_segment_size 0
		.amdhsa_wavefront_size32 1
		.amdhsa_uses_dynamic_stack 0
		.amdhsa_enable_private_segment 0
		.amdhsa_system_sgpr_workgroup_id_x 1
		.amdhsa_system_sgpr_workgroup_id_y 0
		.amdhsa_system_sgpr_workgroup_id_z 0
		.amdhsa_system_sgpr_workgroup_info 0
		.amdhsa_system_vgpr_workitem_id 0
		.amdhsa_next_free_vgpr 1
		.amdhsa_next_free_sgpr 1
		.amdhsa_named_barrier_count 0
		.amdhsa_reserve_vcc 0
		.amdhsa_float_round_mode_32 0
		.amdhsa_float_round_mode_16_64 0
		.amdhsa_float_denorm_mode_32 3
		.amdhsa_float_denorm_mode_16_64 3
		.amdhsa_fp16_overflow 0
		.amdhsa_memory_ordered 1
		.amdhsa_forward_progress 1
		.amdhsa_inst_pref_size 0
		.amdhsa_round_robin_scheduling 0
		.amdhsa_exception_fp_ieee_invalid_op 0
		.amdhsa_exception_fp_denorm_src 0
		.amdhsa_exception_fp_ieee_div_zero 0
		.amdhsa_exception_fp_ieee_overflow 0
		.amdhsa_exception_fp_ieee_underflow 0
		.amdhsa_exception_fp_ieee_inexact 0
		.amdhsa_exception_int_div_zero 0
	.end_amdhsa_kernel
	.section	.text._ZN7rocprim17ROCPRIM_400000_NS6detail17trampoline_kernelINS0_14default_configENS1_27scan_by_key_config_selectorIiiEEZZNS1_16scan_by_key_implILNS1_25lookback_scan_determinismE0ELb0ES3_PKiN6hipcub16HIPCUB_304000_NS21ConstantInputIteratorIilEEPiiNSB_3SumENSB_8EqualityEiEE10hipError_tPvRmT2_T3_T4_T5_mT6_T7_P12ihipStream_tbENKUlT_T0_E_clISt17integral_constantIbLb1EESX_EEDaSS_ST_EUlSS_E_NS1_11comp_targetILNS1_3genE5ELNS1_11target_archE942ELNS1_3gpuE9ELNS1_3repE0EEENS1_30default_config_static_selectorELNS0_4arch9wavefront6targetE0EEEvT1_,"axG",@progbits,_ZN7rocprim17ROCPRIM_400000_NS6detail17trampoline_kernelINS0_14default_configENS1_27scan_by_key_config_selectorIiiEEZZNS1_16scan_by_key_implILNS1_25lookback_scan_determinismE0ELb0ES3_PKiN6hipcub16HIPCUB_304000_NS21ConstantInputIteratorIilEEPiiNSB_3SumENSB_8EqualityEiEE10hipError_tPvRmT2_T3_T4_T5_mT6_T7_P12ihipStream_tbENKUlT_T0_E_clISt17integral_constantIbLb1EESX_EEDaSS_ST_EUlSS_E_NS1_11comp_targetILNS1_3genE5ELNS1_11target_archE942ELNS1_3gpuE9ELNS1_3repE0EEENS1_30default_config_static_selectorELNS0_4arch9wavefront6targetE0EEEvT1_,comdat
.Lfunc_end23:
	.size	_ZN7rocprim17ROCPRIM_400000_NS6detail17trampoline_kernelINS0_14default_configENS1_27scan_by_key_config_selectorIiiEEZZNS1_16scan_by_key_implILNS1_25lookback_scan_determinismE0ELb0ES3_PKiN6hipcub16HIPCUB_304000_NS21ConstantInputIteratorIilEEPiiNSB_3SumENSB_8EqualityEiEE10hipError_tPvRmT2_T3_T4_T5_mT6_T7_P12ihipStream_tbENKUlT_T0_E_clISt17integral_constantIbLb1EESX_EEDaSS_ST_EUlSS_E_NS1_11comp_targetILNS1_3genE5ELNS1_11target_archE942ELNS1_3gpuE9ELNS1_3repE0EEENS1_30default_config_static_selectorELNS0_4arch9wavefront6targetE0EEEvT1_, .Lfunc_end23-_ZN7rocprim17ROCPRIM_400000_NS6detail17trampoline_kernelINS0_14default_configENS1_27scan_by_key_config_selectorIiiEEZZNS1_16scan_by_key_implILNS1_25lookback_scan_determinismE0ELb0ES3_PKiN6hipcub16HIPCUB_304000_NS21ConstantInputIteratorIilEEPiiNSB_3SumENSB_8EqualityEiEE10hipError_tPvRmT2_T3_T4_T5_mT6_T7_P12ihipStream_tbENKUlT_T0_E_clISt17integral_constantIbLb1EESX_EEDaSS_ST_EUlSS_E_NS1_11comp_targetILNS1_3genE5ELNS1_11target_archE942ELNS1_3gpuE9ELNS1_3repE0EEENS1_30default_config_static_selectorELNS0_4arch9wavefront6targetE0EEEvT1_
                                        ; -- End function
	.set _ZN7rocprim17ROCPRIM_400000_NS6detail17trampoline_kernelINS0_14default_configENS1_27scan_by_key_config_selectorIiiEEZZNS1_16scan_by_key_implILNS1_25lookback_scan_determinismE0ELb0ES3_PKiN6hipcub16HIPCUB_304000_NS21ConstantInputIteratorIilEEPiiNSB_3SumENSB_8EqualityEiEE10hipError_tPvRmT2_T3_T4_T5_mT6_T7_P12ihipStream_tbENKUlT_T0_E_clISt17integral_constantIbLb1EESX_EEDaSS_ST_EUlSS_E_NS1_11comp_targetILNS1_3genE5ELNS1_11target_archE942ELNS1_3gpuE9ELNS1_3repE0EEENS1_30default_config_static_selectorELNS0_4arch9wavefront6targetE0EEEvT1_.num_vgpr, 0
	.set _ZN7rocprim17ROCPRIM_400000_NS6detail17trampoline_kernelINS0_14default_configENS1_27scan_by_key_config_selectorIiiEEZZNS1_16scan_by_key_implILNS1_25lookback_scan_determinismE0ELb0ES3_PKiN6hipcub16HIPCUB_304000_NS21ConstantInputIteratorIilEEPiiNSB_3SumENSB_8EqualityEiEE10hipError_tPvRmT2_T3_T4_T5_mT6_T7_P12ihipStream_tbENKUlT_T0_E_clISt17integral_constantIbLb1EESX_EEDaSS_ST_EUlSS_E_NS1_11comp_targetILNS1_3genE5ELNS1_11target_archE942ELNS1_3gpuE9ELNS1_3repE0EEENS1_30default_config_static_selectorELNS0_4arch9wavefront6targetE0EEEvT1_.num_agpr, 0
	.set _ZN7rocprim17ROCPRIM_400000_NS6detail17trampoline_kernelINS0_14default_configENS1_27scan_by_key_config_selectorIiiEEZZNS1_16scan_by_key_implILNS1_25lookback_scan_determinismE0ELb0ES3_PKiN6hipcub16HIPCUB_304000_NS21ConstantInputIteratorIilEEPiiNSB_3SumENSB_8EqualityEiEE10hipError_tPvRmT2_T3_T4_T5_mT6_T7_P12ihipStream_tbENKUlT_T0_E_clISt17integral_constantIbLb1EESX_EEDaSS_ST_EUlSS_E_NS1_11comp_targetILNS1_3genE5ELNS1_11target_archE942ELNS1_3gpuE9ELNS1_3repE0EEENS1_30default_config_static_selectorELNS0_4arch9wavefront6targetE0EEEvT1_.numbered_sgpr, 0
	.set _ZN7rocprim17ROCPRIM_400000_NS6detail17trampoline_kernelINS0_14default_configENS1_27scan_by_key_config_selectorIiiEEZZNS1_16scan_by_key_implILNS1_25lookback_scan_determinismE0ELb0ES3_PKiN6hipcub16HIPCUB_304000_NS21ConstantInputIteratorIilEEPiiNSB_3SumENSB_8EqualityEiEE10hipError_tPvRmT2_T3_T4_T5_mT6_T7_P12ihipStream_tbENKUlT_T0_E_clISt17integral_constantIbLb1EESX_EEDaSS_ST_EUlSS_E_NS1_11comp_targetILNS1_3genE5ELNS1_11target_archE942ELNS1_3gpuE9ELNS1_3repE0EEENS1_30default_config_static_selectorELNS0_4arch9wavefront6targetE0EEEvT1_.num_named_barrier, 0
	.set _ZN7rocprim17ROCPRIM_400000_NS6detail17trampoline_kernelINS0_14default_configENS1_27scan_by_key_config_selectorIiiEEZZNS1_16scan_by_key_implILNS1_25lookback_scan_determinismE0ELb0ES3_PKiN6hipcub16HIPCUB_304000_NS21ConstantInputIteratorIilEEPiiNSB_3SumENSB_8EqualityEiEE10hipError_tPvRmT2_T3_T4_T5_mT6_T7_P12ihipStream_tbENKUlT_T0_E_clISt17integral_constantIbLb1EESX_EEDaSS_ST_EUlSS_E_NS1_11comp_targetILNS1_3genE5ELNS1_11target_archE942ELNS1_3gpuE9ELNS1_3repE0EEENS1_30default_config_static_selectorELNS0_4arch9wavefront6targetE0EEEvT1_.private_seg_size, 0
	.set _ZN7rocprim17ROCPRIM_400000_NS6detail17trampoline_kernelINS0_14default_configENS1_27scan_by_key_config_selectorIiiEEZZNS1_16scan_by_key_implILNS1_25lookback_scan_determinismE0ELb0ES3_PKiN6hipcub16HIPCUB_304000_NS21ConstantInputIteratorIilEEPiiNSB_3SumENSB_8EqualityEiEE10hipError_tPvRmT2_T3_T4_T5_mT6_T7_P12ihipStream_tbENKUlT_T0_E_clISt17integral_constantIbLb1EESX_EEDaSS_ST_EUlSS_E_NS1_11comp_targetILNS1_3genE5ELNS1_11target_archE942ELNS1_3gpuE9ELNS1_3repE0EEENS1_30default_config_static_selectorELNS0_4arch9wavefront6targetE0EEEvT1_.uses_vcc, 0
	.set _ZN7rocprim17ROCPRIM_400000_NS6detail17trampoline_kernelINS0_14default_configENS1_27scan_by_key_config_selectorIiiEEZZNS1_16scan_by_key_implILNS1_25lookback_scan_determinismE0ELb0ES3_PKiN6hipcub16HIPCUB_304000_NS21ConstantInputIteratorIilEEPiiNSB_3SumENSB_8EqualityEiEE10hipError_tPvRmT2_T3_T4_T5_mT6_T7_P12ihipStream_tbENKUlT_T0_E_clISt17integral_constantIbLb1EESX_EEDaSS_ST_EUlSS_E_NS1_11comp_targetILNS1_3genE5ELNS1_11target_archE942ELNS1_3gpuE9ELNS1_3repE0EEENS1_30default_config_static_selectorELNS0_4arch9wavefront6targetE0EEEvT1_.uses_flat_scratch, 0
	.set _ZN7rocprim17ROCPRIM_400000_NS6detail17trampoline_kernelINS0_14default_configENS1_27scan_by_key_config_selectorIiiEEZZNS1_16scan_by_key_implILNS1_25lookback_scan_determinismE0ELb0ES3_PKiN6hipcub16HIPCUB_304000_NS21ConstantInputIteratorIilEEPiiNSB_3SumENSB_8EqualityEiEE10hipError_tPvRmT2_T3_T4_T5_mT6_T7_P12ihipStream_tbENKUlT_T0_E_clISt17integral_constantIbLb1EESX_EEDaSS_ST_EUlSS_E_NS1_11comp_targetILNS1_3genE5ELNS1_11target_archE942ELNS1_3gpuE9ELNS1_3repE0EEENS1_30default_config_static_selectorELNS0_4arch9wavefront6targetE0EEEvT1_.has_dyn_sized_stack, 0
	.set _ZN7rocprim17ROCPRIM_400000_NS6detail17trampoline_kernelINS0_14default_configENS1_27scan_by_key_config_selectorIiiEEZZNS1_16scan_by_key_implILNS1_25lookback_scan_determinismE0ELb0ES3_PKiN6hipcub16HIPCUB_304000_NS21ConstantInputIteratorIilEEPiiNSB_3SumENSB_8EqualityEiEE10hipError_tPvRmT2_T3_T4_T5_mT6_T7_P12ihipStream_tbENKUlT_T0_E_clISt17integral_constantIbLb1EESX_EEDaSS_ST_EUlSS_E_NS1_11comp_targetILNS1_3genE5ELNS1_11target_archE942ELNS1_3gpuE9ELNS1_3repE0EEENS1_30default_config_static_selectorELNS0_4arch9wavefront6targetE0EEEvT1_.has_recursion, 0
	.set _ZN7rocprim17ROCPRIM_400000_NS6detail17trampoline_kernelINS0_14default_configENS1_27scan_by_key_config_selectorIiiEEZZNS1_16scan_by_key_implILNS1_25lookback_scan_determinismE0ELb0ES3_PKiN6hipcub16HIPCUB_304000_NS21ConstantInputIteratorIilEEPiiNSB_3SumENSB_8EqualityEiEE10hipError_tPvRmT2_T3_T4_T5_mT6_T7_P12ihipStream_tbENKUlT_T0_E_clISt17integral_constantIbLb1EESX_EEDaSS_ST_EUlSS_E_NS1_11comp_targetILNS1_3genE5ELNS1_11target_archE942ELNS1_3gpuE9ELNS1_3repE0EEENS1_30default_config_static_selectorELNS0_4arch9wavefront6targetE0EEEvT1_.has_indirect_call, 0
	.section	.AMDGPU.csdata,"",@progbits
; Kernel info:
; codeLenInByte = 0
; TotalNumSgprs: 0
; NumVgprs: 0
; ScratchSize: 0
; MemoryBound: 0
; FloatMode: 240
; IeeeMode: 1
; LDSByteSize: 0 bytes/workgroup (compile time only)
; SGPRBlocks: 0
; VGPRBlocks: 0
; NumSGPRsForWavesPerEU: 1
; NumVGPRsForWavesPerEU: 1
; NamedBarCnt: 0
; Occupancy: 16
; WaveLimiterHint : 0
; COMPUTE_PGM_RSRC2:SCRATCH_EN: 0
; COMPUTE_PGM_RSRC2:USER_SGPR: 2
; COMPUTE_PGM_RSRC2:TRAP_HANDLER: 0
; COMPUTE_PGM_RSRC2:TGID_X_EN: 1
; COMPUTE_PGM_RSRC2:TGID_Y_EN: 0
; COMPUTE_PGM_RSRC2:TGID_Z_EN: 0
; COMPUTE_PGM_RSRC2:TIDIG_COMP_CNT: 0
	.section	.text._ZN7rocprim17ROCPRIM_400000_NS6detail17trampoline_kernelINS0_14default_configENS1_27scan_by_key_config_selectorIiiEEZZNS1_16scan_by_key_implILNS1_25lookback_scan_determinismE0ELb0ES3_PKiN6hipcub16HIPCUB_304000_NS21ConstantInputIteratorIilEEPiiNSB_3SumENSB_8EqualityEiEE10hipError_tPvRmT2_T3_T4_T5_mT6_T7_P12ihipStream_tbENKUlT_T0_E_clISt17integral_constantIbLb1EESX_EEDaSS_ST_EUlSS_E_NS1_11comp_targetILNS1_3genE4ELNS1_11target_archE910ELNS1_3gpuE8ELNS1_3repE0EEENS1_30default_config_static_selectorELNS0_4arch9wavefront6targetE0EEEvT1_,"axG",@progbits,_ZN7rocprim17ROCPRIM_400000_NS6detail17trampoline_kernelINS0_14default_configENS1_27scan_by_key_config_selectorIiiEEZZNS1_16scan_by_key_implILNS1_25lookback_scan_determinismE0ELb0ES3_PKiN6hipcub16HIPCUB_304000_NS21ConstantInputIteratorIilEEPiiNSB_3SumENSB_8EqualityEiEE10hipError_tPvRmT2_T3_T4_T5_mT6_T7_P12ihipStream_tbENKUlT_T0_E_clISt17integral_constantIbLb1EESX_EEDaSS_ST_EUlSS_E_NS1_11comp_targetILNS1_3genE4ELNS1_11target_archE910ELNS1_3gpuE8ELNS1_3repE0EEENS1_30default_config_static_selectorELNS0_4arch9wavefront6targetE0EEEvT1_,comdat
	.protected	_ZN7rocprim17ROCPRIM_400000_NS6detail17trampoline_kernelINS0_14default_configENS1_27scan_by_key_config_selectorIiiEEZZNS1_16scan_by_key_implILNS1_25lookback_scan_determinismE0ELb0ES3_PKiN6hipcub16HIPCUB_304000_NS21ConstantInputIteratorIilEEPiiNSB_3SumENSB_8EqualityEiEE10hipError_tPvRmT2_T3_T4_T5_mT6_T7_P12ihipStream_tbENKUlT_T0_E_clISt17integral_constantIbLb1EESX_EEDaSS_ST_EUlSS_E_NS1_11comp_targetILNS1_3genE4ELNS1_11target_archE910ELNS1_3gpuE8ELNS1_3repE0EEENS1_30default_config_static_selectorELNS0_4arch9wavefront6targetE0EEEvT1_ ; -- Begin function _ZN7rocprim17ROCPRIM_400000_NS6detail17trampoline_kernelINS0_14default_configENS1_27scan_by_key_config_selectorIiiEEZZNS1_16scan_by_key_implILNS1_25lookback_scan_determinismE0ELb0ES3_PKiN6hipcub16HIPCUB_304000_NS21ConstantInputIteratorIilEEPiiNSB_3SumENSB_8EqualityEiEE10hipError_tPvRmT2_T3_T4_T5_mT6_T7_P12ihipStream_tbENKUlT_T0_E_clISt17integral_constantIbLb1EESX_EEDaSS_ST_EUlSS_E_NS1_11comp_targetILNS1_3genE4ELNS1_11target_archE910ELNS1_3gpuE8ELNS1_3repE0EEENS1_30default_config_static_selectorELNS0_4arch9wavefront6targetE0EEEvT1_
	.globl	_ZN7rocprim17ROCPRIM_400000_NS6detail17trampoline_kernelINS0_14default_configENS1_27scan_by_key_config_selectorIiiEEZZNS1_16scan_by_key_implILNS1_25lookback_scan_determinismE0ELb0ES3_PKiN6hipcub16HIPCUB_304000_NS21ConstantInputIteratorIilEEPiiNSB_3SumENSB_8EqualityEiEE10hipError_tPvRmT2_T3_T4_T5_mT6_T7_P12ihipStream_tbENKUlT_T0_E_clISt17integral_constantIbLb1EESX_EEDaSS_ST_EUlSS_E_NS1_11comp_targetILNS1_3genE4ELNS1_11target_archE910ELNS1_3gpuE8ELNS1_3repE0EEENS1_30default_config_static_selectorELNS0_4arch9wavefront6targetE0EEEvT1_
	.p2align	8
	.type	_ZN7rocprim17ROCPRIM_400000_NS6detail17trampoline_kernelINS0_14default_configENS1_27scan_by_key_config_selectorIiiEEZZNS1_16scan_by_key_implILNS1_25lookback_scan_determinismE0ELb0ES3_PKiN6hipcub16HIPCUB_304000_NS21ConstantInputIteratorIilEEPiiNSB_3SumENSB_8EqualityEiEE10hipError_tPvRmT2_T3_T4_T5_mT6_T7_P12ihipStream_tbENKUlT_T0_E_clISt17integral_constantIbLb1EESX_EEDaSS_ST_EUlSS_E_NS1_11comp_targetILNS1_3genE4ELNS1_11target_archE910ELNS1_3gpuE8ELNS1_3repE0EEENS1_30default_config_static_selectorELNS0_4arch9wavefront6targetE0EEEvT1_,@function
_ZN7rocprim17ROCPRIM_400000_NS6detail17trampoline_kernelINS0_14default_configENS1_27scan_by_key_config_selectorIiiEEZZNS1_16scan_by_key_implILNS1_25lookback_scan_determinismE0ELb0ES3_PKiN6hipcub16HIPCUB_304000_NS21ConstantInputIteratorIilEEPiiNSB_3SumENSB_8EqualityEiEE10hipError_tPvRmT2_T3_T4_T5_mT6_T7_P12ihipStream_tbENKUlT_T0_E_clISt17integral_constantIbLb1EESX_EEDaSS_ST_EUlSS_E_NS1_11comp_targetILNS1_3genE4ELNS1_11target_archE910ELNS1_3gpuE8ELNS1_3repE0EEENS1_30default_config_static_selectorELNS0_4arch9wavefront6targetE0EEEvT1_: ; @_ZN7rocprim17ROCPRIM_400000_NS6detail17trampoline_kernelINS0_14default_configENS1_27scan_by_key_config_selectorIiiEEZZNS1_16scan_by_key_implILNS1_25lookback_scan_determinismE0ELb0ES3_PKiN6hipcub16HIPCUB_304000_NS21ConstantInputIteratorIilEEPiiNSB_3SumENSB_8EqualityEiEE10hipError_tPvRmT2_T3_T4_T5_mT6_T7_P12ihipStream_tbENKUlT_T0_E_clISt17integral_constantIbLb1EESX_EEDaSS_ST_EUlSS_E_NS1_11comp_targetILNS1_3genE4ELNS1_11target_archE910ELNS1_3gpuE8ELNS1_3repE0EEENS1_30default_config_static_selectorELNS0_4arch9wavefront6targetE0EEEvT1_
; %bb.0:
	.section	.rodata,"a",@progbits
	.p2align	6, 0x0
	.amdhsa_kernel _ZN7rocprim17ROCPRIM_400000_NS6detail17trampoline_kernelINS0_14default_configENS1_27scan_by_key_config_selectorIiiEEZZNS1_16scan_by_key_implILNS1_25lookback_scan_determinismE0ELb0ES3_PKiN6hipcub16HIPCUB_304000_NS21ConstantInputIteratorIilEEPiiNSB_3SumENSB_8EqualityEiEE10hipError_tPvRmT2_T3_T4_T5_mT6_T7_P12ihipStream_tbENKUlT_T0_E_clISt17integral_constantIbLb1EESX_EEDaSS_ST_EUlSS_E_NS1_11comp_targetILNS1_3genE4ELNS1_11target_archE910ELNS1_3gpuE8ELNS1_3repE0EEENS1_30default_config_static_selectorELNS0_4arch9wavefront6targetE0EEEvT1_
		.amdhsa_group_segment_fixed_size 0
		.amdhsa_private_segment_fixed_size 0
		.amdhsa_kernarg_size 120
		.amdhsa_user_sgpr_count 2
		.amdhsa_user_sgpr_dispatch_ptr 0
		.amdhsa_user_sgpr_queue_ptr 0
		.amdhsa_user_sgpr_kernarg_segment_ptr 1
		.amdhsa_user_sgpr_dispatch_id 0
		.amdhsa_user_sgpr_kernarg_preload_length 0
		.amdhsa_user_sgpr_kernarg_preload_offset 0
		.amdhsa_user_sgpr_private_segment_size 0
		.amdhsa_wavefront_size32 1
		.amdhsa_uses_dynamic_stack 0
		.amdhsa_enable_private_segment 0
		.amdhsa_system_sgpr_workgroup_id_x 1
		.amdhsa_system_sgpr_workgroup_id_y 0
		.amdhsa_system_sgpr_workgroup_id_z 0
		.amdhsa_system_sgpr_workgroup_info 0
		.amdhsa_system_vgpr_workitem_id 0
		.amdhsa_next_free_vgpr 1
		.amdhsa_next_free_sgpr 1
		.amdhsa_named_barrier_count 0
		.amdhsa_reserve_vcc 0
		.amdhsa_float_round_mode_32 0
		.amdhsa_float_round_mode_16_64 0
		.amdhsa_float_denorm_mode_32 3
		.amdhsa_float_denorm_mode_16_64 3
		.amdhsa_fp16_overflow 0
		.amdhsa_memory_ordered 1
		.amdhsa_forward_progress 1
		.amdhsa_inst_pref_size 0
		.amdhsa_round_robin_scheduling 0
		.amdhsa_exception_fp_ieee_invalid_op 0
		.amdhsa_exception_fp_denorm_src 0
		.amdhsa_exception_fp_ieee_div_zero 0
		.amdhsa_exception_fp_ieee_overflow 0
		.amdhsa_exception_fp_ieee_underflow 0
		.amdhsa_exception_fp_ieee_inexact 0
		.amdhsa_exception_int_div_zero 0
	.end_amdhsa_kernel
	.section	.text._ZN7rocprim17ROCPRIM_400000_NS6detail17trampoline_kernelINS0_14default_configENS1_27scan_by_key_config_selectorIiiEEZZNS1_16scan_by_key_implILNS1_25lookback_scan_determinismE0ELb0ES3_PKiN6hipcub16HIPCUB_304000_NS21ConstantInputIteratorIilEEPiiNSB_3SumENSB_8EqualityEiEE10hipError_tPvRmT2_T3_T4_T5_mT6_T7_P12ihipStream_tbENKUlT_T0_E_clISt17integral_constantIbLb1EESX_EEDaSS_ST_EUlSS_E_NS1_11comp_targetILNS1_3genE4ELNS1_11target_archE910ELNS1_3gpuE8ELNS1_3repE0EEENS1_30default_config_static_selectorELNS0_4arch9wavefront6targetE0EEEvT1_,"axG",@progbits,_ZN7rocprim17ROCPRIM_400000_NS6detail17trampoline_kernelINS0_14default_configENS1_27scan_by_key_config_selectorIiiEEZZNS1_16scan_by_key_implILNS1_25lookback_scan_determinismE0ELb0ES3_PKiN6hipcub16HIPCUB_304000_NS21ConstantInputIteratorIilEEPiiNSB_3SumENSB_8EqualityEiEE10hipError_tPvRmT2_T3_T4_T5_mT6_T7_P12ihipStream_tbENKUlT_T0_E_clISt17integral_constantIbLb1EESX_EEDaSS_ST_EUlSS_E_NS1_11comp_targetILNS1_3genE4ELNS1_11target_archE910ELNS1_3gpuE8ELNS1_3repE0EEENS1_30default_config_static_selectorELNS0_4arch9wavefront6targetE0EEEvT1_,comdat
.Lfunc_end24:
	.size	_ZN7rocprim17ROCPRIM_400000_NS6detail17trampoline_kernelINS0_14default_configENS1_27scan_by_key_config_selectorIiiEEZZNS1_16scan_by_key_implILNS1_25lookback_scan_determinismE0ELb0ES3_PKiN6hipcub16HIPCUB_304000_NS21ConstantInputIteratorIilEEPiiNSB_3SumENSB_8EqualityEiEE10hipError_tPvRmT2_T3_T4_T5_mT6_T7_P12ihipStream_tbENKUlT_T0_E_clISt17integral_constantIbLb1EESX_EEDaSS_ST_EUlSS_E_NS1_11comp_targetILNS1_3genE4ELNS1_11target_archE910ELNS1_3gpuE8ELNS1_3repE0EEENS1_30default_config_static_selectorELNS0_4arch9wavefront6targetE0EEEvT1_, .Lfunc_end24-_ZN7rocprim17ROCPRIM_400000_NS6detail17trampoline_kernelINS0_14default_configENS1_27scan_by_key_config_selectorIiiEEZZNS1_16scan_by_key_implILNS1_25lookback_scan_determinismE0ELb0ES3_PKiN6hipcub16HIPCUB_304000_NS21ConstantInputIteratorIilEEPiiNSB_3SumENSB_8EqualityEiEE10hipError_tPvRmT2_T3_T4_T5_mT6_T7_P12ihipStream_tbENKUlT_T0_E_clISt17integral_constantIbLb1EESX_EEDaSS_ST_EUlSS_E_NS1_11comp_targetILNS1_3genE4ELNS1_11target_archE910ELNS1_3gpuE8ELNS1_3repE0EEENS1_30default_config_static_selectorELNS0_4arch9wavefront6targetE0EEEvT1_
                                        ; -- End function
	.set _ZN7rocprim17ROCPRIM_400000_NS6detail17trampoline_kernelINS0_14default_configENS1_27scan_by_key_config_selectorIiiEEZZNS1_16scan_by_key_implILNS1_25lookback_scan_determinismE0ELb0ES3_PKiN6hipcub16HIPCUB_304000_NS21ConstantInputIteratorIilEEPiiNSB_3SumENSB_8EqualityEiEE10hipError_tPvRmT2_T3_T4_T5_mT6_T7_P12ihipStream_tbENKUlT_T0_E_clISt17integral_constantIbLb1EESX_EEDaSS_ST_EUlSS_E_NS1_11comp_targetILNS1_3genE4ELNS1_11target_archE910ELNS1_3gpuE8ELNS1_3repE0EEENS1_30default_config_static_selectorELNS0_4arch9wavefront6targetE0EEEvT1_.num_vgpr, 0
	.set _ZN7rocprim17ROCPRIM_400000_NS6detail17trampoline_kernelINS0_14default_configENS1_27scan_by_key_config_selectorIiiEEZZNS1_16scan_by_key_implILNS1_25lookback_scan_determinismE0ELb0ES3_PKiN6hipcub16HIPCUB_304000_NS21ConstantInputIteratorIilEEPiiNSB_3SumENSB_8EqualityEiEE10hipError_tPvRmT2_T3_T4_T5_mT6_T7_P12ihipStream_tbENKUlT_T0_E_clISt17integral_constantIbLb1EESX_EEDaSS_ST_EUlSS_E_NS1_11comp_targetILNS1_3genE4ELNS1_11target_archE910ELNS1_3gpuE8ELNS1_3repE0EEENS1_30default_config_static_selectorELNS0_4arch9wavefront6targetE0EEEvT1_.num_agpr, 0
	.set _ZN7rocprim17ROCPRIM_400000_NS6detail17trampoline_kernelINS0_14default_configENS1_27scan_by_key_config_selectorIiiEEZZNS1_16scan_by_key_implILNS1_25lookback_scan_determinismE0ELb0ES3_PKiN6hipcub16HIPCUB_304000_NS21ConstantInputIteratorIilEEPiiNSB_3SumENSB_8EqualityEiEE10hipError_tPvRmT2_T3_T4_T5_mT6_T7_P12ihipStream_tbENKUlT_T0_E_clISt17integral_constantIbLb1EESX_EEDaSS_ST_EUlSS_E_NS1_11comp_targetILNS1_3genE4ELNS1_11target_archE910ELNS1_3gpuE8ELNS1_3repE0EEENS1_30default_config_static_selectorELNS0_4arch9wavefront6targetE0EEEvT1_.numbered_sgpr, 0
	.set _ZN7rocprim17ROCPRIM_400000_NS6detail17trampoline_kernelINS0_14default_configENS1_27scan_by_key_config_selectorIiiEEZZNS1_16scan_by_key_implILNS1_25lookback_scan_determinismE0ELb0ES3_PKiN6hipcub16HIPCUB_304000_NS21ConstantInputIteratorIilEEPiiNSB_3SumENSB_8EqualityEiEE10hipError_tPvRmT2_T3_T4_T5_mT6_T7_P12ihipStream_tbENKUlT_T0_E_clISt17integral_constantIbLb1EESX_EEDaSS_ST_EUlSS_E_NS1_11comp_targetILNS1_3genE4ELNS1_11target_archE910ELNS1_3gpuE8ELNS1_3repE0EEENS1_30default_config_static_selectorELNS0_4arch9wavefront6targetE0EEEvT1_.num_named_barrier, 0
	.set _ZN7rocprim17ROCPRIM_400000_NS6detail17trampoline_kernelINS0_14default_configENS1_27scan_by_key_config_selectorIiiEEZZNS1_16scan_by_key_implILNS1_25lookback_scan_determinismE0ELb0ES3_PKiN6hipcub16HIPCUB_304000_NS21ConstantInputIteratorIilEEPiiNSB_3SumENSB_8EqualityEiEE10hipError_tPvRmT2_T3_T4_T5_mT6_T7_P12ihipStream_tbENKUlT_T0_E_clISt17integral_constantIbLb1EESX_EEDaSS_ST_EUlSS_E_NS1_11comp_targetILNS1_3genE4ELNS1_11target_archE910ELNS1_3gpuE8ELNS1_3repE0EEENS1_30default_config_static_selectorELNS0_4arch9wavefront6targetE0EEEvT1_.private_seg_size, 0
	.set _ZN7rocprim17ROCPRIM_400000_NS6detail17trampoline_kernelINS0_14default_configENS1_27scan_by_key_config_selectorIiiEEZZNS1_16scan_by_key_implILNS1_25lookback_scan_determinismE0ELb0ES3_PKiN6hipcub16HIPCUB_304000_NS21ConstantInputIteratorIilEEPiiNSB_3SumENSB_8EqualityEiEE10hipError_tPvRmT2_T3_T4_T5_mT6_T7_P12ihipStream_tbENKUlT_T0_E_clISt17integral_constantIbLb1EESX_EEDaSS_ST_EUlSS_E_NS1_11comp_targetILNS1_3genE4ELNS1_11target_archE910ELNS1_3gpuE8ELNS1_3repE0EEENS1_30default_config_static_selectorELNS0_4arch9wavefront6targetE0EEEvT1_.uses_vcc, 0
	.set _ZN7rocprim17ROCPRIM_400000_NS6detail17trampoline_kernelINS0_14default_configENS1_27scan_by_key_config_selectorIiiEEZZNS1_16scan_by_key_implILNS1_25lookback_scan_determinismE0ELb0ES3_PKiN6hipcub16HIPCUB_304000_NS21ConstantInputIteratorIilEEPiiNSB_3SumENSB_8EqualityEiEE10hipError_tPvRmT2_T3_T4_T5_mT6_T7_P12ihipStream_tbENKUlT_T0_E_clISt17integral_constantIbLb1EESX_EEDaSS_ST_EUlSS_E_NS1_11comp_targetILNS1_3genE4ELNS1_11target_archE910ELNS1_3gpuE8ELNS1_3repE0EEENS1_30default_config_static_selectorELNS0_4arch9wavefront6targetE0EEEvT1_.uses_flat_scratch, 0
	.set _ZN7rocprim17ROCPRIM_400000_NS6detail17trampoline_kernelINS0_14default_configENS1_27scan_by_key_config_selectorIiiEEZZNS1_16scan_by_key_implILNS1_25lookback_scan_determinismE0ELb0ES3_PKiN6hipcub16HIPCUB_304000_NS21ConstantInputIteratorIilEEPiiNSB_3SumENSB_8EqualityEiEE10hipError_tPvRmT2_T3_T4_T5_mT6_T7_P12ihipStream_tbENKUlT_T0_E_clISt17integral_constantIbLb1EESX_EEDaSS_ST_EUlSS_E_NS1_11comp_targetILNS1_3genE4ELNS1_11target_archE910ELNS1_3gpuE8ELNS1_3repE0EEENS1_30default_config_static_selectorELNS0_4arch9wavefront6targetE0EEEvT1_.has_dyn_sized_stack, 0
	.set _ZN7rocprim17ROCPRIM_400000_NS6detail17trampoline_kernelINS0_14default_configENS1_27scan_by_key_config_selectorIiiEEZZNS1_16scan_by_key_implILNS1_25lookback_scan_determinismE0ELb0ES3_PKiN6hipcub16HIPCUB_304000_NS21ConstantInputIteratorIilEEPiiNSB_3SumENSB_8EqualityEiEE10hipError_tPvRmT2_T3_T4_T5_mT6_T7_P12ihipStream_tbENKUlT_T0_E_clISt17integral_constantIbLb1EESX_EEDaSS_ST_EUlSS_E_NS1_11comp_targetILNS1_3genE4ELNS1_11target_archE910ELNS1_3gpuE8ELNS1_3repE0EEENS1_30default_config_static_selectorELNS0_4arch9wavefront6targetE0EEEvT1_.has_recursion, 0
	.set _ZN7rocprim17ROCPRIM_400000_NS6detail17trampoline_kernelINS0_14default_configENS1_27scan_by_key_config_selectorIiiEEZZNS1_16scan_by_key_implILNS1_25lookback_scan_determinismE0ELb0ES3_PKiN6hipcub16HIPCUB_304000_NS21ConstantInputIteratorIilEEPiiNSB_3SumENSB_8EqualityEiEE10hipError_tPvRmT2_T3_T4_T5_mT6_T7_P12ihipStream_tbENKUlT_T0_E_clISt17integral_constantIbLb1EESX_EEDaSS_ST_EUlSS_E_NS1_11comp_targetILNS1_3genE4ELNS1_11target_archE910ELNS1_3gpuE8ELNS1_3repE0EEENS1_30default_config_static_selectorELNS0_4arch9wavefront6targetE0EEEvT1_.has_indirect_call, 0
	.section	.AMDGPU.csdata,"",@progbits
; Kernel info:
; codeLenInByte = 0
; TotalNumSgprs: 0
; NumVgprs: 0
; ScratchSize: 0
; MemoryBound: 0
; FloatMode: 240
; IeeeMode: 1
; LDSByteSize: 0 bytes/workgroup (compile time only)
; SGPRBlocks: 0
; VGPRBlocks: 0
; NumSGPRsForWavesPerEU: 1
; NumVGPRsForWavesPerEU: 1
; NamedBarCnt: 0
; Occupancy: 16
; WaveLimiterHint : 0
; COMPUTE_PGM_RSRC2:SCRATCH_EN: 0
; COMPUTE_PGM_RSRC2:USER_SGPR: 2
; COMPUTE_PGM_RSRC2:TRAP_HANDLER: 0
; COMPUTE_PGM_RSRC2:TGID_X_EN: 1
; COMPUTE_PGM_RSRC2:TGID_Y_EN: 0
; COMPUTE_PGM_RSRC2:TGID_Z_EN: 0
; COMPUTE_PGM_RSRC2:TIDIG_COMP_CNT: 0
	.section	.text._ZN7rocprim17ROCPRIM_400000_NS6detail17trampoline_kernelINS0_14default_configENS1_27scan_by_key_config_selectorIiiEEZZNS1_16scan_by_key_implILNS1_25lookback_scan_determinismE0ELb0ES3_PKiN6hipcub16HIPCUB_304000_NS21ConstantInputIteratorIilEEPiiNSB_3SumENSB_8EqualityEiEE10hipError_tPvRmT2_T3_T4_T5_mT6_T7_P12ihipStream_tbENKUlT_T0_E_clISt17integral_constantIbLb1EESX_EEDaSS_ST_EUlSS_E_NS1_11comp_targetILNS1_3genE3ELNS1_11target_archE908ELNS1_3gpuE7ELNS1_3repE0EEENS1_30default_config_static_selectorELNS0_4arch9wavefront6targetE0EEEvT1_,"axG",@progbits,_ZN7rocprim17ROCPRIM_400000_NS6detail17trampoline_kernelINS0_14default_configENS1_27scan_by_key_config_selectorIiiEEZZNS1_16scan_by_key_implILNS1_25lookback_scan_determinismE0ELb0ES3_PKiN6hipcub16HIPCUB_304000_NS21ConstantInputIteratorIilEEPiiNSB_3SumENSB_8EqualityEiEE10hipError_tPvRmT2_T3_T4_T5_mT6_T7_P12ihipStream_tbENKUlT_T0_E_clISt17integral_constantIbLb1EESX_EEDaSS_ST_EUlSS_E_NS1_11comp_targetILNS1_3genE3ELNS1_11target_archE908ELNS1_3gpuE7ELNS1_3repE0EEENS1_30default_config_static_selectorELNS0_4arch9wavefront6targetE0EEEvT1_,comdat
	.protected	_ZN7rocprim17ROCPRIM_400000_NS6detail17trampoline_kernelINS0_14default_configENS1_27scan_by_key_config_selectorIiiEEZZNS1_16scan_by_key_implILNS1_25lookback_scan_determinismE0ELb0ES3_PKiN6hipcub16HIPCUB_304000_NS21ConstantInputIteratorIilEEPiiNSB_3SumENSB_8EqualityEiEE10hipError_tPvRmT2_T3_T4_T5_mT6_T7_P12ihipStream_tbENKUlT_T0_E_clISt17integral_constantIbLb1EESX_EEDaSS_ST_EUlSS_E_NS1_11comp_targetILNS1_3genE3ELNS1_11target_archE908ELNS1_3gpuE7ELNS1_3repE0EEENS1_30default_config_static_selectorELNS0_4arch9wavefront6targetE0EEEvT1_ ; -- Begin function _ZN7rocprim17ROCPRIM_400000_NS6detail17trampoline_kernelINS0_14default_configENS1_27scan_by_key_config_selectorIiiEEZZNS1_16scan_by_key_implILNS1_25lookback_scan_determinismE0ELb0ES3_PKiN6hipcub16HIPCUB_304000_NS21ConstantInputIteratorIilEEPiiNSB_3SumENSB_8EqualityEiEE10hipError_tPvRmT2_T3_T4_T5_mT6_T7_P12ihipStream_tbENKUlT_T0_E_clISt17integral_constantIbLb1EESX_EEDaSS_ST_EUlSS_E_NS1_11comp_targetILNS1_3genE3ELNS1_11target_archE908ELNS1_3gpuE7ELNS1_3repE0EEENS1_30default_config_static_selectorELNS0_4arch9wavefront6targetE0EEEvT1_
	.globl	_ZN7rocprim17ROCPRIM_400000_NS6detail17trampoline_kernelINS0_14default_configENS1_27scan_by_key_config_selectorIiiEEZZNS1_16scan_by_key_implILNS1_25lookback_scan_determinismE0ELb0ES3_PKiN6hipcub16HIPCUB_304000_NS21ConstantInputIteratorIilEEPiiNSB_3SumENSB_8EqualityEiEE10hipError_tPvRmT2_T3_T4_T5_mT6_T7_P12ihipStream_tbENKUlT_T0_E_clISt17integral_constantIbLb1EESX_EEDaSS_ST_EUlSS_E_NS1_11comp_targetILNS1_3genE3ELNS1_11target_archE908ELNS1_3gpuE7ELNS1_3repE0EEENS1_30default_config_static_selectorELNS0_4arch9wavefront6targetE0EEEvT1_
	.p2align	8
	.type	_ZN7rocprim17ROCPRIM_400000_NS6detail17trampoline_kernelINS0_14default_configENS1_27scan_by_key_config_selectorIiiEEZZNS1_16scan_by_key_implILNS1_25lookback_scan_determinismE0ELb0ES3_PKiN6hipcub16HIPCUB_304000_NS21ConstantInputIteratorIilEEPiiNSB_3SumENSB_8EqualityEiEE10hipError_tPvRmT2_T3_T4_T5_mT6_T7_P12ihipStream_tbENKUlT_T0_E_clISt17integral_constantIbLb1EESX_EEDaSS_ST_EUlSS_E_NS1_11comp_targetILNS1_3genE3ELNS1_11target_archE908ELNS1_3gpuE7ELNS1_3repE0EEENS1_30default_config_static_selectorELNS0_4arch9wavefront6targetE0EEEvT1_,@function
_ZN7rocprim17ROCPRIM_400000_NS6detail17trampoline_kernelINS0_14default_configENS1_27scan_by_key_config_selectorIiiEEZZNS1_16scan_by_key_implILNS1_25lookback_scan_determinismE0ELb0ES3_PKiN6hipcub16HIPCUB_304000_NS21ConstantInputIteratorIilEEPiiNSB_3SumENSB_8EqualityEiEE10hipError_tPvRmT2_T3_T4_T5_mT6_T7_P12ihipStream_tbENKUlT_T0_E_clISt17integral_constantIbLb1EESX_EEDaSS_ST_EUlSS_E_NS1_11comp_targetILNS1_3genE3ELNS1_11target_archE908ELNS1_3gpuE7ELNS1_3repE0EEENS1_30default_config_static_selectorELNS0_4arch9wavefront6targetE0EEEvT1_: ; @_ZN7rocprim17ROCPRIM_400000_NS6detail17trampoline_kernelINS0_14default_configENS1_27scan_by_key_config_selectorIiiEEZZNS1_16scan_by_key_implILNS1_25lookback_scan_determinismE0ELb0ES3_PKiN6hipcub16HIPCUB_304000_NS21ConstantInputIteratorIilEEPiiNSB_3SumENSB_8EqualityEiEE10hipError_tPvRmT2_T3_T4_T5_mT6_T7_P12ihipStream_tbENKUlT_T0_E_clISt17integral_constantIbLb1EESX_EEDaSS_ST_EUlSS_E_NS1_11comp_targetILNS1_3genE3ELNS1_11target_archE908ELNS1_3gpuE7ELNS1_3repE0EEENS1_30default_config_static_selectorELNS0_4arch9wavefront6targetE0EEEvT1_
; %bb.0:
	.section	.rodata,"a",@progbits
	.p2align	6, 0x0
	.amdhsa_kernel _ZN7rocprim17ROCPRIM_400000_NS6detail17trampoline_kernelINS0_14default_configENS1_27scan_by_key_config_selectorIiiEEZZNS1_16scan_by_key_implILNS1_25lookback_scan_determinismE0ELb0ES3_PKiN6hipcub16HIPCUB_304000_NS21ConstantInputIteratorIilEEPiiNSB_3SumENSB_8EqualityEiEE10hipError_tPvRmT2_T3_T4_T5_mT6_T7_P12ihipStream_tbENKUlT_T0_E_clISt17integral_constantIbLb1EESX_EEDaSS_ST_EUlSS_E_NS1_11comp_targetILNS1_3genE3ELNS1_11target_archE908ELNS1_3gpuE7ELNS1_3repE0EEENS1_30default_config_static_selectorELNS0_4arch9wavefront6targetE0EEEvT1_
		.amdhsa_group_segment_fixed_size 0
		.amdhsa_private_segment_fixed_size 0
		.amdhsa_kernarg_size 120
		.amdhsa_user_sgpr_count 2
		.amdhsa_user_sgpr_dispatch_ptr 0
		.amdhsa_user_sgpr_queue_ptr 0
		.amdhsa_user_sgpr_kernarg_segment_ptr 1
		.amdhsa_user_sgpr_dispatch_id 0
		.amdhsa_user_sgpr_kernarg_preload_length 0
		.amdhsa_user_sgpr_kernarg_preload_offset 0
		.amdhsa_user_sgpr_private_segment_size 0
		.amdhsa_wavefront_size32 1
		.amdhsa_uses_dynamic_stack 0
		.amdhsa_enable_private_segment 0
		.amdhsa_system_sgpr_workgroup_id_x 1
		.amdhsa_system_sgpr_workgroup_id_y 0
		.amdhsa_system_sgpr_workgroup_id_z 0
		.amdhsa_system_sgpr_workgroup_info 0
		.amdhsa_system_vgpr_workitem_id 0
		.amdhsa_next_free_vgpr 1
		.amdhsa_next_free_sgpr 1
		.amdhsa_named_barrier_count 0
		.amdhsa_reserve_vcc 0
		.amdhsa_float_round_mode_32 0
		.amdhsa_float_round_mode_16_64 0
		.amdhsa_float_denorm_mode_32 3
		.amdhsa_float_denorm_mode_16_64 3
		.amdhsa_fp16_overflow 0
		.amdhsa_memory_ordered 1
		.amdhsa_forward_progress 1
		.amdhsa_inst_pref_size 0
		.amdhsa_round_robin_scheduling 0
		.amdhsa_exception_fp_ieee_invalid_op 0
		.amdhsa_exception_fp_denorm_src 0
		.amdhsa_exception_fp_ieee_div_zero 0
		.amdhsa_exception_fp_ieee_overflow 0
		.amdhsa_exception_fp_ieee_underflow 0
		.amdhsa_exception_fp_ieee_inexact 0
		.amdhsa_exception_int_div_zero 0
	.end_amdhsa_kernel
	.section	.text._ZN7rocprim17ROCPRIM_400000_NS6detail17trampoline_kernelINS0_14default_configENS1_27scan_by_key_config_selectorIiiEEZZNS1_16scan_by_key_implILNS1_25lookback_scan_determinismE0ELb0ES3_PKiN6hipcub16HIPCUB_304000_NS21ConstantInputIteratorIilEEPiiNSB_3SumENSB_8EqualityEiEE10hipError_tPvRmT2_T3_T4_T5_mT6_T7_P12ihipStream_tbENKUlT_T0_E_clISt17integral_constantIbLb1EESX_EEDaSS_ST_EUlSS_E_NS1_11comp_targetILNS1_3genE3ELNS1_11target_archE908ELNS1_3gpuE7ELNS1_3repE0EEENS1_30default_config_static_selectorELNS0_4arch9wavefront6targetE0EEEvT1_,"axG",@progbits,_ZN7rocprim17ROCPRIM_400000_NS6detail17trampoline_kernelINS0_14default_configENS1_27scan_by_key_config_selectorIiiEEZZNS1_16scan_by_key_implILNS1_25lookback_scan_determinismE0ELb0ES3_PKiN6hipcub16HIPCUB_304000_NS21ConstantInputIteratorIilEEPiiNSB_3SumENSB_8EqualityEiEE10hipError_tPvRmT2_T3_T4_T5_mT6_T7_P12ihipStream_tbENKUlT_T0_E_clISt17integral_constantIbLb1EESX_EEDaSS_ST_EUlSS_E_NS1_11comp_targetILNS1_3genE3ELNS1_11target_archE908ELNS1_3gpuE7ELNS1_3repE0EEENS1_30default_config_static_selectorELNS0_4arch9wavefront6targetE0EEEvT1_,comdat
.Lfunc_end25:
	.size	_ZN7rocprim17ROCPRIM_400000_NS6detail17trampoline_kernelINS0_14default_configENS1_27scan_by_key_config_selectorIiiEEZZNS1_16scan_by_key_implILNS1_25lookback_scan_determinismE0ELb0ES3_PKiN6hipcub16HIPCUB_304000_NS21ConstantInputIteratorIilEEPiiNSB_3SumENSB_8EqualityEiEE10hipError_tPvRmT2_T3_T4_T5_mT6_T7_P12ihipStream_tbENKUlT_T0_E_clISt17integral_constantIbLb1EESX_EEDaSS_ST_EUlSS_E_NS1_11comp_targetILNS1_3genE3ELNS1_11target_archE908ELNS1_3gpuE7ELNS1_3repE0EEENS1_30default_config_static_selectorELNS0_4arch9wavefront6targetE0EEEvT1_, .Lfunc_end25-_ZN7rocprim17ROCPRIM_400000_NS6detail17trampoline_kernelINS0_14default_configENS1_27scan_by_key_config_selectorIiiEEZZNS1_16scan_by_key_implILNS1_25lookback_scan_determinismE0ELb0ES3_PKiN6hipcub16HIPCUB_304000_NS21ConstantInputIteratorIilEEPiiNSB_3SumENSB_8EqualityEiEE10hipError_tPvRmT2_T3_T4_T5_mT6_T7_P12ihipStream_tbENKUlT_T0_E_clISt17integral_constantIbLb1EESX_EEDaSS_ST_EUlSS_E_NS1_11comp_targetILNS1_3genE3ELNS1_11target_archE908ELNS1_3gpuE7ELNS1_3repE0EEENS1_30default_config_static_selectorELNS0_4arch9wavefront6targetE0EEEvT1_
                                        ; -- End function
	.set _ZN7rocprim17ROCPRIM_400000_NS6detail17trampoline_kernelINS0_14default_configENS1_27scan_by_key_config_selectorIiiEEZZNS1_16scan_by_key_implILNS1_25lookback_scan_determinismE0ELb0ES3_PKiN6hipcub16HIPCUB_304000_NS21ConstantInputIteratorIilEEPiiNSB_3SumENSB_8EqualityEiEE10hipError_tPvRmT2_T3_T4_T5_mT6_T7_P12ihipStream_tbENKUlT_T0_E_clISt17integral_constantIbLb1EESX_EEDaSS_ST_EUlSS_E_NS1_11comp_targetILNS1_3genE3ELNS1_11target_archE908ELNS1_3gpuE7ELNS1_3repE0EEENS1_30default_config_static_selectorELNS0_4arch9wavefront6targetE0EEEvT1_.num_vgpr, 0
	.set _ZN7rocprim17ROCPRIM_400000_NS6detail17trampoline_kernelINS0_14default_configENS1_27scan_by_key_config_selectorIiiEEZZNS1_16scan_by_key_implILNS1_25lookback_scan_determinismE0ELb0ES3_PKiN6hipcub16HIPCUB_304000_NS21ConstantInputIteratorIilEEPiiNSB_3SumENSB_8EqualityEiEE10hipError_tPvRmT2_T3_T4_T5_mT6_T7_P12ihipStream_tbENKUlT_T0_E_clISt17integral_constantIbLb1EESX_EEDaSS_ST_EUlSS_E_NS1_11comp_targetILNS1_3genE3ELNS1_11target_archE908ELNS1_3gpuE7ELNS1_3repE0EEENS1_30default_config_static_selectorELNS0_4arch9wavefront6targetE0EEEvT1_.num_agpr, 0
	.set _ZN7rocprim17ROCPRIM_400000_NS6detail17trampoline_kernelINS0_14default_configENS1_27scan_by_key_config_selectorIiiEEZZNS1_16scan_by_key_implILNS1_25lookback_scan_determinismE0ELb0ES3_PKiN6hipcub16HIPCUB_304000_NS21ConstantInputIteratorIilEEPiiNSB_3SumENSB_8EqualityEiEE10hipError_tPvRmT2_T3_T4_T5_mT6_T7_P12ihipStream_tbENKUlT_T0_E_clISt17integral_constantIbLb1EESX_EEDaSS_ST_EUlSS_E_NS1_11comp_targetILNS1_3genE3ELNS1_11target_archE908ELNS1_3gpuE7ELNS1_3repE0EEENS1_30default_config_static_selectorELNS0_4arch9wavefront6targetE0EEEvT1_.numbered_sgpr, 0
	.set _ZN7rocprim17ROCPRIM_400000_NS6detail17trampoline_kernelINS0_14default_configENS1_27scan_by_key_config_selectorIiiEEZZNS1_16scan_by_key_implILNS1_25lookback_scan_determinismE0ELb0ES3_PKiN6hipcub16HIPCUB_304000_NS21ConstantInputIteratorIilEEPiiNSB_3SumENSB_8EqualityEiEE10hipError_tPvRmT2_T3_T4_T5_mT6_T7_P12ihipStream_tbENKUlT_T0_E_clISt17integral_constantIbLb1EESX_EEDaSS_ST_EUlSS_E_NS1_11comp_targetILNS1_3genE3ELNS1_11target_archE908ELNS1_3gpuE7ELNS1_3repE0EEENS1_30default_config_static_selectorELNS0_4arch9wavefront6targetE0EEEvT1_.num_named_barrier, 0
	.set _ZN7rocprim17ROCPRIM_400000_NS6detail17trampoline_kernelINS0_14default_configENS1_27scan_by_key_config_selectorIiiEEZZNS1_16scan_by_key_implILNS1_25lookback_scan_determinismE0ELb0ES3_PKiN6hipcub16HIPCUB_304000_NS21ConstantInputIteratorIilEEPiiNSB_3SumENSB_8EqualityEiEE10hipError_tPvRmT2_T3_T4_T5_mT6_T7_P12ihipStream_tbENKUlT_T0_E_clISt17integral_constantIbLb1EESX_EEDaSS_ST_EUlSS_E_NS1_11comp_targetILNS1_3genE3ELNS1_11target_archE908ELNS1_3gpuE7ELNS1_3repE0EEENS1_30default_config_static_selectorELNS0_4arch9wavefront6targetE0EEEvT1_.private_seg_size, 0
	.set _ZN7rocprim17ROCPRIM_400000_NS6detail17trampoline_kernelINS0_14default_configENS1_27scan_by_key_config_selectorIiiEEZZNS1_16scan_by_key_implILNS1_25lookback_scan_determinismE0ELb0ES3_PKiN6hipcub16HIPCUB_304000_NS21ConstantInputIteratorIilEEPiiNSB_3SumENSB_8EqualityEiEE10hipError_tPvRmT2_T3_T4_T5_mT6_T7_P12ihipStream_tbENKUlT_T0_E_clISt17integral_constantIbLb1EESX_EEDaSS_ST_EUlSS_E_NS1_11comp_targetILNS1_3genE3ELNS1_11target_archE908ELNS1_3gpuE7ELNS1_3repE0EEENS1_30default_config_static_selectorELNS0_4arch9wavefront6targetE0EEEvT1_.uses_vcc, 0
	.set _ZN7rocprim17ROCPRIM_400000_NS6detail17trampoline_kernelINS0_14default_configENS1_27scan_by_key_config_selectorIiiEEZZNS1_16scan_by_key_implILNS1_25lookback_scan_determinismE0ELb0ES3_PKiN6hipcub16HIPCUB_304000_NS21ConstantInputIteratorIilEEPiiNSB_3SumENSB_8EqualityEiEE10hipError_tPvRmT2_T3_T4_T5_mT6_T7_P12ihipStream_tbENKUlT_T0_E_clISt17integral_constantIbLb1EESX_EEDaSS_ST_EUlSS_E_NS1_11comp_targetILNS1_3genE3ELNS1_11target_archE908ELNS1_3gpuE7ELNS1_3repE0EEENS1_30default_config_static_selectorELNS0_4arch9wavefront6targetE0EEEvT1_.uses_flat_scratch, 0
	.set _ZN7rocprim17ROCPRIM_400000_NS6detail17trampoline_kernelINS0_14default_configENS1_27scan_by_key_config_selectorIiiEEZZNS1_16scan_by_key_implILNS1_25lookback_scan_determinismE0ELb0ES3_PKiN6hipcub16HIPCUB_304000_NS21ConstantInputIteratorIilEEPiiNSB_3SumENSB_8EqualityEiEE10hipError_tPvRmT2_T3_T4_T5_mT6_T7_P12ihipStream_tbENKUlT_T0_E_clISt17integral_constantIbLb1EESX_EEDaSS_ST_EUlSS_E_NS1_11comp_targetILNS1_3genE3ELNS1_11target_archE908ELNS1_3gpuE7ELNS1_3repE0EEENS1_30default_config_static_selectorELNS0_4arch9wavefront6targetE0EEEvT1_.has_dyn_sized_stack, 0
	.set _ZN7rocprim17ROCPRIM_400000_NS6detail17trampoline_kernelINS0_14default_configENS1_27scan_by_key_config_selectorIiiEEZZNS1_16scan_by_key_implILNS1_25lookback_scan_determinismE0ELb0ES3_PKiN6hipcub16HIPCUB_304000_NS21ConstantInputIteratorIilEEPiiNSB_3SumENSB_8EqualityEiEE10hipError_tPvRmT2_T3_T4_T5_mT6_T7_P12ihipStream_tbENKUlT_T0_E_clISt17integral_constantIbLb1EESX_EEDaSS_ST_EUlSS_E_NS1_11comp_targetILNS1_3genE3ELNS1_11target_archE908ELNS1_3gpuE7ELNS1_3repE0EEENS1_30default_config_static_selectorELNS0_4arch9wavefront6targetE0EEEvT1_.has_recursion, 0
	.set _ZN7rocprim17ROCPRIM_400000_NS6detail17trampoline_kernelINS0_14default_configENS1_27scan_by_key_config_selectorIiiEEZZNS1_16scan_by_key_implILNS1_25lookback_scan_determinismE0ELb0ES3_PKiN6hipcub16HIPCUB_304000_NS21ConstantInputIteratorIilEEPiiNSB_3SumENSB_8EqualityEiEE10hipError_tPvRmT2_T3_T4_T5_mT6_T7_P12ihipStream_tbENKUlT_T0_E_clISt17integral_constantIbLb1EESX_EEDaSS_ST_EUlSS_E_NS1_11comp_targetILNS1_3genE3ELNS1_11target_archE908ELNS1_3gpuE7ELNS1_3repE0EEENS1_30default_config_static_selectorELNS0_4arch9wavefront6targetE0EEEvT1_.has_indirect_call, 0
	.section	.AMDGPU.csdata,"",@progbits
; Kernel info:
; codeLenInByte = 0
; TotalNumSgprs: 0
; NumVgprs: 0
; ScratchSize: 0
; MemoryBound: 0
; FloatMode: 240
; IeeeMode: 1
; LDSByteSize: 0 bytes/workgroup (compile time only)
; SGPRBlocks: 0
; VGPRBlocks: 0
; NumSGPRsForWavesPerEU: 1
; NumVGPRsForWavesPerEU: 1
; NamedBarCnt: 0
; Occupancy: 16
; WaveLimiterHint : 0
; COMPUTE_PGM_RSRC2:SCRATCH_EN: 0
; COMPUTE_PGM_RSRC2:USER_SGPR: 2
; COMPUTE_PGM_RSRC2:TRAP_HANDLER: 0
; COMPUTE_PGM_RSRC2:TGID_X_EN: 1
; COMPUTE_PGM_RSRC2:TGID_Y_EN: 0
; COMPUTE_PGM_RSRC2:TGID_Z_EN: 0
; COMPUTE_PGM_RSRC2:TIDIG_COMP_CNT: 0
	.section	.text._ZN7rocprim17ROCPRIM_400000_NS6detail17trampoline_kernelINS0_14default_configENS1_27scan_by_key_config_selectorIiiEEZZNS1_16scan_by_key_implILNS1_25lookback_scan_determinismE0ELb0ES3_PKiN6hipcub16HIPCUB_304000_NS21ConstantInputIteratorIilEEPiiNSB_3SumENSB_8EqualityEiEE10hipError_tPvRmT2_T3_T4_T5_mT6_T7_P12ihipStream_tbENKUlT_T0_E_clISt17integral_constantIbLb1EESX_EEDaSS_ST_EUlSS_E_NS1_11comp_targetILNS1_3genE2ELNS1_11target_archE906ELNS1_3gpuE6ELNS1_3repE0EEENS1_30default_config_static_selectorELNS0_4arch9wavefront6targetE0EEEvT1_,"axG",@progbits,_ZN7rocprim17ROCPRIM_400000_NS6detail17trampoline_kernelINS0_14default_configENS1_27scan_by_key_config_selectorIiiEEZZNS1_16scan_by_key_implILNS1_25lookback_scan_determinismE0ELb0ES3_PKiN6hipcub16HIPCUB_304000_NS21ConstantInputIteratorIilEEPiiNSB_3SumENSB_8EqualityEiEE10hipError_tPvRmT2_T3_T4_T5_mT6_T7_P12ihipStream_tbENKUlT_T0_E_clISt17integral_constantIbLb1EESX_EEDaSS_ST_EUlSS_E_NS1_11comp_targetILNS1_3genE2ELNS1_11target_archE906ELNS1_3gpuE6ELNS1_3repE0EEENS1_30default_config_static_selectorELNS0_4arch9wavefront6targetE0EEEvT1_,comdat
	.protected	_ZN7rocprim17ROCPRIM_400000_NS6detail17trampoline_kernelINS0_14default_configENS1_27scan_by_key_config_selectorIiiEEZZNS1_16scan_by_key_implILNS1_25lookback_scan_determinismE0ELb0ES3_PKiN6hipcub16HIPCUB_304000_NS21ConstantInputIteratorIilEEPiiNSB_3SumENSB_8EqualityEiEE10hipError_tPvRmT2_T3_T4_T5_mT6_T7_P12ihipStream_tbENKUlT_T0_E_clISt17integral_constantIbLb1EESX_EEDaSS_ST_EUlSS_E_NS1_11comp_targetILNS1_3genE2ELNS1_11target_archE906ELNS1_3gpuE6ELNS1_3repE0EEENS1_30default_config_static_selectorELNS0_4arch9wavefront6targetE0EEEvT1_ ; -- Begin function _ZN7rocprim17ROCPRIM_400000_NS6detail17trampoline_kernelINS0_14default_configENS1_27scan_by_key_config_selectorIiiEEZZNS1_16scan_by_key_implILNS1_25lookback_scan_determinismE0ELb0ES3_PKiN6hipcub16HIPCUB_304000_NS21ConstantInputIteratorIilEEPiiNSB_3SumENSB_8EqualityEiEE10hipError_tPvRmT2_T3_T4_T5_mT6_T7_P12ihipStream_tbENKUlT_T0_E_clISt17integral_constantIbLb1EESX_EEDaSS_ST_EUlSS_E_NS1_11comp_targetILNS1_3genE2ELNS1_11target_archE906ELNS1_3gpuE6ELNS1_3repE0EEENS1_30default_config_static_selectorELNS0_4arch9wavefront6targetE0EEEvT1_
	.globl	_ZN7rocprim17ROCPRIM_400000_NS6detail17trampoline_kernelINS0_14default_configENS1_27scan_by_key_config_selectorIiiEEZZNS1_16scan_by_key_implILNS1_25lookback_scan_determinismE0ELb0ES3_PKiN6hipcub16HIPCUB_304000_NS21ConstantInputIteratorIilEEPiiNSB_3SumENSB_8EqualityEiEE10hipError_tPvRmT2_T3_T4_T5_mT6_T7_P12ihipStream_tbENKUlT_T0_E_clISt17integral_constantIbLb1EESX_EEDaSS_ST_EUlSS_E_NS1_11comp_targetILNS1_3genE2ELNS1_11target_archE906ELNS1_3gpuE6ELNS1_3repE0EEENS1_30default_config_static_selectorELNS0_4arch9wavefront6targetE0EEEvT1_
	.p2align	8
	.type	_ZN7rocprim17ROCPRIM_400000_NS6detail17trampoline_kernelINS0_14default_configENS1_27scan_by_key_config_selectorIiiEEZZNS1_16scan_by_key_implILNS1_25lookback_scan_determinismE0ELb0ES3_PKiN6hipcub16HIPCUB_304000_NS21ConstantInputIteratorIilEEPiiNSB_3SumENSB_8EqualityEiEE10hipError_tPvRmT2_T3_T4_T5_mT6_T7_P12ihipStream_tbENKUlT_T0_E_clISt17integral_constantIbLb1EESX_EEDaSS_ST_EUlSS_E_NS1_11comp_targetILNS1_3genE2ELNS1_11target_archE906ELNS1_3gpuE6ELNS1_3repE0EEENS1_30default_config_static_selectorELNS0_4arch9wavefront6targetE0EEEvT1_,@function
_ZN7rocprim17ROCPRIM_400000_NS6detail17trampoline_kernelINS0_14default_configENS1_27scan_by_key_config_selectorIiiEEZZNS1_16scan_by_key_implILNS1_25lookback_scan_determinismE0ELb0ES3_PKiN6hipcub16HIPCUB_304000_NS21ConstantInputIteratorIilEEPiiNSB_3SumENSB_8EqualityEiEE10hipError_tPvRmT2_T3_T4_T5_mT6_T7_P12ihipStream_tbENKUlT_T0_E_clISt17integral_constantIbLb1EESX_EEDaSS_ST_EUlSS_E_NS1_11comp_targetILNS1_3genE2ELNS1_11target_archE906ELNS1_3gpuE6ELNS1_3repE0EEENS1_30default_config_static_selectorELNS0_4arch9wavefront6targetE0EEEvT1_: ; @_ZN7rocprim17ROCPRIM_400000_NS6detail17trampoline_kernelINS0_14default_configENS1_27scan_by_key_config_selectorIiiEEZZNS1_16scan_by_key_implILNS1_25lookback_scan_determinismE0ELb0ES3_PKiN6hipcub16HIPCUB_304000_NS21ConstantInputIteratorIilEEPiiNSB_3SumENSB_8EqualityEiEE10hipError_tPvRmT2_T3_T4_T5_mT6_T7_P12ihipStream_tbENKUlT_T0_E_clISt17integral_constantIbLb1EESX_EEDaSS_ST_EUlSS_E_NS1_11comp_targetILNS1_3genE2ELNS1_11target_archE906ELNS1_3gpuE6ELNS1_3repE0EEENS1_30default_config_static_selectorELNS0_4arch9wavefront6targetE0EEEvT1_
; %bb.0:
	.section	.rodata,"a",@progbits
	.p2align	6, 0x0
	.amdhsa_kernel _ZN7rocprim17ROCPRIM_400000_NS6detail17trampoline_kernelINS0_14default_configENS1_27scan_by_key_config_selectorIiiEEZZNS1_16scan_by_key_implILNS1_25lookback_scan_determinismE0ELb0ES3_PKiN6hipcub16HIPCUB_304000_NS21ConstantInputIteratorIilEEPiiNSB_3SumENSB_8EqualityEiEE10hipError_tPvRmT2_T3_T4_T5_mT6_T7_P12ihipStream_tbENKUlT_T0_E_clISt17integral_constantIbLb1EESX_EEDaSS_ST_EUlSS_E_NS1_11comp_targetILNS1_3genE2ELNS1_11target_archE906ELNS1_3gpuE6ELNS1_3repE0EEENS1_30default_config_static_selectorELNS0_4arch9wavefront6targetE0EEEvT1_
		.amdhsa_group_segment_fixed_size 0
		.amdhsa_private_segment_fixed_size 0
		.amdhsa_kernarg_size 120
		.amdhsa_user_sgpr_count 2
		.amdhsa_user_sgpr_dispatch_ptr 0
		.amdhsa_user_sgpr_queue_ptr 0
		.amdhsa_user_sgpr_kernarg_segment_ptr 1
		.amdhsa_user_sgpr_dispatch_id 0
		.amdhsa_user_sgpr_kernarg_preload_length 0
		.amdhsa_user_sgpr_kernarg_preload_offset 0
		.amdhsa_user_sgpr_private_segment_size 0
		.amdhsa_wavefront_size32 1
		.amdhsa_uses_dynamic_stack 0
		.amdhsa_enable_private_segment 0
		.amdhsa_system_sgpr_workgroup_id_x 1
		.amdhsa_system_sgpr_workgroup_id_y 0
		.amdhsa_system_sgpr_workgroup_id_z 0
		.amdhsa_system_sgpr_workgroup_info 0
		.amdhsa_system_vgpr_workitem_id 0
		.amdhsa_next_free_vgpr 1
		.amdhsa_next_free_sgpr 1
		.amdhsa_named_barrier_count 0
		.amdhsa_reserve_vcc 0
		.amdhsa_float_round_mode_32 0
		.amdhsa_float_round_mode_16_64 0
		.amdhsa_float_denorm_mode_32 3
		.amdhsa_float_denorm_mode_16_64 3
		.amdhsa_fp16_overflow 0
		.amdhsa_memory_ordered 1
		.amdhsa_forward_progress 1
		.amdhsa_inst_pref_size 0
		.amdhsa_round_robin_scheduling 0
		.amdhsa_exception_fp_ieee_invalid_op 0
		.amdhsa_exception_fp_denorm_src 0
		.amdhsa_exception_fp_ieee_div_zero 0
		.amdhsa_exception_fp_ieee_overflow 0
		.amdhsa_exception_fp_ieee_underflow 0
		.amdhsa_exception_fp_ieee_inexact 0
		.amdhsa_exception_int_div_zero 0
	.end_amdhsa_kernel
	.section	.text._ZN7rocprim17ROCPRIM_400000_NS6detail17trampoline_kernelINS0_14default_configENS1_27scan_by_key_config_selectorIiiEEZZNS1_16scan_by_key_implILNS1_25lookback_scan_determinismE0ELb0ES3_PKiN6hipcub16HIPCUB_304000_NS21ConstantInputIteratorIilEEPiiNSB_3SumENSB_8EqualityEiEE10hipError_tPvRmT2_T3_T4_T5_mT6_T7_P12ihipStream_tbENKUlT_T0_E_clISt17integral_constantIbLb1EESX_EEDaSS_ST_EUlSS_E_NS1_11comp_targetILNS1_3genE2ELNS1_11target_archE906ELNS1_3gpuE6ELNS1_3repE0EEENS1_30default_config_static_selectorELNS0_4arch9wavefront6targetE0EEEvT1_,"axG",@progbits,_ZN7rocprim17ROCPRIM_400000_NS6detail17trampoline_kernelINS0_14default_configENS1_27scan_by_key_config_selectorIiiEEZZNS1_16scan_by_key_implILNS1_25lookback_scan_determinismE0ELb0ES3_PKiN6hipcub16HIPCUB_304000_NS21ConstantInputIteratorIilEEPiiNSB_3SumENSB_8EqualityEiEE10hipError_tPvRmT2_T3_T4_T5_mT6_T7_P12ihipStream_tbENKUlT_T0_E_clISt17integral_constantIbLb1EESX_EEDaSS_ST_EUlSS_E_NS1_11comp_targetILNS1_3genE2ELNS1_11target_archE906ELNS1_3gpuE6ELNS1_3repE0EEENS1_30default_config_static_selectorELNS0_4arch9wavefront6targetE0EEEvT1_,comdat
.Lfunc_end26:
	.size	_ZN7rocprim17ROCPRIM_400000_NS6detail17trampoline_kernelINS0_14default_configENS1_27scan_by_key_config_selectorIiiEEZZNS1_16scan_by_key_implILNS1_25lookback_scan_determinismE0ELb0ES3_PKiN6hipcub16HIPCUB_304000_NS21ConstantInputIteratorIilEEPiiNSB_3SumENSB_8EqualityEiEE10hipError_tPvRmT2_T3_T4_T5_mT6_T7_P12ihipStream_tbENKUlT_T0_E_clISt17integral_constantIbLb1EESX_EEDaSS_ST_EUlSS_E_NS1_11comp_targetILNS1_3genE2ELNS1_11target_archE906ELNS1_3gpuE6ELNS1_3repE0EEENS1_30default_config_static_selectorELNS0_4arch9wavefront6targetE0EEEvT1_, .Lfunc_end26-_ZN7rocprim17ROCPRIM_400000_NS6detail17trampoline_kernelINS0_14default_configENS1_27scan_by_key_config_selectorIiiEEZZNS1_16scan_by_key_implILNS1_25lookback_scan_determinismE0ELb0ES3_PKiN6hipcub16HIPCUB_304000_NS21ConstantInputIteratorIilEEPiiNSB_3SumENSB_8EqualityEiEE10hipError_tPvRmT2_T3_T4_T5_mT6_T7_P12ihipStream_tbENKUlT_T0_E_clISt17integral_constantIbLb1EESX_EEDaSS_ST_EUlSS_E_NS1_11comp_targetILNS1_3genE2ELNS1_11target_archE906ELNS1_3gpuE6ELNS1_3repE0EEENS1_30default_config_static_selectorELNS0_4arch9wavefront6targetE0EEEvT1_
                                        ; -- End function
	.set _ZN7rocprim17ROCPRIM_400000_NS6detail17trampoline_kernelINS0_14default_configENS1_27scan_by_key_config_selectorIiiEEZZNS1_16scan_by_key_implILNS1_25lookback_scan_determinismE0ELb0ES3_PKiN6hipcub16HIPCUB_304000_NS21ConstantInputIteratorIilEEPiiNSB_3SumENSB_8EqualityEiEE10hipError_tPvRmT2_T3_T4_T5_mT6_T7_P12ihipStream_tbENKUlT_T0_E_clISt17integral_constantIbLb1EESX_EEDaSS_ST_EUlSS_E_NS1_11comp_targetILNS1_3genE2ELNS1_11target_archE906ELNS1_3gpuE6ELNS1_3repE0EEENS1_30default_config_static_selectorELNS0_4arch9wavefront6targetE0EEEvT1_.num_vgpr, 0
	.set _ZN7rocprim17ROCPRIM_400000_NS6detail17trampoline_kernelINS0_14default_configENS1_27scan_by_key_config_selectorIiiEEZZNS1_16scan_by_key_implILNS1_25lookback_scan_determinismE0ELb0ES3_PKiN6hipcub16HIPCUB_304000_NS21ConstantInputIteratorIilEEPiiNSB_3SumENSB_8EqualityEiEE10hipError_tPvRmT2_T3_T4_T5_mT6_T7_P12ihipStream_tbENKUlT_T0_E_clISt17integral_constantIbLb1EESX_EEDaSS_ST_EUlSS_E_NS1_11comp_targetILNS1_3genE2ELNS1_11target_archE906ELNS1_3gpuE6ELNS1_3repE0EEENS1_30default_config_static_selectorELNS0_4arch9wavefront6targetE0EEEvT1_.num_agpr, 0
	.set _ZN7rocprim17ROCPRIM_400000_NS6detail17trampoline_kernelINS0_14default_configENS1_27scan_by_key_config_selectorIiiEEZZNS1_16scan_by_key_implILNS1_25lookback_scan_determinismE0ELb0ES3_PKiN6hipcub16HIPCUB_304000_NS21ConstantInputIteratorIilEEPiiNSB_3SumENSB_8EqualityEiEE10hipError_tPvRmT2_T3_T4_T5_mT6_T7_P12ihipStream_tbENKUlT_T0_E_clISt17integral_constantIbLb1EESX_EEDaSS_ST_EUlSS_E_NS1_11comp_targetILNS1_3genE2ELNS1_11target_archE906ELNS1_3gpuE6ELNS1_3repE0EEENS1_30default_config_static_selectorELNS0_4arch9wavefront6targetE0EEEvT1_.numbered_sgpr, 0
	.set _ZN7rocprim17ROCPRIM_400000_NS6detail17trampoline_kernelINS0_14default_configENS1_27scan_by_key_config_selectorIiiEEZZNS1_16scan_by_key_implILNS1_25lookback_scan_determinismE0ELb0ES3_PKiN6hipcub16HIPCUB_304000_NS21ConstantInputIteratorIilEEPiiNSB_3SumENSB_8EqualityEiEE10hipError_tPvRmT2_T3_T4_T5_mT6_T7_P12ihipStream_tbENKUlT_T0_E_clISt17integral_constantIbLb1EESX_EEDaSS_ST_EUlSS_E_NS1_11comp_targetILNS1_3genE2ELNS1_11target_archE906ELNS1_3gpuE6ELNS1_3repE0EEENS1_30default_config_static_selectorELNS0_4arch9wavefront6targetE0EEEvT1_.num_named_barrier, 0
	.set _ZN7rocprim17ROCPRIM_400000_NS6detail17trampoline_kernelINS0_14default_configENS1_27scan_by_key_config_selectorIiiEEZZNS1_16scan_by_key_implILNS1_25lookback_scan_determinismE0ELb0ES3_PKiN6hipcub16HIPCUB_304000_NS21ConstantInputIteratorIilEEPiiNSB_3SumENSB_8EqualityEiEE10hipError_tPvRmT2_T3_T4_T5_mT6_T7_P12ihipStream_tbENKUlT_T0_E_clISt17integral_constantIbLb1EESX_EEDaSS_ST_EUlSS_E_NS1_11comp_targetILNS1_3genE2ELNS1_11target_archE906ELNS1_3gpuE6ELNS1_3repE0EEENS1_30default_config_static_selectorELNS0_4arch9wavefront6targetE0EEEvT1_.private_seg_size, 0
	.set _ZN7rocprim17ROCPRIM_400000_NS6detail17trampoline_kernelINS0_14default_configENS1_27scan_by_key_config_selectorIiiEEZZNS1_16scan_by_key_implILNS1_25lookback_scan_determinismE0ELb0ES3_PKiN6hipcub16HIPCUB_304000_NS21ConstantInputIteratorIilEEPiiNSB_3SumENSB_8EqualityEiEE10hipError_tPvRmT2_T3_T4_T5_mT6_T7_P12ihipStream_tbENKUlT_T0_E_clISt17integral_constantIbLb1EESX_EEDaSS_ST_EUlSS_E_NS1_11comp_targetILNS1_3genE2ELNS1_11target_archE906ELNS1_3gpuE6ELNS1_3repE0EEENS1_30default_config_static_selectorELNS0_4arch9wavefront6targetE0EEEvT1_.uses_vcc, 0
	.set _ZN7rocprim17ROCPRIM_400000_NS6detail17trampoline_kernelINS0_14default_configENS1_27scan_by_key_config_selectorIiiEEZZNS1_16scan_by_key_implILNS1_25lookback_scan_determinismE0ELb0ES3_PKiN6hipcub16HIPCUB_304000_NS21ConstantInputIteratorIilEEPiiNSB_3SumENSB_8EqualityEiEE10hipError_tPvRmT2_T3_T4_T5_mT6_T7_P12ihipStream_tbENKUlT_T0_E_clISt17integral_constantIbLb1EESX_EEDaSS_ST_EUlSS_E_NS1_11comp_targetILNS1_3genE2ELNS1_11target_archE906ELNS1_3gpuE6ELNS1_3repE0EEENS1_30default_config_static_selectorELNS0_4arch9wavefront6targetE0EEEvT1_.uses_flat_scratch, 0
	.set _ZN7rocprim17ROCPRIM_400000_NS6detail17trampoline_kernelINS0_14default_configENS1_27scan_by_key_config_selectorIiiEEZZNS1_16scan_by_key_implILNS1_25lookback_scan_determinismE0ELb0ES3_PKiN6hipcub16HIPCUB_304000_NS21ConstantInputIteratorIilEEPiiNSB_3SumENSB_8EqualityEiEE10hipError_tPvRmT2_T3_T4_T5_mT6_T7_P12ihipStream_tbENKUlT_T0_E_clISt17integral_constantIbLb1EESX_EEDaSS_ST_EUlSS_E_NS1_11comp_targetILNS1_3genE2ELNS1_11target_archE906ELNS1_3gpuE6ELNS1_3repE0EEENS1_30default_config_static_selectorELNS0_4arch9wavefront6targetE0EEEvT1_.has_dyn_sized_stack, 0
	.set _ZN7rocprim17ROCPRIM_400000_NS6detail17trampoline_kernelINS0_14default_configENS1_27scan_by_key_config_selectorIiiEEZZNS1_16scan_by_key_implILNS1_25lookback_scan_determinismE0ELb0ES3_PKiN6hipcub16HIPCUB_304000_NS21ConstantInputIteratorIilEEPiiNSB_3SumENSB_8EqualityEiEE10hipError_tPvRmT2_T3_T4_T5_mT6_T7_P12ihipStream_tbENKUlT_T0_E_clISt17integral_constantIbLb1EESX_EEDaSS_ST_EUlSS_E_NS1_11comp_targetILNS1_3genE2ELNS1_11target_archE906ELNS1_3gpuE6ELNS1_3repE0EEENS1_30default_config_static_selectorELNS0_4arch9wavefront6targetE0EEEvT1_.has_recursion, 0
	.set _ZN7rocprim17ROCPRIM_400000_NS6detail17trampoline_kernelINS0_14default_configENS1_27scan_by_key_config_selectorIiiEEZZNS1_16scan_by_key_implILNS1_25lookback_scan_determinismE0ELb0ES3_PKiN6hipcub16HIPCUB_304000_NS21ConstantInputIteratorIilEEPiiNSB_3SumENSB_8EqualityEiEE10hipError_tPvRmT2_T3_T4_T5_mT6_T7_P12ihipStream_tbENKUlT_T0_E_clISt17integral_constantIbLb1EESX_EEDaSS_ST_EUlSS_E_NS1_11comp_targetILNS1_3genE2ELNS1_11target_archE906ELNS1_3gpuE6ELNS1_3repE0EEENS1_30default_config_static_selectorELNS0_4arch9wavefront6targetE0EEEvT1_.has_indirect_call, 0
	.section	.AMDGPU.csdata,"",@progbits
; Kernel info:
; codeLenInByte = 0
; TotalNumSgprs: 0
; NumVgprs: 0
; ScratchSize: 0
; MemoryBound: 0
; FloatMode: 240
; IeeeMode: 1
; LDSByteSize: 0 bytes/workgroup (compile time only)
; SGPRBlocks: 0
; VGPRBlocks: 0
; NumSGPRsForWavesPerEU: 1
; NumVGPRsForWavesPerEU: 1
; NamedBarCnt: 0
; Occupancy: 16
; WaveLimiterHint : 0
; COMPUTE_PGM_RSRC2:SCRATCH_EN: 0
; COMPUTE_PGM_RSRC2:USER_SGPR: 2
; COMPUTE_PGM_RSRC2:TRAP_HANDLER: 0
; COMPUTE_PGM_RSRC2:TGID_X_EN: 1
; COMPUTE_PGM_RSRC2:TGID_Y_EN: 0
; COMPUTE_PGM_RSRC2:TGID_Z_EN: 0
; COMPUTE_PGM_RSRC2:TIDIG_COMP_CNT: 0
	.section	.text._ZN7rocprim17ROCPRIM_400000_NS6detail17trampoline_kernelINS0_14default_configENS1_27scan_by_key_config_selectorIiiEEZZNS1_16scan_by_key_implILNS1_25lookback_scan_determinismE0ELb0ES3_PKiN6hipcub16HIPCUB_304000_NS21ConstantInputIteratorIilEEPiiNSB_3SumENSB_8EqualityEiEE10hipError_tPvRmT2_T3_T4_T5_mT6_T7_P12ihipStream_tbENKUlT_T0_E_clISt17integral_constantIbLb1EESX_EEDaSS_ST_EUlSS_E_NS1_11comp_targetILNS1_3genE10ELNS1_11target_archE1200ELNS1_3gpuE4ELNS1_3repE0EEENS1_30default_config_static_selectorELNS0_4arch9wavefront6targetE0EEEvT1_,"axG",@progbits,_ZN7rocprim17ROCPRIM_400000_NS6detail17trampoline_kernelINS0_14default_configENS1_27scan_by_key_config_selectorIiiEEZZNS1_16scan_by_key_implILNS1_25lookback_scan_determinismE0ELb0ES3_PKiN6hipcub16HIPCUB_304000_NS21ConstantInputIteratorIilEEPiiNSB_3SumENSB_8EqualityEiEE10hipError_tPvRmT2_T3_T4_T5_mT6_T7_P12ihipStream_tbENKUlT_T0_E_clISt17integral_constantIbLb1EESX_EEDaSS_ST_EUlSS_E_NS1_11comp_targetILNS1_3genE10ELNS1_11target_archE1200ELNS1_3gpuE4ELNS1_3repE0EEENS1_30default_config_static_selectorELNS0_4arch9wavefront6targetE0EEEvT1_,comdat
	.protected	_ZN7rocprim17ROCPRIM_400000_NS6detail17trampoline_kernelINS0_14default_configENS1_27scan_by_key_config_selectorIiiEEZZNS1_16scan_by_key_implILNS1_25lookback_scan_determinismE0ELb0ES3_PKiN6hipcub16HIPCUB_304000_NS21ConstantInputIteratorIilEEPiiNSB_3SumENSB_8EqualityEiEE10hipError_tPvRmT2_T3_T4_T5_mT6_T7_P12ihipStream_tbENKUlT_T0_E_clISt17integral_constantIbLb1EESX_EEDaSS_ST_EUlSS_E_NS1_11comp_targetILNS1_3genE10ELNS1_11target_archE1200ELNS1_3gpuE4ELNS1_3repE0EEENS1_30default_config_static_selectorELNS0_4arch9wavefront6targetE0EEEvT1_ ; -- Begin function _ZN7rocprim17ROCPRIM_400000_NS6detail17trampoline_kernelINS0_14default_configENS1_27scan_by_key_config_selectorIiiEEZZNS1_16scan_by_key_implILNS1_25lookback_scan_determinismE0ELb0ES3_PKiN6hipcub16HIPCUB_304000_NS21ConstantInputIteratorIilEEPiiNSB_3SumENSB_8EqualityEiEE10hipError_tPvRmT2_T3_T4_T5_mT6_T7_P12ihipStream_tbENKUlT_T0_E_clISt17integral_constantIbLb1EESX_EEDaSS_ST_EUlSS_E_NS1_11comp_targetILNS1_3genE10ELNS1_11target_archE1200ELNS1_3gpuE4ELNS1_3repE0EEENS1_30default_config_static_selectorELNS0_4arch9wavefront6targetE0EEEvT1_
	.globl	_ZN7rocprim17ROCPRIM_400000_NS6detail17trampoline_kernelINS0_14default_configENS1_27scan_by_key_config_selectorIiiEEZZNS1_16scan_by_key_implILNS1_25lookback_scan_determinismE0ELb0ES3_PKiN6hipcub16HIPCUB_304000_NS21ConstantInputIteratorIilEEPiiNSB_3SumENSB_8EqualityEiEE10hipError_tPvRmT2_T3_T4_T5_mT6_T7_P12ihipStream_tbENKUlT_T0_E_clISt17integral_constantIbLb1EESX_EEDaSS_ST_EUlSS_E_NS1_11comp_targetILNS1_3genE10ELNS1_11target_archE1200ELNS1_3gpuE4ELNS1_3repE0EEENS1_30default_config_static_selectorELNS0_4arch9wavefront6targetE0EEEvT1_
	.p2align	8
	.type	_ZN7rocprim17ROCPRIM_400000_NS6detail17trampoline_kernelINS0_14default_configENS1_27scan_by_key_config_selectorIiiEEZZNS1_16scan_by_key_implILNS1_25lookback_scan_determinismE0ELb0ES3_PKiN6hipcub16HIPCUB_304000_NS21ConstantInputIteratorIilEEPiiNSB_3SumENSB_8EqualityEiEE10hipError_tPvRmT2_T3_T4_T5_mT6_T7_P12ihipStream_tbENKUlT_T0_E_clISt17integral_constantIbLb1EESX_EEDaSS_ST_EUlSS_E_NS1_11comp_targetILNS1_3genE10ELNS1_11target_archE1200ELNS1_3gpuE4ELNS1_3repE0EEENS1_30default_config_static_selectorELNS0_4arch9wavefront6targetE0EEEvT1_,@function
_ZN7rocprim17ROCPRIM_400000_NS6detail17trampoline_kernelINS0_14default_configENS1_27scan_by_key_config_selectorIiiEEZZNS1_16scan_by_key_implILNS1_25lookback_scan_determinismE0ELb0ES3_PKiN6hipcub16HIPCUB_304000_NS21ConstantInputIteratorIilEEPiiNSB_3SumENSB_8EqualityEiEE10hipError_tPvRmT2_T3_T4_T5_mT6_T7_P12ihipStream_tbENKUlT_T0_E_clISt17integral_constantIbLb1EESX_EEDaSS_ST_EUlSS_E_NS1_11comp_targetILNS1_3genE10ELNS1_11target_archE1200ELNS1_3gpuE4ELNS1_3repE0EEENS1_30default_config_static_selectorELNS0_4arch9wavefront6targetE0EEEvT1_: ; @_ZN7rocprim17ROCPRIM_400000_NS6detail17trampoline_kernelINS0_14default_configENS1_27scan_by_key_config_selectorIiiEEZZNS1_16scan_by_key_implILNS1_25lookback_scan_determinismE0ELb0ES3_PKiN6hipcub16HIPCUB_304000_NS21ConstantInputIteratorIilEEPiiNSB_3SumENSB_8EqualityEiEE10hipError_tPvRmT2_T3_T4_T5_mT6_T7_P12ihipStream_tbENKUlT_T0_E_clISt17integral_constantIbLb1EESX_EEDaSS_ST_EUlSS_E_NS1_11comp_targetILNS1_3genE10ELNS1_11target_archE1200ELNS1_3gpuE4ELNS1_3repE0EEENS1_30default_config_static_selectorELNS0_4arch9wavefront6targetE0EEEvT1_
; %bb.0:
	.section	.rodata,"a",@progbits
	.p2align	6, 0x0
	.amdhsa_kernel _ZN7rocprim17ROCPRIM_400000_NS6detail17trampoline_kernelINS0_14default_configENS1_27scan_by_key_config_selectorIiiEEZZNS1_16scan_by_key_implILNS1_25lookback_scan_determinismE0ELb0ES3_PKiN6hipcub16HIPCUB_304000_NS21ConstantInputIteratorIilEEPiiNSB_3SumENSB_8EqualityEiEE10hipError_tPvRmT2_T3_T4_T5_mT6_T7_P12ihipStream_tbENKUlT_T0_E_clISt17integral_constantIbLb1EESX_EEDaSS_ST_EUlSS_E_NS1_11comp_targetILNS1_3genE10ELNS1_11target_archE1200ELNS1_3gpuE4ELNS1_3repE0EEENS1_30default_config_static_selectorELNS0_4arch9wavefront6targetE0EEEvT1_
		.amdhsa_group_segment_fixed_size 0
		.amdhsa_private_segment_fixed_size 0
		.amdhsa_kernarg_size 120
		.amdhsa_user_sgpr_count 2
		.amdhsa_user_sgpr_dispatch_ptr 0
		.amdhsa_user_sgpr_queue_ptr 0
		.amdhsa_user_sgpr_kernarg_segment_ptr 1
		.amdhsa_user_sgpr_dispatch_id 0
		.amdhsa_user_sgpr_kernarg_preload_length 0
		.amdhsa_user_sgpr_kernarg_preload_offset 0
		.amdhsa_user_sgpr_private_segment_size 0
		.amdhsa_wavefront_size32 1
		.amdhsa_uses_dynamic_stack 0
		.amdhsa_enable_private_segment 0
		.amdhsa_system_sgpr_workgroup_id_x 1
		.amdhsa_system_sgpr_workgroup_id_y 0
		.amdhsa_system_sgpr_workgroup_id_z 0
		.amdhsa_system_sgpr_workgroup_info 0
		.amdhsa_system_vgpr_workitem_id 0
		.amdhsa_next_free_vgpr 1
		.amdhsa_next_free_sgpr 1
		.amdhsa_named_barrier_count 0
		.amdhsa_reserve_vcc 0
		.amdhsa_float_round_mode_32 0
		.amdhsa_float_round_mode_16_64 0
		.amdhsa_float_denorm_mode_32 3
		.amdhsa_float_denorm_mode_16_64 3
		.amdhsa_fp16_overflow 0
		.amdhsa_memory_ordered 1
		.amdhsa_forward_progress 1
		.amdhsa_inst_pref_size 0
		.amdhsa_round_robin_scheduling 0
		.amdhsa_exception_fp_ieee_invalid_op 0
		.amdhsa_exception_fp_denorm_src 0
		.amdhsa_exception_fp_ieee_div_zero 0
		.amdhsa_exception_fp_ieee_overflow 0
		.amdhsa_exception_fp_ieee_underflow 0
		.amdhsa_exception_fp_ieee_inexact 0
		.amdhsa_exception_int_div_zero 0
	.end_amdhsa_kernel
	.section	.text._ZN7rocprim17ROCPRIM_400000_NS6detail17trampoline_kernelINS0_14default_configENS1_27scan_by_key_config_selectorIiiEEZZNS1_16scan_by_key_implILNS1_25lookback_scan_determinismE0ELb0ES3_PKiN6hipcub16HIPCUB_304000_NS21ConstantInputIteratorIilEEPiiNSB_3SumENSB_8EqualityEiEE10hipError_tPvRmT2_T3_T4_T5_mT6_T7_P12ihipStream_tbENKUlT_T0_E_clISt17integral_constantIbLb1EESX_EEDaSS_ST_EUlSS_E_NS1_11comp_targetILNS1_3genE10ELNS1_11target_archE1200ELNS1_3gpuE4ELNS1_3repE0EEENS1_30default_config_static_selectorELNS0_4arch9wavefront6targetE0EEEvT1_,"axG",@progbits,_ZN7rocprim17ROCPRIM_400000_NS6detail17trampoline_kernelINS0_14default_configENS1_27scan_by_key_config_selectorIiiEEZZNS1_16scan_by_key_implILNS1_25lookback_scan_determinismE0ELb0ES3_PKiN6hipcub16HIPCUB_304000_NS21ConstantInputIteratorIilEEPiiNSB_3SumENSB_8EqualityEiEE10hipError_tPvRmT2_T3_T4_T5_mT6_T7_P12ihipStream_tbENKUlT_T0_E_clISt17integral_constantIbLb1EESX_EEDaSS_ST_EUlSS_E_NS1_11comp_targetILNS1_3genE10ELNS1_11target_archE1200ELNS1_3gpuE4ELNS1_3repE0EEENS1_30default_config_static_selectorELNS0_4arch9wavefront6targetE0EEEvT1_,comdat
.Lfunc_end27:
	.size	_ZN7rocprim17ROCPRIM_400000_NS6detail17trampoline_kernelINS0_14default_configENS1_27scan_by_key_config_selectorIiiEEZZNS1_16scan_by_key_implILNS1_25lookback_scan_determinismE0ELb0ES3_PKiN6hipcub16HIPCUB_304000_NS21ConstantInputIteratorIilEEPiiNSB_3SumENSB_8EqualityEiEE10hipError_tPvRmT2_T3_T4_T5_mT6_T7_P12ihipStream_tbENKUlT_T0_E_clISt17integral_constantIbLb1EESX_EEDaSS_ST_EUlSS_E_NS1_11comp_targetILNS1_3genE10ELNS1_11target_archE1200ELNS1_3gpuE4ELNS1_3repE0EEENS1_30default_config_static_selectorELNS0_4arch9wavefront6targetE0EEEvT1_, .Lfunc_end27-_ZN7rocprim17ROCPRIM_400000_NS6detail17trampoline_kernelINS0_14default_configENS1_27scan_by_key_config_selectorIiiEEZZNS1_16scan_by_key_implILNS1_25lookback_scan_determinismE0ELb0ES3_PKiN6hipcub16HIPCUB_304000_NS21ConstantInputIteratorIilEEPiiNSB_3SumENSB_8EqualityEiEE10hipError_tPvRmT2_T3_T4_T5_mT6_T7_P12ihipStream_tbENKUlT_T0_E_clISt17integral_constantIbLb1EESX_EEDaSS_ST_EUlSS_E_NS1_11comp_targetILNS1_3genE10ELNS1_11target_archE1200ELNS1_3gpuE4ELNS1_3repE0EEENS1_30default_config_static_selectorELNS0_4arch9wavefront6targetE0EEEvT1_
                                        ; -- End function
	.set _ZN7rocprim17ROCPRIM_400000_NS6detail17trampoline_kernelINS0_14default_configENS1_27scan_by_key_config_selectorIiiEEZZNS1_16scan_by_key_implILNS1_25lookback_scan_determinismE0ELb0ES3_PKiN6hipcub16HIPCUB_304000_NS21ConstantInputIteratorIilEEPiiNSB_3SumENSB_8EqualityEiEE10hipError_tPvRmT2_T3_T4_T5_mT6_T7_P12ihipStream_tbENKUlT_T0_E_clISt17integral_constantIbLb1EESX_EEDaSS_ST_EUlSS_E_NS1_11comp_targetILNS1_3genE10ELNS1_11target_archE1200ELNS1_3gpuE4ELNS1_3repE0EEENS1_30default_config_static_selectorELNS0_4arch9wavefront6targetE0EEEvT1_.num_vgpr, 0
	.set _ZN7rocprim17ROCPRIM_400000_NS6detail17trampoline_kernelINS0_14default_configENS1_27scan_by_key_config_selectorIiiEEZZNS1_16scan_by_key_implILNS1_25lookback_scan_determinismE0ELb0ES3_PKiN6hipcub16HIPCUB_304000_NS21ConstantInputIteratorIilEEPiiNSB_3SumENSB_8EqualityEiEE10hipError_tPvRmT2_T3_T4_T5_mT6_T7_P12ihipStream_tbENKUlT_T0_E_clISt17integral_constantIbLb1EESX_EEDaSS_ST_EUlSS_E_NS1_11comp_targetILNS1_3genE10ELNS1_11target_archE1200ELNS1_3gpuE4ELNS1_3repE0EEENS1_30default_config_static_selectorELNS0_4arch9wavefront6targetE0EEEvT1_.num_agpr, 0
	.set _ZN7rocprim17ROCPRIM_400000_NS6detail17trampoline_kernelINS0_14default_configENS1_27scan_by_key_config_selectorIiiEEZZNS1_16scan_by_key_implILNS1_25lookback_scan_determinismE0ELb0ES3_PKiN6hipcub16HIPCUB_304000_NS21ConstantInputIteratorIilEEPiiNSB_3SumENSB_8EqualityEiEE10hipError_tPvRmT2_T3_T4_T5_mT6_T7_P12ihipStream_tbENKUlT_T0_E_clISt17integral_constantIbLb1EESX_EEDaSS_ST_EUlSS_E_NS1_11comp_targetILNS1_3genE10ELNS1_11target_archE1200ELNS1_3gpuE4ELNS1_3repE0EEENS1_30default_config_static_selectorELNS0_4arch9wavefront6targetE0EEEvT1_.numbered_sgpr, 0
	.set _ZN7rocprim17ROCPRIM_400000_NS6detail17trampoline_kernelINS0_14default_configENS1_27scan_by_key_config_selectorIiiEEZZNS1_16scan_by_key_implILNS1_25lookback_scan_determinismE0ELb0ES3_PKiN6hipcub16HIPCUB_304000_NS21ConstantInputIteratorIilEEPiiNSB_3SumENSB_8EqualityEiEE10hipError_tPvRmT2_T3_T4_T5_mT6_T7_P12ihipStream_tbENKUlT_T0_E_clISt17integral_constantIbLb1EESX_EEDaSS_ST_EUlSS_E_NS1_11comp_targetILNS1_3genE10ELNS1_11target_archE1200ELNS1_3gpuE4ELNS1_3repE0EEENS1_30default_config_static_selectorELNS0_4arch9wavefront6targetE0EEEvT1_.num_named_barrier, 0
	.set _ZN7rocprim17ROCPRIM_400000_NS6detail17trampoline_kernelINS0_14default_configENS1_27scan_by_key_config_selectorIiiEEZZNS1_16scan_by_key_implILNS1_25lookback_scan_determinismE0ELb0ES3_PKiN6hipcub16HIPCUB_304000_NS21ConstantInputIteratorIilEEPiiNSB_3SumENSB_8EqualityEiEE10hipError_tPvRmT2_T3_T4_T5_mT6_T7_P12ihipStream_tbENKUlT_T0_E_clISt17integral_constantIbLb1EESX_EEDaSS_ST_EUlSS_E_NS1_11comp_targetILNS1_3genE10ELNS1_11target_archE1200ELNS1_3gpuE4ELNS1_3repE0EEENS1_30default_config_static_selectorELNS0_4arch9wavefront6targetE0EEEvT1_.private_seg_size, 0
	.set _ZN7rocprim17ROCPRIM_400000_NS6detail17trampoline_kernelINS0_14default_configENS1_27scan_by_key_config_selectorIiiEEZZNS1_16scan_by_key_implILNS1_25lookback_scan_determinismE0ELb0ES3_PKiN6hipcub16HIPCUB_304000_NS21ConstantInputIteratorIilEEPiiNSB_3SumENSB_8EqualityEiEE10hipError_tPvRmT2_T3_T4_T5_mT6_T7_P12ihipStream_tbENKUlT_T0_E_clISt17integral_constantIbLb1EESX_EEDaSS_ST_EUlSS_E_NS1_11comp_targetILNS1_3genE10ELNS1_11target_archE1200ELNS1_3gpuE4ELNS1_3repE0EEENS1_30default_config_static_selectorELNS0_4arch9wavefront6targetE0EEEvT1_.uses_vcc, 0
	.set _ZN7rocprim17ROCPRIM_400000_NS6detail17trampoline_kernelINS0_14default_configENS1_27scan_by_key_config_selectorIiiEEZZNS1_16scan_by_key_implILNS1_25lookback_scan_determinismE0ELb0ES3_PKiN6hipcub16HIPCUB_304000_NS21ConstantInputIteratorIilEEPiiNSB_3SumENSB_8EqualityEiEE10hipError_tPvRmT2_T3_T4_T5_mT6_T7_P12ihipStream_tbENKUlT_T0_E_clISt17integral_constantIbLb1EESX_EEDaSS_ST_EUlSS_E_NS1_11comp_targetILNS1_3genE10ELNS1_11target_archE1200ELNS1_3gpuE4ELNS1_3repE0EEENS1_30default_config_static_selectorELNS0_4arch9wavefront6targetE0EEEvT1_.uses_flat_scratch, 0
	.set _ZN7rocprim17ROCPRIM_400000_NS6detail17trampoline_kernelINS0_14default_configENS1_27scan_by_key_config_selectorIiiEEZZNS1_16scan_by_key_implILNS1_25lookback_scan_determinismE0ELb0ES3_PKiN6hipcub16HIPCUB_304000_NS21ConstantInputIteratorIilEEPiiNSB_3SumENSB_8EqualityEiEE10hipError_tPvRmT2_T3_T4_T5_mT6_T7_P12ihipStream_tbENKUlT_T0_E_clISt17integral_constantIbLb1EESX_EEDaSS_ST_EUlSS_E_NS1_11comp_targetILNS1_3genE10ELNS1_11target_archE1200ELNS1_3gpuE4ELNS1_3repE0EEENS1_30default_config_static_selectorELNS0_4arch9wavefront6targetE0EEEvT1_.has_dyn_sized_stack, 0
	.set _ZN7rocprim17ROCPRIM_400000_NS6detail17trampoline_kernelINS0_14default_configENS1_27scan_by_key_config_selectorIiiEEZZNS1_16scan_by_key_implILNS1_25lookback_scan_determinismE0ELb0ES3_PKiN6hipcub16HIPCUB_304000_NS21ConstantInputIteratorIilEEPiiNSB_3SumENSB_8EqualityEiEE10hipError_tPvRmT2_T3_T4_T5_mT6_T7_P12ihipStream_tbENKUlT_T0_E_clISt17integral_constantIbLb1EESX_EEDaSS_ST_EUlSS_E_NS1_11comp_targetILNS1_3genE10ELNS1_11target_archE1200ELNS1_3gpuE4ELNS1_3repE0EEENS1_30default_config_static_selectorELNS0_4arch9wavefront6targetE0EEEvT1_.has_recursion, 0
	.set _ZN7rocprim17ROCPRIM_400000_NS6detail17trampoline_kernelINS0_14default_configENS1_27scan_by_key_config_selectorIiiEEZZNS1_16scan_by_key_implILNS1_25lookback_scan_determinismE0ELb0ES3_PKiN6hipcub16HIPCUB_304000_NS21ConstantInputIteratorIilEEPiiNSB_3SumENSB_8EqualityEiEE10hipError_tPvRmT2_T3_T4_T5_mT6_T7_P12ihipStream_tbENKUlT_T0_E_clISt17integral_constantIbLb1EESX_EEDaSS_ST_EUlSS_E_NS1_11comp_targetILNS1_3genE10ELNS1_11target_archE1200ELNS1_3gpuE4ELNS1_3repE0EEENS1_30default_config_static_selectorELNS0_4arch9wavefront6targetE0EEEvT1_.has_indirect_call, 0
	.section	.AMDGPU.csdata,"",@progbits
; Kernel info:
; codeLenInByte = 0
; TotalNumSgprs: 0
; NumVgprs: 0
; ScratchSize: 0
; MemoryBound: 0
; FloatMode: 240
; IeeeMode: 1
; LDSByteSize: 0 bytes/workgroup (compile time only)
; SGPRBlocks: 0
; VGPRBlocks: 0
; NumSGPRsForWavesPerEU: 1
; NumVGPRsForWavesPerEU: 1
; NamedBarCnt: 0
; Occupancy: 16
; WaveLimiterHint : 0
; COMPUTE_PGM_RSRC2:SCRATCH_EN: 0
; COMPUTE_PGM_RSRC2:USER_SGPR: 2
; COMPUTE_PGM_RSRC2:TRAP_HANDLER: 0
; COMPUTE_PGM_RSRC2:TGID_X_EN: 1
; COMPUTE_PGM_RSRC2:TGID_Y_EN: 0
; COMPUTE_PGM_RSRC2:TGID_Z_EN: 0
; COMPUTE_PGM_RSRC2:TIDIG_COMP_CNT: 0
	.section	.text._ZN7rocprim17ROCPRIM_400000_NS6detail17trampoline_kernelINS0_14default_configENS1_27scan_by_key_config_selectorIiiEEZZNS1_16scan_by_key_implILNS1_25lookback_scan_determinismE0ELb0ES3_PKiN6hipcub16HIPCUB_304000_NS21ConstantInputIteratorIilEEPiiNSB_3SumENSB_8EqualityEiEE10hipError_tPvRmT2_T3_T4_T5_mT6_T7_P12ihipStream_tbENKUlT_T0_E_clISt17integral_constantIbLb1EESX_EEDaSS_ST_EUlSS_E_NS1_11comp_targetILNS1_3genE9ELNS1_11target_archE1100ELNS1_3gpuE3ELNS1_3repE0EEENS1_30default_config_static_selectorELNS0_4arch9wavefront6targetE0EEEvT1_,"axG",@progbits,_ZN7rocprim17ROCPRIM_400000_NS6detail17trampoline_kernelINS0_14default_configENS1_27scan_by_key_config_selectorIiiEEZZNS1_16scan_by_key_implILNS1_25lookback_scan_determinismE0ELb0ES3_PKiN6hipcub16HIPCUB_304000_NS21ConstantInputIteratorIilEEPiiNSB_3SumENSB_8EqualityEiEE10hipError_tPvRmT2_T3_T4_T5_mT6_T7_P12ihipStream_tbENKUlT_T0_E_clISt17integral_constantIbLb1EESX_EEDaSS_ST_EUlSS_E_NS1_11comp_targetILNS1_3genE9ELNS1_11target_archE1100ELNS1_3gpuE3ELNS1_3repE0EEENS1_30default_config_static_selectorELNS0_4arch9wavefront6targetE0EEEvT1_,comdat
	.protected	_ZN7rocprim17ROCPRIM_400000_NS6detail17trampoline_kernelINS0_14default_configENS1_27scan_by_key_config_selectorIiiEEZZNS1_16scan_by_key_implILNS1_25lookback_scan_determinismE0ELb0ES3_PKiN6hipcub16HIPCUB_304000_NS21ConstantInputIteratorIilEEPiiNSB_3SumENSB_8EqualityEiEE10hipError_tPvRmT2_T3_T4_T5_mT6_T7_P12ihipStream_tbENKUlT_T0_E_clISt17integral_constantIbLb1EESX_EEDaSS_ST_EUlSS_E_NS1_11comp_targetILNS1_3genE9ELNS1_11target_archE1100ELNS1_3gpuE3ELNS1_3repE0EEENS1_30default_config_static_selectorELNS0_4arch9wavefront6targetE0EEEvT1_ ; -- Begin function _ZN7rocprim17ROCPRIM_400000_NS6detail17trampoline_kernelINS0_14default_configENS1_27scan_by_key_config_selectorIiiEEZZNS1_16scan_by_key_implILNS1_25lookback_scan_determinismE0ELb0ES3_PKiN6hipcub16HIPCUB_304000_NS21ConstantInputIteratorIilEEPiiNSB_3SumENSB_8EqualityEiEE10hipError_tPvRmT2_T3_T4_T5_mT6_T7_P12ihipStream_tbENKUlT_T0_E_clISt17integral_constantIbLb1EESX_EEDaSS_ST_EUlSS_E_NS1_11comp_targetILNS1_3genE9ELNS1_11target_archE1100ELNS1_3gpuE3ELNS1_3repE0EEENS1_30default_config_static_selectorELNS0_4arch9wavefront6targetE0EEEvT1_
	.globl	_ZN7rocprim17ROCPRIM_400000_NS6detail17trampoline_kernelINS0_14default_configENS1_27scan_by_key_config_selectorIiiEEZZNS1_16scan_by_key_implILNS1_25lookback_scan_determinismE0ELb0ES3_PKiN6hipcub16HIPCUB_304000_NS21ConstantInputIteratorIilEEPiiNSB_3SumENSB_8EqualityEiEE10hipError_tPvRmT2_T3_T4_T5_mT6_T7_P12ihipStream_tbENKUlT_T0_E_clISt17integral_constantIbLb1EESX_EEDaSS_ST_EUlSS_E_NS1_11comp_targetILNS1_3genE9ELNS1_11target_archE1100ELNS1_3gpuE3ELNS1_3repE0EEENS1_30default_config_static_selectorELNS0_4arch9wavefront6targetE0EEEvT1_
	.p2align	8
	.type	_ZN7rocprim17ROCPRIM_400000_NS6detail17trampoline_kernelINS0_14default_configENS1_27scan_by_key_config_selectorIiiEEZZNS1_16scan_by_key_implILNS1_25lookback_scan_determinismE0ELb0ES3_PKiN6hipcub16HIPCUB_304000_NS21ConstantInputIteratorIilEEPiiNSB_3SumENSB_8EqualityEiEE10hipError_tPvRmT2_T3_T4_T5_mT6_T7_P12ihipStream_tbENKUlT_T0_E_clISt17integral_constantIbLb1EESX_EEDaSS_ST_EUlSS_E_NS1_11comp_targetILNS1_3genE9ELNS1_11target_archE1100ELNS1_3gpuE3ELNS1_3repE0EEENS1_30default_config_static_selectorELNS0_4arch9wavefront6targetE0EEEvT1_,@function
_ZN7rocprim17ROCPRIM_400000_NS6detail17trampoline_kernelINS0_14default_configENS1_27scan_by_key_config_selectorIiiEEZZNS1_16scan_by_key_implILNS1_25lookback_scan_determinismE0ELb0ES3_PKiN6hipcub16HIPCUB_304000_NS21ConstantInputIteratorIilEEPiiNSB_3SumENSB_8EqualityEiEE10hipError_tPvRmT2_T3_T4_T5_mT6_T7_P12ihipStream_tbENKUlT_T0_E_clISt17integral_constantIbLb1EESX_EEDaSS_ST_EUlSS_E_NS1_11comp_targetILNS1_3genE9ELNS1_11target_archE1100ELNS1_3gpuE3ELNS1_3repE0EEENS1_30default_config_static_selectorELNS0_4arch9wavefront6targetE0EEEvT1_: ; @_ZN7rocprim17ROCPRIM_400000_NS6detail17trampoline_kernelINS0_14default_configENS1_27scan_by_key_config_selectorIiiEEZZNS1_16scan_by_key_implILNS1_25lookback_scan_determinismE0ELb0ES3_PKiN6hipcub16HIPCUB_304000_NS21ConstantInputIteratorIilEEPiiNSB_3SumENSB_8EqualityEiEE10hipError_tPvRmT2_T3_T4_T5_mT6_T7_P12ihipStream_tbENKUlT_T0_E_clISt17integral_constantIbLb1EESX_EEDaSS_ST_EUlSS_E_NS1_11comp_targetILNS1_3genE9ELNS1_11target_archE1100ELNS1_3gpuE3ELNS1_3repE0EEENS1_30default_config_static_selectorELNS0_4arch9wavefront6targetE0EEEvT1_
; %bb.0:
	.section	.rodata,"a",@progbits
	.p2align	6, 0x0
	.amdhsa_kernel _ZN7rocprim17ROCPRIM_400000_NS6detail17trampoline_kernelINS0_14default_configENS1_27scan_by_key_config_selectorIiiEEZZNS1_16scan_by_key_implILNS1_25lookback_scan_determinismE0ELb0ES3_PKiN6hipcub16HIPCUB_304000_NS21ConstantInputIteratorIilEEPiiNSB_3SumENSB_8EqualityEiEE10hipError_tPvRmT2_T3_T4_T5_mT6_T7_P12ihipStream_tbENKUlT_T0_E_clISt17integral_constantIbLb1EESX_EEDaSS_ST_EUlSS_E_NS1_11comp_targetILNS1_3genE9ELNS1_11target_archE1100ELNS1_3gpuE3ELNS1_3repE0EEENS1_30default_config_static_selectorELNS0_4arch9wavefront6targetE0EEEvT1_
		.amdhsa_group_segment_fixed_size 0
		.amdhsa_private_segment_fixed_size 0
		.amdhsa_kernarg_size 120
		.amdhsa_user_sgpr_count 2
		.amdhsa_user_sgpr_dispatch_ptr 0
		.amdhsa_user_sgpr_queue_ptr 0
		.amdhsa_user_sgpr_kernarg_segment_ptr 1
		.amdhsa_user_sgpr_dispatch_id 0
		.amdhsa_user_sgpr_kernarg_preload_length 0
		.amdhsa_user_sgpr_kernarg_preload_offset 0
		.amdhsa_user_sgpr_private_segment_size 0
		.amdhsa_wavefront_size32 1
		.amdhsa_uses_dynamic_stack 0
		.amdhsa_enable_private_segment 0
		.amdhsa_system_sgpr_workgroup_id_x 1
		.amdhsa_system_sgpr_workgroup_id_y 0
		.amdhsa_system_sgpr_workgroup_id_z 0
		.amdhsa_system_sgpr_workgroup_info 0
		.amdhsa_system_vgpr_workitem_id 0
		.amdhsa_next_free_vgpr 1
		.amdhsa_next_free_sgpr 1
		.amdhsa_named_barrier_count 0
		.amdhsa_reserve_vcc 0
		.amdhsa_float_round_mode_32 0
		.amdhsa_float_round_mode_16_64 0
		.amdhsa_float_denorm_mode_32 3
		.amdhsa_float_denorm_mode_16_64 3
		.amdhsa_fp16_overflow 0
		.amdhsa_memory_ordered 1
		.amdhsa_forward_progress 1
		.amdhsa_inst_pref_size 0
		.amdhsa_round_robin_scheduling 0
		.amdhsa_exception_fp_ieee_invalid_op 0
		.amdhsa_exception_fp_denorm_src 0
		.amdhsa_exception_fp_ieee_div_zero 0
		.amdhsa_exception_fp_ieee_overflow 0
		.amdhsa_exception_fp_ieee_underflow 0
		.amdhsa_exception_fp_ieee_inexact 0
		.amdhsa_exception_int_div_zero 0
	.end_amdhsa_kernel
	.section	.text._ZN7rocprim17ROCPRIM_400000_NS6detail17trampoline_kernelINS0_14default_configENS1_27scan_by_key_config_selectorIiiEEZZNS1_16scan_by_key_implILNS1_25lookback_scan_determinismE0ELb0ES3_PKiN6hipcub16HIPCUB_304000_NS21ConstantInputIteratorIilEEPiiNSB_3SumENSB_8EqualityEiEE10hipError_tPvRmT2_T3_T4_T5_mT6_T7_P12ihipStream_tbENKUlT_T0_E_clISt17integral_constantIbLb1EESX_EEDaSS_ST_EUlSS_E_NS1_11comp_targetILNS1_3genE9ELNS1_11target_archE1100ELNS1_3gpuE3ELNS1_3repE0EEENS1_30default_config_static_selectorELNS0_4arch9wavefront6targetE0EEEvT1_,"axG",@progbits,_ZN7rocprim17ROCPRIM_400000_NS6detail17trampoline_kernelINS0_14default_configENS1_27scan_by_key_config_selectorIiiEEZZNS1_16scan_by_key_implILNS1_25lookback_scan_determinismE0ELb0ES3_PKiN6hipcub16HIPCUB_304000_NS21ConstantInputIteratorIilEEPiiNSB_3SumENSB_8EqualityEiEE10hipError_tPvRmT2_T3_T4_T5_mT6_T7_P12ihipStream_tbENKUlT_T0_E_clISt17integral_constantIbLb1EESX_EEDaSS_ST_EUlSS_E_NS1_11comp_targetILNS1_3genE9ELNS1_11target_archE1100ELNS1_3gpuE3ELNS1_3repE0EEENS1_30default_config_static_selectorELNS0_4arch9wavefront6targetE0EEEvT1_,comdat
.Lfunc_end28:
	.size	_ZN7rocprim17ROCPRIM_400000_NS6detail17trampoline_kernelINS0_14default_configENS1_27scan_by_key_config_selectorIiiEEZZNS1_16scan_by_key_implILNS1_25lookback_scan_determinismE0ELb0ES3_PKiN6hipcub16HIPCUB_304000_NS21ConstantInputIteratorIilEEPiiNSB_3SumENSB_8EqualityEiEE10hipError_tPvRmT2_T3_T4_T5_mT6_T7_P12ihipStream_tbENKUlT_T0_E_clISt17integral_constantIbLb1EESX_EEDaSS_ST_EUlSS_E_NS1_11comp_targetILNS1_3genE9ELNS1_11target_archE1100ELNS1_3gpuE3ELNS1_3repE0EEENS1_30default_config_static_selectorELNS0_4arch9wavefront6targetE0EEEvT1_, .Lfunc_end28-_ZN7rocprim17ROCPRIM_400000_NS6detail17trampoline_kernelINS0_14default_configENS1_27scan_by_key_config_selectorIiiEEZZNS1_16scan_by_key_implILNS1_25lookback_scan_determinismE0ELb0ES3_PKiN6hipcub16HIPCUB_304000_NS21ConstantInputIteratorIilEEPiiNSB_3SumENSB_8EqualityEiEE10hipError_tPvRmT2_T3_T4_T5_mT6_T7_P12ihipStream_tbENKUlT_T0_E_clISt17integral_constantIbLb1EESX_EEDaSS_ST_EUlSS_E_NS1_11comp_targetILNS1_3genE9ELNS1_11target_archE1100ELNS1_3gpuE3ELNS1_3repE0EEENS1_30default_config_static_selectorELNS0_4arch9wavefront6targetE0EEEvT1_
                                        ; -- End function
	.set _ZN7rocprim17ROCPRIM_400000_NS6detail17trampoline_kernelINS0_14default_configENS1_27scan_by_key_config_selectorIiiEEZZNS1_16scan_by_key_implILNS1_25lookback_scan_determinismE0ELb0ES3_PKiN6hipcub16HIPCUB_304000_NS21ConstantInputIteratorIilEEPiiNSB_3SumENSB_8EqualityEiEE10hipError_tPvRmT2_T3_T4_T5_mT6_T7_P12ihipStream_tbENKUlT_T0_E_clISt17integral_constantIbLb1EESX_EEDaSS_ST_EUlSS_E_NS1_11comp_targetILNS1_3genE9ELNS1_11target_archE1100ELNS1_3gpuE3ELNS1_3repE0EEENS1_30default_config_static_selectorELNS0_4arch9wavefront6targetE0EEEvT1_.num_vgpr, 0
	.set _ZN7rocprim17ROCPRIM_400000_NS6detail17trampoline_kernelINS0_14default_configENS1_27scan_by_key_config_selectorIiiEEZZNS1_16scan_by_key_implILNS1_25lookback_scan_determinismE0ELb0ES3_PKiN6hipcub16HIPCUB_304000_NS21ConstantInputIteratorIilEEPiiNSB_3SumENSB_8EqualityEiEE10hipError_tPvRmT2_T3_T4_T5_mT6_T7_P12ihipStream_tbENKUlT_T0_E_clISt17integral_constantIbLb1EESX_EEDaSS_ST_EUlSS_E_NS1_11comp_targetILNS1_3genE9ELNS1_11target_archE1100ELNS1_3gpuE3ELNS1_3repE0EEENS1_30default_config_static_selectorELNS0_4arch9wavefront6targetE0EEEvT1_.num_agpr, 0
	.set _ZN7rocprim17ROCPRIM_400000_NS6detail17trampoline_kernelINS0_14default_configENS1_27scan_by_key_config_selectorIiiEEZZNS1_16scan_by_key_implILNS1_25lookback_scan_determinismE0ELb0ES3_PKiN6hipcub16HIPCUB_304000_NS21ConstantInputIteratorIilEEPiiNSB_3SumENSB_8EqualityEiEE10hipError_tPvRmT2_T3_T4_T5_mT6_T7_P12ihipStream_tbENKUlT_T0_E_clISt17integral_constantIbLb1EESX_EEDaSS_ST_EUlSS_E_NS1_11comp_targetILNS1_3genE9ELNS1_11target_archE1100ELNS1_3gpuE3ELNS1_3repE0EEENS1_30default_config_static_selectorELNS0_4arch9wavefront6targetE0EEEvT1_.numbered_sgpr, 0
	.set _ZN7rocprim17ROCPRIM_400000_NS6detail17trampoline_kernelINS0_14default_configENS1_27scan_by_key_config_selectorIiiEEZZNS1_16scan_by_key_implILNS1_25lookback_scan_determinismE0ELb0ES3_PKiN6hipcub16HIPCUB_304000_NS21ConstantInputIteratorIilEEPiiNSB_3SumENSB_8EqualityEiEE10hipError_tPvRmT2_T3_T4_T5_mT6_T7_P12ihipStream_tbENKUlT_T0_E_clISt17integral_constantIbLb1EESX_EEDaSS_ST_EUlSS_E_NS1_11comp_targetILNS1_3genE9ELNS1_11target_archE1100ELNS1_3gpuE3ELNS1_3repE0EEENS1_30default_config_static_selectorELNS0_4arch9wavefront6targetE0EEEvT1_.num_named_barrier, 0
	.set _ZN7rocprim17ROCPRIM_400000_NS6detail17trampoline_kernelINS0_14default_configENS1_27scan_by_key_config_selectorIiiEEZZNS1_16scan_by_key_implILNS1_25lookback_scan_determinismE0ELb0ES3_PKiN6hipcub16HIPCUB_304000_NS21ConstantInputIteratorIilEEPiiNSB_3SumENSB_8EqualityEiEE10hipError_tPvRmT2_T3_T4_T5_mT6_T7_P12ihipStream_tbENKUlT_T0_E_clISt17integral_constantIbLb1EESX_EEDaSS_ST_EUlSS_E_NS1_11comp_targetILNS1_3genE9ELNS1_11target_archE1100ELNS1_3gpuE3ELNS1_3repE0EEENS1_30default_config_static_selectorELNS0_4arch9wavefront6targetE0EEEvT1_.private_seg_size, 0
	.set _ZN7rocprim17ROCPRIM_400000_NS6detail17trampoline_kernelINS0_14default_configENS1_27scan_by_key_config_selectorIiiEEZZNS1_16scan_by_key_implILNS1_25lookback_scan_determinismE0ELb0ES3_PKiN6hipcub16HIPCUB_304000_NS21ConstantInputIteratorIilEEPiiNSB_3SumENSB_8EqualityEiEE10hipError_tPvRmT2_T3_T4_T5_mT6_T7_P12ihipStream_tbENKUlT_T0_E_clISt17integral_constantIbLb1EESX_EEDaSS_ST_EUlSS_E_NS1_11comp_targetILNS1_3genE9ELNS1_11target_archE1100ELNS1_3gpuE3ELNS1_3repE0EEENS1_30default_config_static_selectorELNS0_4arch9wavefront6targetE0EEEvT1_.uses_vcc, 0
	.set _ZN7rocprim17ROCPRIM_400000_NS6detail17trampoline_kernelINS0_14default_configENS1_27scan_by_key_config_selectorIiiEEZZNS1_16scan_by_key_implILNS1_25lookback_scan_determinismE0ELb0ES3_PKiN6hipcub16HIPCUB_304000_NS21ConstantInputIteratorIilEEPiiNSB_3SumENSB_8EqualityEiEE10hipError_tPvRmT2_T3_T4_T5_mT6_T7_P12ihipStream_tbENKUlT_T0_E_clISt17integral_constantIbLb1EESX_EEDaSS_ST_EUlSS_E_NS1_11comp_targetILNS1_3genE9ELNS1_11target_archE1100ELNS1_3gpuE3ELNS1_3repE0EEENS1_30default_config_static_selectorELNS0_4arch9wavefront6targetE0EEEvT1_.uses_flat_scratch, 0
	.set _ZN7rocprim17ROCPRIM_400000_NS6detail17trampoline_kernelINS0_14default_configENS1_27scan_by_key_config_selectorIiiEEZZNS1_16scan_by_key_implILNS1_25lookback_scan_determinismE0ELb0ES3_PKiN6hipcub16HIPCUB_304000_NS21ConstantInputIteratorIilEEPiiNSB_3SumENSB_8EqualityEiEE10hipError_tPvRmT2_T3_T4_T5_mT6_T7_P12ihipStream_tbENKUlT_T0_E_clISt17integral_constantIbLb1EESX_EEDaSS_ST_EUlSS_E_NS1_11comp_targetILNS1_3genE9ELNS1_11target_archE1100ELNS1_3gpuE3ELNS1_3repE0EEENS1_30default_config_static_selectorELNS0_4arch9wavefront6targetE0EEEvT1_.has_dyn_sized_stack, 0
	.set _ZN7rocprim17ROCPRIM_400000_NS6detail17trampoline_kernelINS0_14default_configENS1_27scan_by_key_config_selectorIiiEEZZNS1_16scan_by_key_implILNS1_25lookback_scan_determinismE0ELb0ES3_PKiN6hipcub16HIPCUB_304000_NS21ConstantInputIteratorIilEEPiiNSB_3SumENSB_8EqualityEiEE10hipError_tPvRmT2_T3_T4_T5_mT6_T7_P12ihipStream_tbENKUlT_T0_E_clISt17integral_constantIbLb1EESX_EEDaSS_ST_EUlSS_E_NS1_11comp_targetILNS1_3genE9ELNS1_11target_archE1100ELNS1_3gpuE3ELNS1_3repE0EEENS1_30default_config_static_selectorELNS0_4arch9wavefront6targetE0EEEvT1_.has_recursion, 0
	.set _ZN7rocprim17ROCPRIM_400000_NS6detail17trampoline_kernelINS0_14default_configENS1_27scan_by_key_config_selectorIiiEEZZNS1_16scan_by_key_implILNS1_25lookback_scan_determinismE0ELb0ES3_PKiN6hipcub16HIPCUB_304000_NS21ConstantInputIteratorIilEEPiiNSB_3SumENSB_8EqualityEiEE10hipError_tPvRmT2_T3_T4_T5_mT6_T7_P12ihipStream_tbENKUlT_T0_E_clISt17integral_constantIbLb1EESX_EEDaSS_ST_EUlSS_E_NS1_11comp_targetILNS1_3genE9ELNS1_11target_archE1100ELNS1_3gpuE3ELNS1_3repE0EEENS1_30default_config_static_selectorELNS0_4arch9wavefront6targetE0EEEvT1_.has_indirect_call, 0
	.section	.AMDGPU.csdata,"",@progbits
; Kernel info:
; codeLenInByte = 0
; TotalNumSgprs: 0
; NumVgprs: 0
; ScratchSize: 0
; MemoryBound: 0
; FloatMode: 240
; IeeeMode: 1
; LDSByteSize: 0 bytes/workgroup (compile time only)
; SGPRBlocks: 0
; VGPRBlocks: 0
; NumSGPRsForWavesPerEU: 1
; NumVGPRsForWavesPerEU: 1
; NamedBarCnt: 0
; Occupancy: 16
; WaveLimiterHint : 0
; COMPUTE_PGM_RSRC2:SCRATCH_EN: 0
; COMPUTE_PGM_RSRC2:USER_SGPR: 2
; COMPUTE_PGM_RSRC2:TRAP_HANDLER: 0
; COMPUTE_PGM_RSRC2:TGID_X_EN: 1
; COMPUTE_PGM_RSRC2:TGID_Y_EN: 0
; COMPUTE_PGM_RSRC2:TGID_Z_EN: 0
; COMPUTE_PGM_RSRC2:TIDIG_COMP_CNT: 0
	.section	.text._ZN7rocprim17ROCPRIM_400000_NS6detail17trampoline_kernelINS0_14default_configENS1_27scan_by_key_config_selectorIiiEEZZNS1_16scan_by_key_implILNS1_25lookback_scan_determinismE0ELb0ES3_PKiN6hipcub16HIPCUB_304000_NS21ConstantInputIteratorIilEEPiiNSB_3SumENSB_8EqualityEiEE10hipError_tPvRmT2_T3_T4_T5_mT6_T7_P12ihipStream_tbENKUlT_T0_E_clISt17integral_constantIbLb1EESX_EEDaSS_ST_EUlSS_E_NS1_11comp_targetILNS1_3genE8ELNS1_11target_archE1030ELNS1_3gpuE2ELNS1_3repE0EEENS1_30default_config_static_selectorELNS0_4arch9wavefront6targetE0EEEvT1_,"axG",@progbits,_ZN7rocprim17ROCPRIM_400000_NS6detail17trampoline_kernelINS0_14default_configENS1_27scan_by_key_config_selectorIiiEEZZNS1_16scan_by_key_implILNS1_25lookback_scan_determinismE0ELb0ES3_PKiN6hipcub16HIPCUB_304000_NS21ConstantInputIteratorIilEEPiiNSB_3SumENSB_8EqualityEiEE10hipError_tPvRmT2_T3_T4_T5_mT6_T7_P12ihipStream_tbENKUlT_T0_E_clISt17integral_constantIbLb1EESX_EEDaSS_ST_EUlSS_E_NS1_11comp_targetILNS1_3genE8ELNS1_11target_archE1030ELNS1_3gpuE2ELNS1_3repE0EEENS1_30default_config_static_selectorELNS0_4arch9wavefront6targetE0EEEvT1_,comdat
	.protected	_ZN7rocprim17ROCPRIM_400000_NS6detail17trampoline_kernelINS0_14default_configENS1_27scan_by_key_config_selectorIiiEEZZNS1_16scan_by_key_implILNS1_25lookback_scan_determinismE0ELb0ES3_PKiN6hipcub16HIPCUB_304000_NS21ConstantInputIteratorIilEEPiiNSB_3SumENSB_8EqualityEiEE10hipError_tPvRmT2_T3_T4_T5_mT6_T7_P12ihipStream_tbENKUlT_T0_E_clISt17integral_constantIbLb1EESX_EEDaSS_ST_EUlSS_E_NS1_11comp_targetILNS1_3genE8ELNS1_11target_archE1030ELNS1_3gpuE2ELNS1_3repE0EEENS1_30default_config_static_selectorELNS0_4arch9wavefront6targetE0EEEvT1_ ; -- Begin function _ZN7rocprim17ROCPRIM_400000_NS6detail17trampoline_kernelINS0_14default_configENS1_27scan_by_key_config_selectorIiiEEZZNS1_16scan_by_key_implILNS1_25lookback_scan_determinismE0ELb0ES3_PKiN6hipcub16HIPCUB_304000_NS21ConstantInputIteratorIilEEPiiNSB_3SumENSB_8EqualityEiEE10hipError_tPvRmT2_T3_T4_T5_mT6_T7_P12ihipStream_tbENKUlT_T0_E_clISt17integral_constantIbLb1EESX_EEDaSS_ST_EUlSS_E_NS1_11comp_targetILNS1_3genE8ELNS1_11target_archE1030ELNS1_3gpuE2ELNS1_3repE0EEENS1_30default_config_static_selectorELNS0_4arch9wavefront6targetE0EEEvT1_
	.globl	_ZN7rocprim17ROCPRIM_400000_NS6detail17trampoline_kernelINS0_14default_configENS1_27scan_by_key_config_selectorIiiEEZZNS1_16scan_by_key_implILNS1_25lookback_scan_determinismE0ELb0ES3_PKiN6hipcub16HIPCUB_304000_NS21ConstantInputIteratorIilEEPiiNSB_3SumENSB_8EqualityEiEE10hipError_tPvRmT2_T3_T4_T5_mT6_T7_P12ihipStream_tbENKUlT_T0_E_clISt17integral_constantIbLb1EESX_EEDaSS_ST_EUlSS_E_NS1_11comp_targetILNS1_3genE8ELNS1_11target_archE1030ELNS1_3gpuE2ELNS1_3repE0EEENS1_30default_config_static_selectorELNS0_4arch9wavefront6targetE0EEEvT1_
	.p2align	8
	.type	_ZN7rocprim17ROCPRIM_400000_NS6detail17trampoline_kernelINS0_14default_configENS1_27scan_by_key_config_selectorIiiEEZZNS1_16scan_by_key_implILNS1_25lookback_scan_determinismE0ELb0ES3_PKiN6hipcub16HIPCUB_304000_NS21ConstantInputIteratorIilEEPiiNSB_3SumENSB_8EqualityEiEE10hipError_tPvRmT2_T3_T4_T5_mT6_T7_P12ihipStream_tbENKUlT_T0_E_clISt17integral_constantIbLb1EESX_EEDaSS_ST_EUlSS_E_NS1_11comp_targetILNS1_3genE8ELNS1_11target_archE1030ELNS1_3gpuE2ELNS1_3repE0EEENS1_30default_config_static_selectorELNS0_4arch9wavefront6targetE0EEEvT1_,@function
_ZN7rocprim17ROCPRIM_400000_NS6detail17trampoline_kernelINS0_14default_configENS1_27scan_by_key_config_selectorIiiEEZZNS1_16scan_by_key_implILNS1_25lookback_scan_determinismE0ELb0ES3_PKiN6hipcub16HIPCUB_304000_NS21ConstantInputIteratorIilEEPiiNSB_3SumENSB_8EqualityEiEE10hipError_tPvRmT2_T3_T4_T5_mT6_T7_P12ihipStream_tbENKUlT_T0_E_clISt17integral_constantIbLb1EESX_EEDaSS_ST_EUlSS_E_NS1_11comp_targetILNS1_3genE8ELNS1_11target_archE1030ELNS1_3gpuE2ELNS1_3repE0EEENS1_30default_config_static_selectorELNS0_4arch9wavefront6targetE0EEEvT1_: ; @_ZN7rocprim17ROCPRIM_400000_NS6detail17trampoline_kernelINS0_14default_configENS1_27scan_by_key_config_selectorIiiEEZZNS1_16scan_by_key_implILNS1_25lookback_scan_determinismE0ELb0ES3_PKiN6hipcub16HIPCUB_304000_NS21ConstantInputIteratorIilEEPiiNSB_3SumENSB_8EqualityEiEE10hipError_tPvRmT2_T3_T4_T5_mT6_T7_P12ihipStream_tbENKUlT_T0_E_clISt17integral_constantIbLb1EESX_EEDaSS_ST_EUlSS_E_NS1_11comp_targetILNS1_3genE8ELNS1_11target_archE1030ELNS1_3gpuE2ELNS1_3repE0EEENS1_30default_config_static_selectorELNS0_4arch9wavefront6targetE0EEEvT1_
; %bb.0:
	.section	.rodata,"a",@progbits
	.p2align	6, 0x0
	.amdhsa_kernel _ZN7rocprim17ROCPRIM_400000_NS6detail17trampoline_kernelINS0_14default_configENS1_27scan_by_key_config_selectorIiiEEZZNS1_16scan_by_key_implILNS1_25lookback_scan_determinismE0ELb0ES3_PKiN6hipcub16HIPCUB_304000_NS21ConstantInputIteratorIilEEPiiNSB_3SumENSB_8EqualityEiEE10hipError_tPvRmT2_T3_T4_T5_mT6_T7_P12ihipStream_tbENKUlT_T0_E_clISt17integral_constantIbLb1EESX_EEDaSS_ST_EUlSS_E_NS1_11comp_targetILNS1_3genE8ELNS1_11target_archE1030ELNS1_3gpuE2ELNS1_3repE0EEENS1_30default_config_static_selectorELNS0_4arch9wavefront6targetE0EEEvT1_
		.amdhsa_group_segment_fixed_size 0
		.amdhsa_private_segment_fixed_size 0
		.amdhsa_kernarg_size 120
		.amdhsa_user_sgpr_count 2
		.amdhsa_user_sgpr_dispatch_ptr 0
		.amdhsa_user_sgpr_queue_ptr 0
		.amdhsa_user_sgpr_kernarg_segment_ptr 1
		.amdhsa_user_sgpr_dispatch_id 0
		.amdhsa_user_sgpr_kernarg_preload_length 0
		.amdhsa_user_sgpr_kernarg_preload_offset 0
		.amdhsa_user_sgpr_private_segment_size 0
		.amdhsa_wavefront_size32 1
		.amdhsa_uses_dynamic_stack 0
		.amdhsa_enable_private_segment 0
		.amdhsa_system_sgpr_workgroup_id_x 1
		.amdhsa_system_sgpr_workgroup_id_y 0
		.amdhsa_system_sgpr_workgroup_id_z 0
		.amdhsa_system_sgpr_workgroup_info 0
		.amdhsa_system_vgpr_workitem_id 0
		.amdhsa_next_free_vgpr 1
		.amdhsa_next_free_sgpr 1
		.amdhsa_named_barrier_count 0
		.amdhsa_reserve_vcc 0
		.amdhsa_float_round_mode_32 0
		.amdhsa_float_round_mode_16_64 0
		.amdhsa_float_denorm_mode_32 3
		.amdhsa_float_denorm_mode_16_64 3
		.amdhsa_fp16_overflow 0
		.amdhsa_memory_ordered 1
		.amdhsa_forward_progress 1
		.amdhsa_inst_pref_size 0
		.amdhsa_round_robin_scheduling 0
		.amdhsa_exception_fp_ieee_invalid_op 0
		.amdhsa_exception_fp_denorm_src 0
		.amdhsa_exception_fp_ieee_div_zero 0
		.amdhsa_exception_fp_ieee_overflow 0
		.amdhsa_exception_fp_ieee_underflow 0
		.amdhsa_exception_fp_ieee_inexact 0
		.amdhsa_exception_int_div_zero 0
	.end_amdhsa_kernel
	.section	.text._ZN7rocprim17ROCPRIM_400000_NS6detail17trampoline_kernelINS0_14default_configENS1_27scan_by_key_config_selectorIiiEEZZNS1_16scan_by_key_implILNS1_25lookback_scan_determinismE0ELb0ES3_PKiN6hipcub16HIPCUB_304000_NS21ConstantInputIteratorIilEEPiiNSB_3SumENSB_8EqualityEiEE10hipError_tPvRmT2_T3_T4_T5_mT6_T7_P12ihipStream_tbENKUlT_T0_E_clISt17integral_constantIbLb1EESX_EEDaSS_ST_EUlSS_E_NS1_11comp_targetILNS1_3genE8ELNS1_11target_archE1030ELNS1_3gpuE2ELNS1_3repE0EEENS1_30default_config_static_selectorELNS0_4arch9wavefront6targetE0EEEvT1_,"axG",@progbits,_ZN7rocprim17ROCPRIM_400000_NS6detail17trampoline_kernelINS0_14default_configENS1_27scan_by_key_config_selectorIiiEEZZNS1_16scan_by_key_implILNS1_25lookback_scan_determinismE0ELb0ES3_PKiN6hipcub16HIPCUB_304000_NS21ConstantInputIteratorIilEEPiiNSB_3SumENSB_8EqualityEiEE10hipError_tPvRmT2_T3_T4_T5_mT6_T7_P12ihipStream_tbENKUlT_T0_E_clISt17integral_constantIbLb1EESX_EEDaSS_ST_EUlSS_E_NS1_11comp_targetILNS1_3genE8ELNS1_11target_archE1030ELNS1_3gpuE2ELNS1_3repE0EEENS1_30default_config_static_selectorELNS0_4arch9wavefront6targetE0EEEvT1_,comdat
.Lfunc_end29:
	.size	_ZN7rocprim17ROCPRIM_400000_NS6detail17trampoline_kernelINS0_14default_configENS1_27scan_by_key_config_selectorIiiEEZZNS1_16scan_by_key_implILNS1_25lookback_scan_determinismE0ELb0ES3_PKiN6hipcub16HIPCUB_304000_NS21ConstantInputIteratorIilEEPiiNSB_3SumENSB_8EqualityEiEE10hipError_tPvRmT2_T3_T4_T5_mT6_T7_P12ihipStream_tbENKUlT_T0_E_clISt17integral_constantIbLb1EESX_EEDaSS_ST_EUlSS_E_NS1_11comp_targetILNS1_3genE8ELNS1_11target_archE1030ELNS1_3gpuE2ELNS1_3repE0EEENS1_30default_config_static_selectorELNS0_4arch9wavefront6targetE0EEEvT1_, .Lfunc_end29-_ZN7rocprim17ROCPRIM_400000_NS6detail17trampoline_kernelINS0_14default_configENS1_27scan_by_key_config_selectorIiiEEZZNS1_16scan_by_key_implILNS1_25lookback_scan_determinismE0ELb0ES3_PKiN6hipcub16HIPCUB_304000_NS21ConstantInputIteratorIilEEPiiNSB_3SumENSB_8EqualityEiEE10hipError_tPvRmT2_T3_T4_T5_mT6_T7_P12ihipStream_tbENKUlT_T0_E_clISt17integral_constantIbLb1EESX_EEDaSS_ST_EUlSS_E_NS1_11comp_targetILNS1_3genE8ELNS1_11target_archE1030ELNS1_3gpuE2ELNS1_3repE0EEENS1_30default_config_static_selectorELNS0_4arch9wavefront6targetE0EEEvT1_
                                        ; -- End function
	.set _ZN7rocprim17ROCPRIM_400000_NS6detail17trampoline_kernelINS0_14default_configENS1_27scan_by_key_config_selectorIiiEEZZNS1_16scan_by_key_implILNS1_25lookback_scan_determinismE0ELb0ES3_PKiN6hipcub16HIPCUB_304000_NS21ConstantInputIteratorIilEEPiiNSB_3SumENSB_8EqualityEiEE10hipError_tPvRmT2_T3_T4_T5_mT6_T7_P12ihipStream_tbENKUlT_T0_E_clISt17integral_constantIbLb1EESX_EEDaSS_ST_EUlSS_E_NS1_11comp_targetILNS1_3genE8ELNS1_11target_archE1030ELNS1_3gpuE2ELNS1_3repE0EEENS1_30default_config_static_selectorELNS0_4arch9wavefront6targetE0EEEvT1_.num_vgpr, 0
	.set _ZN7rocprim17ROCPRIM_400000_NS6detail17trampoline_kernelINS0_14default_configENS1_27scan_by_key_config_selectorIiiEEZZNS1_16scan_by_key_implILNS1_25lookback_scan_determinismE0ELb0ES3_PKiN6hipcub16HIPCUB_304000_NS21ConstantInputIteratorIilEEPiiNSB_3SumENSB_8EqualityEiEE10hipError_tPvRmT2_T3_T4_T5_mT6_T7_P12ihipStream_tbENKUlT_T0_E_clISt17integral_constantIbLb1EESX_EEDaSS_ST_EUlSS_E_NS1_11comp_targetILNS1_3genE8ELNS1_11target_archE1030ELNS1_3gpuE2ELNS1_3repE0EEENS1_30default_config_static_selectorELNS0_4arch9wavefront6targetE0EEEvT1_.num_agpr, 0
	.set _ZN7rocprim17ROCPRIM_400000_NS6detail17trampoline_kernelINS0_14default_configENS1_27scan_by_key_config_selectorIiiEEZZNS1_16scan_by_key_implILNS1_25lookback_scan_determinismE0ELb0ES3_PKiN6hipcub16HIPCUB_304000_NS21ConstantInputIteratorIilEEPiiNSB_3SumENSB_8EqualityEiEE10hipError_tPvRmT2_T3_T4_T5_mT6_T7_P12ihipStream_tbENKUlT_T0_E_clISt17integral_constantIbLb1EESX_EEDaSS_ST_EUlSS_E_NS1_11comp_targetILNS1_3genE8ELNS1_11target_archE1030ELNS1_3gpuE2ELNS1_3repE0EEENS1_30default_config_static_selectorELNS0_4arch9wavefront6targetE0EEEvT1_.numbered_sgpr, 0
	.set _ZN7rocprim17ROCPRIM_400000_NS6detail17trampoline_kernelINS0_14default_configENS1_27scan_by_key_config_selectorIiiEEZZNS1_16scan_by_key_implILNS1_25lookback_scan_determinismE0ELb0ES3_PKiN6hipcub16HIPCUB_304000_NS21ConstantInputIteratorIilEEPiiNSB_3SumENSB_8EqualityEiEE10hipError_tPvRmT2_T3_T4_T5_mT6_T7_P12ihipStream_tbENKUlT_T0_E_clISt17integral_constantIbLb1EESX_EEDaSS_ST_EUlSS_E_NS1_11comp_targetILNS1_3genE8ELNS1_11target_archE1030ELNS1_3gpuE2ELNS1_3repE0EEENS1_30default_config_static_selectorELNS0_4arch9wavefront6targetE0EEEvT1_.num_named_barrier, 0
	.set _ZN7rocprim17ROCPRIM_400000_NS6detail17trampoline_kernelINS0_14default_configENS1_27scan_by_key_config_selectorIiiEEZZNS1_16scan_by_key_implILNS1_25lookback_scan_determinismE0ELb0ES3_PKiN6hipcub16HIPCUB_304000_NS21ConstantInputIteratorIilEEPiiNSB_3SumENSB_8EqualityEiEE10hipError_tPvRmT2_T3_T4_T5_mT6_T7_P12ihipStream_tbENKUlT_T0_E_clISt17integral_constantIbLb1EESX_EEDaSS_ST_EUlSS_E_NS1_11comp_targetILNS1_3genE8ELNS1_11target_archE1030ELNS1_3gpuE2ELNS1_3repE0EEENS1_30default_config_static_selectorELNS0_4arch9wavefront6targetE0EEEvT1_.private_seg_size, 0
	.set _ZN7rocprim17ROCPRIM_400000_NS6detail17trampoline_kernelINS0_14default_configENS1_27scan_by_key_config_selectorIiiEEZZNS1_16scan_by_key_implILNS1_25lookback_scan_determinismE0ELb0ES3_PKiN6hipcub16HIPCUB_304000_NS21ConstantInputIteratorIilEEPiiNSB_3SumENSB_8EqualityEiEE10hipError_tPvRmT2_T3_T4_T5_mT6_T7_P12ihipStream_tbENKUlT_T0_E_clISt17integral_constantIbLb1EESX_EEDaSS_ST_EUlSS_E_NS1_11comp_targetILNS1_3genE8ELNS1_11target_archE1030ELNS1_3gpuE2ELNS1_3repE0EEENS1_30default_config_static_selectorELNS0_4arch9wavefront6targetE0EEEvT1_.uses_vcc, 0
	.set _ZN7rocprim17ROCPRIM_400000_NS6detail17trampoline_kernelINS0_14default_configENS1_27scan_by_key_config_selectorIiiEEZZNS1_16scan_by_key_implILNS1_25lookback_scan_determinismE0ELb0ES3_PKiN6hipcub16HIPCUB_304000_NS21ConstantInputIteratorIilEEPiiNSB_3SumENSB_8EqualityEiEE10hipError_tPvRmT2_T3_T4_T5_mT6_T7_P12ihipStream_tbENKUlT_T0_E_clISt17integral_constantIbLb1EESX_EEDaSS_ST_EUlSS_E_NS1_11comp_targetILNS1_3genE8ELNS1_11target_archE1030ELNS1_3gpuE2ELNS1_3repE0EEENS1_30default_config_static_selectorELNS0_4arch9wavefront6targetE0EEEvT1_.uses_flat_scratch, 0
	.set _ZN7rocprim17ROCPRIM_400000_NS6detail17trampoline_kernelINS0_14default_configENS1_27scan_by_key_config_selectorIiiEEZZNS1_16scan_by_key_implILNS1_25lookback_scan_determinismE0ELb0ES3_PKiN6hipcub16HIPCUB_304000_NS21ConstantInputIteratorIilEEPiiNSB_3SumENSB_8EqualityEiEE10hipError_tPvRmT2_T3_T4_T5_mT6_T7_P12ihipStream_tbENKUlT_T0_E_clISt17integral_constantIbLb1EESX_EEDaSS_ST_EUlSS_E_NS1_11comp_targetILNS1_3genE8ELNS1_11target_archE1030ELNS1_3gpuE2ELNS1_3repE0EEENS1_30default_config_static_selectorELNS0_4arch9wavefront6targetE0EEEvT1_.has_dyn_sized_stack, 0
	.set _ZN7rocprim17ROCPRIM_400000_NS6detail17trampoline_kernelINS0_14default_configENS1_27scan_by_key_config_selectorIiiEEZZNS1_16scan_by_key_implILNS1_25lookback_scan_determinismE0ELb0ES3_PKiN6hipcub16HIPCUB_304000_NS21ConstantInputIteratorIilEEPiiNSB_3SumENSB_8EqualityEiEE10hipError_tPvRmT2_T3_T4_T5_mT6_T7_P12ihipStream_tbENKUlT_T0_E_clISt17integral_constantIbLb1EESX_EEDaSS_ST_EUlSS_E_NS1_11comp_targetILNS1_3genE8ELNS1_11target_archE1030ELNS1_3gpuE2ELNS1_3repE0EEENS1_30default_config_static_selectorELNS0_4arch9wavefront6targetE0EEEvT1_.has_recursion, 0
	.set _ZN7rocprim17ROCPRIM_400000_NS6detail17trampoline_kernelINS0_14default_configENS1_27scan_by_key_config_selectorIiiEEZZNS1_16scan_by_key_implILNS1_25lookback_scan_determinismE0ELb0ES3_PKiN6hipcub16HIPCUB_304000_NS21ConstantInputIteratorIilEEPiiNSB_3SumENSB_8EqualityEiEE10hipError_tPvRmT2_T3_T4_T5_mT6_T7_P12ihipStream_tbENKUlT_T0_E_clISt17integral_constantIbLb1EESX_EEDaSS_ST_EUlSS_E_NS1_11comp_targetILNS1_3genE8ELNS1_11target_archE1030ELNS1_3gpuE2ELNS1_3repE0EEENS1_30default_config_static_selectorELNS0_4arch9wavefront6targetE0EEEvT1_.has_indirect_call, 0
	.section	.AMDGPU.csdata,"",@progbits
; Kernel info:
; codeLenInByte = 0
; TotalNumSgprs: 0
; NumVgprs: 0
; ScratchSize: 0
; MemoryBound: 0
; FloatMode: 240
; IeeeMode: 1
; LDSByteSize: 0 bytes/workgroup (compile time only)
; SGPRBlocks: 0
; VGPRBlocks: 0
; NumSGPRsForWavesPerEU: 1
; NumVGPRsForWavesPerEU: 1
; NamedBarCnt: 0
; Occupancy: 16
; WaveLimiterHint : 0
; COMPUTE_PGM_RSRC2:SCRATCH_EN: 0
; COMPUTE_PGM_RSRC2:USER_SGPR: 2
; COMPUTE_PGM_RSRC2:TRAP_HANDLER: 0
; COMPUTE_PGM_RSRC2:TGID_X_EN: 1
; COMPUTE_PGM_RSRC2:TGID_Y_EN: 0
; COMPUTE_PGM_RSRC2:TGID_Z_EN: 0
; COMPUTE_PGM_RSRC2:TIDIG_COMP_CNT: 0
	.section	.text._ZN7rocprim17ROCPRIM_400000_NS6detail30init_device_scan_by_key_kernelINS1_19lookback_scan_stateINS0_5tupleIJibEEELb1ELb1EEEPKijNS1_16block_id_wrapperIjLb0EEEEEvT_jjPNSB_10value_typeET0_PNSt15iterator_traitsISE_E10value_typeEmT1_T2_,"axG",@progbits,_ZN7rocprim17ROCPRIM_400000_NS6detail30init_device_scan_by_key_kernelINS1_19lookback_scan_stateINS0_5tupleIJibEEELb1ELb1EEEPKijNS1_16block_id_wrapperIjLb0EEEEEvT_jjPNSB_10value_typeET0_PNSt15iterator_traitsISE_E10value_typeEmT1_T2_,comdat
	.protected	_ZN7rocprim17ROCPRIM_400000_NS6detail30init_device_scan_by_key_kernelINS1_19lookback_scan_stateINS0_5tupleIJibEEELb1ELb1EEEPKijNS1_16block_id_wrapperIjLb0EEEEEvT_jjPNSB_10value_typeET0_PNSt15iterator_traitsISE_E10value_typeEmT1_T2_ ; -- Begin function _ZN7rocprim17ROCPRIM_400000_NS6detail30init_device_scan_by_key_kernelINS1_19lookback_scan_stateINS0_5tupleIJibEEELb1ELb1EEEPKijNS1_16block_id_wrapperIjLb0EEEEEvT_jjPNSB_10value_typeET0_PNSt15iterator_traitsISE_E10value_typeEmT1_T2_
	.globl	_ZN7rocprim17ROCPRIM_400000_NS6detail30init_device_scan_by_key_kernelINS1_19lookback_scan_stateINS0_5tupleIJibEEELb1ELb1EEEPKijNS1_16block_id_wrapperIjLb0EEEEEvT_jjPNSB_10value_typeET0_PNSt15iterator_traitsISE_E10value_typeEmT1_T2_
	.p2align	8
	.type	_ZN7rocprim17ROCPRIM_400000_NS6detail30init_device_scan_by_key_kernelINS1_19lookback_scan_stateINS0_5tupleIJibEEELb1ELb1EEEPKijNS1_16block_id_wrapperIjLb0EEEEEvT_jjPNSB_10value_typeET0_PNSt15iterator_traitsISE_E10value_typeEmT1_T2_,@function
_ZN7rocprim17ROCPRIM_400000_NS6detail30init_device_scan_by_key_kernelINS1_19lookback_scan_stateINS0_5tupleIJibEEELb1ELb1EEEPKijNS1_16block_id_wrapperIjLb0EEEEEvT_jjPNSB_10value_typeET0_PNSt15iterator_traitsISE_E10value_typeEmT1_T2_: ; @_ZN7rocprim17ROCPRIM_400000_NS6detail30init_device_scan_by_key_kernelINS1_19lookback_scan_stateINS0_5tupleIJibEEELb1ELb1EEEPKijNS1_16block_id_wrapperIjLb0EEEEEvT_jjPNSB_10value_typeET0_PNSt15iterator_traitsISE_E10value_typeEmT1_T2_
; %bb.0:
	s_clause 0x2
	s_load_b32 s2, s[0:1], 0x44
	s_load_b32 s14, s[0:1], 0x38
	s_load_b256 s[4:11], s[0:1], 0x0
	s_bfe_u32 s3, ttmp6, 0x4000c
	s_and_b32 s12, ttmp6, 15
	s_add_co_i32 s3, s3, 1
	s_getreg_b32 s13, hwreg(HW_REG_IB_STS2, 6, 4)
	s_mul_i32 s3, ttmp9, s3
	s_delay_alu instid0(SALU_CYCLE_1)
	s_add_co_i32 s12, s12, s3
	s_wait_kmcnt 0x0
	s_and_b32 s15, s2, 0xffff
	s_cmp_eq_u32 s13, 0
	s_cselect_b32 s2, ttmp9, s12
	s_cmp_eq_u64 s[8:9], 0
	v_mad_u32 v4, s2, s15, v0
	s_cbranch_scc1 .LBB30_10
; %bb.1:
	s_cmp_lt_u32 s7, s6
	s_mov_b32 s16, exec_lo
	s_cselect_b32 s2, s7, 0
	s_delay_alu instid0(VALU_DEP_1) | instid1(SALU_CYCLE_1)
	v_cmpx_eq_u32_e64 s2, v4
	s_cbranch_execz .LBB30_9
; %bb.2:
	s_add_co_i32 s2, s7, 32
	s_mov_b32 s3, 0
	v_mov_b32_e32 v7, 0
	s_lshl_b64 s[12:13], s[2:3], 4
	s_mov_b32 s2, exec_lo
	s_add_nc_u64 s[12:13], s[4:5], s[12:13]
	s_delay_alu instid0(SALU_CYCLE_1) | instskip(SKIP_2) | instid1(VALU_DEP_1)
	v_mov_b64_e32 v[0:1], s[12:13]
	;;#ASMSTART
	global_load_b128 v[0:3], v[0:1] off scope:SCOPE_DEV	
s_wait_loadcnt 0x0
	;;#ASMEND
	v_and_b32_e32 v6, 0xff, v2
	v_cmpx_eq_u64_e32 0, v[6:7]
	s_cbranch_execz .LBB30_8
; %bb.3:
	v_mov_b64_e32 v[8:9], s[12:13]
	s_mov_b32 s7, 1
.LBB30_4:                               ; =>This Loop Header: Depth=1
                                        ;     Child Loop BB30_5 Depth 2
	s_delay_alu instid0(SALU_CYCLE_1)
	s_mov_b32 s12, s7
.LBB30_5:                               ;   Parent Loop BB30_4 Depth=1
                                        ; =>  This Inner Loop Header: Depth=2
	s_delay_alu instid0(SALU_CYCLE_1)
	s_add_co_i32 s12, s12, -1
	s_sleep 1
	s_cmp_eq_u32 s12, 0
	s_cbranch_scc0 .LBB30_5
; %bb.6:                                ;   in Loop: Header=BB30_4 Depth=1
	;;#ASMSTART
	global_load_b128 v[0:3], v[8:9] off scope:SCOPE_DEV	
s_wait_loadcnt 0x0
	;;#ASMEND
	v_and_b32_e32 v6, 0xff, v2
	s_cmp_lt_u32 s7, 32
	s_cselect_b32 s12, -1, 0
	s_delay_alu instid0(VALU_DEP_1) | instskip(SKIP_3) | instid1(SALU_CYCLE_1)
	v_cmp_ne_u64_e32 vcc_lo, 0, v[6:7]
	s_cmp_lg_u32 s12, 0
	s_add_co_ci_u32 s7, s7, 0
	s_or_b32 s3, vcc_lo, s3
	s_and_not1_b32 exec_lo, exec_lo, s3
	s_cbranch_execnz .LBB30_4
; %bb.7:
	s_or_b32 exec_lo, exec_lo, s3
.LBB30_8:
	s_delay_alu instid0(SALU_CYCLE_1)
	s_or_b32 exec_lo, exec_lo, s2
	v_mov_b32_e32 v2, 0
	s_clause 0x1
	global_store_b32 v2, v0, s[8:9]
	global_store_b8 v2, v1, s[8:9] offset:4
.LBB30_9:
	s_wait_xcnt 0x0
	s_or_b32 exec_lo, exec_lo, s16
.LBB30_10:
	s_delay_alu instid0(SALU_CYCLE_1) | instskip(NEXT) | instid1(VALU_DEP_1)
	s_mov_b32 s2, exec_lo
	v_cmpx_gt_u32_e64 s6, v4
	s_cbranch_execz .LBB30_12
; %bb.11:
	v_dual_mov_b32 v0, 0 :: v_dual_add_nc_u32 v5, 32, v4
	s_delay_alu instid0(VALU_DEP_1)
	v_dual_mov_b32 v1, v0 :: v_dual_mov_b32 v2, v0
	v_mov_b32_e32 v3, v0
	global_store_b128 v5, v[0:3], s[4:5] scale_offset
.LBB30_12:
	s_wait_xcnt 0x0
	s_or_b32 exec_lo, exec_lo, s2
	v_mov_b32_e32 v5, 0
	s_mov_b32 s2, exec_lo
	v_cmpx_gt_u32_e32 32, v4
	s_cbranch_execz .LBB30_14
; %bb.13:
	s_delay_alu instid0(VALU_DEP_2)
	v_lshl_add_u64 v[6:7], v[4:5], 4, s[4:5]
	v_dual_mov_b32 v2, 0xff :: v_dual_mov_b32 v1, v5
	v_dual_mov_b32 v0, v5 :: v_dual_mov_b32 v3, v5
	global_store_b128 v[6:7], v[0:3], off
.LBB30_14:
	s_wait_xcnt 0x0
	s_or_b32 exec_lo, exec_lo, s2
	s_load_b64 s[2:3], s[0:1], 0x28
	s_mov_b32 s4, exec_lo
	s_wait_kmcnt 0x0
	v_cmpx_gt_u64_e64 s[2:3], v[4:5]
	s_cbranch_execz .LBB30_17
; %bb.15:
	s_clause 0x1
	s_load_b32 s4, s[0:1], 0x30
	s_load_b64 s[6:7], s[0:1], 0x20
	s_mov_b32 s5, 0
	s_wait_xcnt 0x0
	s_mul_i32 s0, s14, s15
	s_mov_b32 s9, s5
	s_mov_b32 s1, s5
	s_wait_kmcnt 0x0
	v_mul_u64_e32 v[0:1], s[4:5], v[4:5]
	s_add_co_i32 s8, s4, -1
	v_lshl_add_u64 v[2:3], v[4:5], 2, s[6:7]
	s_lshl_b64 s[8:9], s[8:9], 2
	s_delay_alu instid0(SALU_CYCLE_1) | instskip(SKIP_1) | instid1(SALU_CYCLE_1)
	s_add_nc_u64 s[8:9], s[10:11], s[8:9]
	s_mul_u64 s[10:11], s[4:5], s[0:1]
	s_lshl_b64 s[6:7], s[10:11], 2
	s_delay_alu instid0(VALU_DEP_2)
	v_lshl_add_u64 v[0:1], v[0:1], 2, s[8:9]
	s_lshl_b64 s[8:9], s[0:1], 2
.LBB30_16:                              ; =>This Inner Loop Header: Depth=1
	global_load_b32 v6, v[0:1], off
	v_add_nc_u64_e32 v[4:5], s[0:1], v[4:5]
	s_wait_xcnt 0x0
	v_add_nc_u64_e32 v[0:1], s[6:7], v[0:1]
	s_delay_alu instid0(VALU_DEP_2)
	v_cmp_le_u64_e32 vcc_lo, s[2:3], v[4:5]
	s_or_b32 s5, vcc_lo, s5
	s_wait_loadcnt 0x0
	global_store_b32 v[2:3], v6, off
	s_wait_xcnt 0x0
	v_add_nc_u64_e32 v[2:3], s[8:9], v[2:3]
	s_and_not1_b32 exec_lo, exec_lo, s5
	s_cbranch_execnz .LBB30_16
.LBB30_17:
	s_endpgm
	.section	.rodata,"a",@progbits
	.p2align	6, 0x0
	.amdhsa_kernel _ZN7rocprim17ROCPRIM_400000_NS6detail30init_device_scan_by_key_kernelINS1_19lookback_scan_stateINS0_5tupleIJibEEELb1ELb1EEEPKijNS1_16block_id_wrapperIjLb0EEEEEvT_jjPNSB_10value_typeET0_PNSt15iterator_traitsISE_E10value_typeEmT1_T2_
		.amdhsa_group_segment_fixed_size 0
		.amdhsa_private_segment_fixed_size 0
		.amdhsa_kernarg_size 312
		.amdhsa_user_sgpr_count 2
		.amdhsa_user_sgpr_dispatch_ptr 0
		.amdhsa_user_sgpr_queue_ptr 0
		.amdhsa_user_sgpr_kernarg_segment_ptr 1
		.amdhsa_user_sgpr_dispatch_id 0
		.amdhsa_user_sgpr_kernarg_preload_length 0
		.amdhsa_user_sgpr_kernarg_preload_offset 0
		.amdhsa_user_sgpr_private_segment_size 0
		.amdhsa_wavefront_size32 1
		.amdhsa_uses_dynamic_stack 0
		.amdhsa_enable_private_segment 0
		.amdhsa_system_sgpr_workgroup_id_x 1
		.amdhsa_system_sgpr_workgroup_id_y 0
		.amdhsa_system_sgpr_workgroup_id_z 0
		.amdhsa_system_sgpr_workgroup_info 0
		.amdhsa_system_vgpr_workitem_id 0
		.amdhsa_next_free_vgpr 10
		.amdhsa_next_free_sgpr 17
		.amdhsa_named_barrier_count 0
		.amdhsa_reserve_vcc 1
		.amdhsa_float_round_mode_32 0
		.amdhsa_float_round_mode_16_64 0
		.amdhsa_float_denorm_mode_32 3
		.amdhsa_float_denorm_mode_16_64 3
		.amdhsa_fp16_overflow 0
		.amdhsa_memory_ordered 1
		.amdhsa_forward_progress 1
		.amdhsa_inst_pref_size 5
		.amdhsa_round_robin_scheduling 0
		.amdhsa_exception_fp_ieee_invalid_op 0
		.amdhsa_exception_fp_denorm_src 0
		.amdhsa_exception_fp_ieee_div_zero 0
		.amdhsa_exception_fp_ieee_overflow 0
		.amdhsa_exception_fp_ieee_underflow 0
		.amdhsa_exception_fp_ieee_inexact 0
		.amdhsa_exception_int_div_zero 0
	.end_amdhsa_kernel
	.section	.text._ZN7rocprim17ROCPRIM_400000_NS6detail30init_device_scan_by_key_kernelINS1_19lookback_scan_stateINS0_5tupleIJibEEELb1ELb1EEEPKijNS1_16block_id_wrapperIjLb0EEEEEvT_jjPNSB_10value_typeET0_PNSt15iterator_traitsISE_E10value_typeEmT1_T2_,"axG",@progbits,_ZN7rocprim17ROCPRIM_400000_NS6detail30init_device_scan_by_key_kernelINS1_19lookback_scan_stateINS0_5tupleIJibEEELb1ELb1EEEPKijNS1_16block_id_wrapperIjLb0EEEEEvT_jjPNSB_10value_typeET0_PNSt15iterator_traitsISE_E10value_typeEmT1_T2_,comdat
.Lfunc_end30:
	.size	_ZN7rocprim17ROCPRIM_400000_NS6detail30init_device_scan_by_key_kernelINS1_19lookback_scan_stateINS0_5tupleIJibEEELb1ELb1EEEPKijNS1_16block_id_wrapperIjLb0EEEEEvT_jjPNSB_10value_typeET0_PNSt15iterator_traitsISE_E10value_typeEmT1_T2_, .Lfunc_end30-_ZN7rocprim17ROCPRIM_400000_NS6detail30init_device_scan_by_key_kernelINS1_19lookback_scan_stateINS0_5tupleIJibEEELb1ELb1EEEPKijNS1_16block_id_wrapperIjLb0EEEEEvT_jjPNSB_10value_typeET0_PNSt15iterator_traitsISE_E10value_typeEmT1_T2_
                                        ; -- End function
	.set _ZN7rocprim17ROCPRIM_400000_NS6detail30init_device_scan_by_key_kernelINS1_19lookback_scan_stateINS0_5tupleIJibEEELb1ELb1EEEPKijNS1_16block_id_wrapperIjLb0EEEEEvT_jjPNSB_10value_typeET0_PNSt15iterator_traitsISE_E10value_typeEmT1_T2_.num_vgpr, 10
	.set _ZN7rocprim17ROCPRIM_400000_NS6detail30init_device_scan_by_key_kernelINS1_19lookback_scan_stateINS0_5tupleIJibEEELb1ELb1EEEPKijNS1_16block_id_wrapperIjLb0EEEEEvT_jjPNSB_10value_typeET0_PNSt15iterator_traitsISE_E10value_typeEmT1_T2_.num_agpr, 0
	.set _ZN7rocprim17ROCPRIM_400000_NS6detail30init_device_scan_by_key_kernelINS1_19lookback_scan_stateINS0_5tupleIJibEEELb1ELb1EEEPKijNS1_16block_id_wrapperIjLb0EEEEEvT_jjPNSB_10value_typeET0_PNSt15iterator_traitsISE_E10value_typeEmT1_T2_.numbered_sgpr, 17
	.set _ZN7rocprim17ROCPRIM_400000_NS6detail30init_device_scan_by_key_kernelINS1_19lookback_scan_stateINS0_5tupleIJibEEELb1ELb1EEEPKijNS1_16block_id_wrapperIjLb0EEEEEvT_jjPNSB_10value_typeET0_PNSt15iterator_traitsISE_E10value_typeEmT1_T2_.num_named_barrier, 0
	.set _ZN7rocprim17ROCPRIM_400000_NS6detail30init_device_scan_by_key_kernelINS1_19lookback_scan_stateINS0_5tupleIJibEEELb1ELb1EEEPKijNS1_16block_id_wrapperIjLb0EEEEEvT_jjPNSB_10value_typeET0_PNSt15iterator_traitsISE_E10value_typeEmT1_T2_.private_seg_size, 0
	.set _ZN7rocprim17ROCPRIM_400000_NS6detail30init_device_scan_by_key_kernelINS1_19lookback_scan_stateINS0_5tupleIJibEEELb1ELb1EEEPKijNS1_16block_id_wrapperIjLb0EEEEEvT_jjPNSB_10value_typeET0_PNSt15iterator_traitsISE_E10value_typeEmT1_T2_.uses_vcc, 1
	.set _ZN7rocprim17ROCPRIM_400000_NS6detail30init_device_scan_by_key_kernelINS1_19lookback_scan_stateINS0_5tupleIJibEEELb1ELb1EEEPKijNS1_16block_id_wrapperIjLb0EEEEEvT_jjPNSB_10value_typeET0_PNSt15iterator_traitsISE_E10value_typeEmT1_T2_.uses_flat_scratch, 0
	.set _ZN7rocprim17ROCPRIM_400000_NS6detail30init_device_scan_by_key_kernelINS1_19lookback_scan_stateINS0_5tupleIJibEEELb1ELb1EEEPKijNS1_16block_id_wrapperIjLb0EEEEEvT_jjPNSB_10value_typeET0_PNSt15iterator_traitsISE_E10value_typeEmT1_T2_.has_dyn_sized_stack, 0
	.set _ZN7rocprim17ROCPRIM_400000_NS6detail30init_device_scan_by_key_kernelINS1_19lookback_scan_stateINS0_5tupleIJibEEELb1ELb1EEEPKijNS1_16block_id_wrapperIjLb0EEEEEvT_jjPNSB_10value_typeET0_PNSt15iterator_traitsISE_E10value_typeEmT1_T2_.has_recursion, 0
	.set _ZN7rocprim17ROCPRIM_400000_NS6detail30init_device_scan_by_key_kernelINS1_19lookback_scan_stateINS0_5tupleIJibEEELb1ELb1EEEPKijNS1_16block_id_wrapperIjLb0EEEEEvT_jjPNSB_10value_typeET0_PNSt15iterator_traitsISE_E10value_typeEmT1_T2_.has_indirect_call, 0
	.section	.AMDGPU.csdata,"",@progbits
; Kernel info:
; codeLenInByte = 632
; TotalNumSgprs: 19
; NumVgprs: 10
; ScratchSize: 0
; MemoryBound: 0
; FloatMode: 240
; IeeeMode: 1
; LDSByteSize: 0 bytes/workgroup (compile time only)
; SGPRBlocks: 0
; VGPRBlocks: 0
; NumSGPRsForWavesPerEU: 19
; NumVGPRsForWavesPerEU: 10
; NamedBarCnt: 0
; Occupancy: 16
; WaveLimiterHint : 0
; COMPUTE_PGM_RSRC2:SCRATCH_EN: 0
; COMPUTE_PGM_RSRC2:USER_SGPR: 2
; COMPUTE_PGM_RSRC2:TRAP_HANDLER: 0
; COMPUTE_PGM_RSRC2:TGID_X_EN: 1
; COMPUTE_PGM_RSRC2:TGID_Y_EN: 0
; COMPUTE_PGM_RSRC2:TGID_Z_EN: 0
; COMPUTE_PGM_RSRC2:TIDIG_COMP_CNT: 0
	.section	.text._ZN7rocprim17ROCPRIM_400000_NS6detail30init_device_scan_by_key_kernelINS1_19lookback_scan_stateINS0_5tupleIJibEEELb1ELb1EEENS1_16block_id_wrapperIjLb0EEEEEvT_jjPNS9_10value_typeET0_,"axG",@progbits,_ZN7rocprim17ROCPRIM_400000_NS6detail30init_device_scan_by_key_kernelINS1_19lookback_scan_stateINS0_5tupleIJibEEELb1ELb1EEENS1_16block_id_wrapperIjLb0EEEEEvT_jjPNS9_10value_typeET0_,comdat
	.protected	_ZN7rocprim17ROCPRIM_400000_NS6detail30init_device_scan_by_key_kernelINS1_19lookback_scan_stateINS0_5tupleIJibEEELb1ELb1EEENS1_16block_id_wrapperIjLb0EEEEEvT_jjPNS9_10value_typeET0_ ; -- Begin function _ZN7rocprim17ROCPRIM_400000_NS6detail30init_device_scan_by_key_kernelINS1_19lookback_scan_stateINS0_5tupleIJibEEELb1ELb1EEENS1_16block_id_wrapperIjLb0EEEEEvT_jjPNS9_10value_typeET0_
	.globl	_ZN7rocprim17ROCPRIM_400000_NS6detail30init_device_scan_by_key_kernelINS1_19lookback_scan_stateINS0_5tupleIJibEEELb1ELb1EEENS1_16block_id_wrapperIjLb0EEEEEvT_jjPNS9_10value_typeET0_
	.p2align	8
	.type	_ZN7rocprim17ROCPRIM_400000_NS6detail30init_device_scan_by_key_kernelINS1_19lookback_scan_stateINS0_5tupleIJibEEELb1ELb1EEENS1_16block_id_wrapperIjLb0EEEEEvT_jjPNS9_10value_typeET0_,@function
_ZN7rocprim17ROCPRIM_400000_NS6detail30init_device_scan_by_key_kernelINS1_19lookback_scan_stateINS0_5tupleIJibEEELb1ELb1EEENS1_16block_id_wrapperIjLb0EEEEEvT_jjPNS9_10value_typeET0_: ; @_ZN7rocprim17ROCPRIM_400000_NS6detail30init_device_scan_by_key_kernelINS1_19lookback_scan_stateINS0_5tupleIJibEEELb1ELb1EEENS1_16block_id_wrapperIjLb0EEEEEvT_jjPNS9_10value_typeET0_
; %bb.0:
	s_clause 0x2
	s_load_b32 s8, s[0:1], 0x2c
	s_load_b128 s[4:7], s[0:1], 0x0
	s_load_b64 s[2:3], s[0:1], 0x10
	s_wait_xcnt 0x0
	s_bfe_u32 s0, ttmp6, 0x4000c
	s_and_b32 s1, ttmp6, 15
	s_add_co_i32 s0, s0, 1
	s_getreg_b32 s9, hwreg(HW_REG_IB_STS2, 6, 4)
	s_mul_i32 s0, ttmp9, s0
	s_delay_alu instid0(SALU_CYCLE_1)
	s_add_co_i32 s1, s1, s0
	s_wait_kmcnt 0x0
	s_and_b32 s8, s8, 0xffff
	s_cmp_eq_u32 s9, 0
	s_cselect_b32 s0, ttmp9, s1
	s_cmp_eq_u64 s[2:3], 0
	v_mad_u32 v8, s0, s8, v0
	s_cbranch_scc1 .LBB31_10
; %bb.1:
	s_cmp_lt_u32 s7, s6
	s_mov_b32 s10, exec_lo
	s_cselect_b32 s0, s7, 0
	s_delay_alu instid0(VALU_DEP_1) | instid1(SALU_CYCLE_1)
	v_cmpx_eq_u32_e64 s0, v8
	s_cbranch_execz .LBB31_9
; %bb.2:
	s_add_co_i32 s0, s7, 32
	s_mov_b32 s1, 0
	v_mov_b32_e32 v5, 0
	s_lshl_b64 s[8:9], s[0:1], 4
	s_mov_b32 s0, exec_lo
	s_add_nc_u64 s[8:9], s[4:5], s[8:9]
	s_delay_alu instid0(SALU_CYCLE_1) | instskip(SKIP_2) | instid1(VALU_DEP_1)
	v_mov_b64_e32 v[0:1], s[8:9]
	;;#ASMSTART
	global_load_b128 v[0:3], v[0:1] off scope:SCOPE_DEV	
s_wait_loadcnt 0x0
	;;#ASMEND
	v_and_b32_e32 v4, 0xff, v2
	v_cmpx_eq_u64_e32 0, v[4:5]
	s_cbranch_execz .LBB31_8
; %bb.3:
	v_mov_b64_e32 v[6:7], s[8:9]
	s_mov_b32 s7, 1
.LBB31_4:                               ; =>This Loop Header: Depth=1
                                        ;     Child Loop BB31_5 Depth 2
	s_delay_alu instid0(SALU_CYCLE_1)
	s_mov_b32 s8, s7
.LBB31_5:                               ;   Parent Loop BB31_4 Depth=1
                                        ; =>  This Inner Loop Header: Depth=2
	s_delay_alu instid0(SALU_CYCLE_1)
	s_add_co_i32 s8, s8, -1
	s_sleep 1
	s_cmp_eq_u32 s8, 0
	s_cbranch_scc0 .LBB31_5
; %bb.6:                                ;   in Loop: Header=BB31_4 Depth=1
	;;#ASMSTART
	global_load_b128 v[0:3], v[6:7] off scope:SCOPE_DEV	
s_wait_loadcnt 0x0
	;;#ASMEND
	v_and_b32_e32 v4, 0xff, v2
	s_cmp_lt_u32 s7, 32
	s_cselect_b32 s8, -1, 0
	s_delay_alu instid0(VALU_DEP_1) | instskip(SKIP_3) | instid1(SALU_CYCLE_1)
	v_cmp_ne_u64_e32 vcc_lo, 0, v[4:5]
	s_cmp_lg_u32 s8, 0
	s_add_co_ci_u32 s7, s7, 0
	s_or_b32 s1, vcc_lo, s1
	s_and_not1_b32 exec_lo, exec_lo, s1
	s_cbranch_execnz .LBB31_4
; %bb.7:
	s_or_b32 exec_lo, exec_lo, s1
.LBB31_8:
	s_delay_alu instid0(SALU_CYCLE_1)
	s_or_b32 exec_lo, exec_lo, s0
	v_mov_b32_e32 v2, 0
	s_clause 0x1
	global_store_b32 v2, v0, s[2:3]
	global_store_b8 v2, v1, s[2:3] offset:4
.LBB31_9:
	s_wait_xcnt 0x0
	s_or_b32 exec_lo, exec_lo, s10
.LBB31_10:
	s_delay_alu instid0(SALU_CYCLE_1) | instskip(NEXT) | instid1(VALU_DEP_1)
	s_mov_b32 s0, exec_lo
	v_cmpx_gt_u32_e64 s6, v8
	s_cbranch_execz .LBB31_12
; %bb.11:
	v_dual_mov_b32 v0, 0 :: v_dual_add_nc_u32 v4, 32, v8
	s_delay_alu instid0(VALU_DEP_1)
	v_dual_mov_b32 v1, v0 :: v_dual_mov_b32 v2, v0
	v_mov_b32_e32 v3, v0
	global_store_b128 v4, v[0:3], s[4:5] scale_offset
.LBB31_12:
	s_wait_xcnt 0x0
	s_or_b32 exec_lo, exec_lo, s0
	s_delay_alu instid0(SALU_CYCLE_1)
	s_mov_b32 s0, exec_lo
	v_cmpx_gt_u32_e32 32, v8
	s_cbranch_execz .LBB31_14
; %bb.13:
	v_mov_b32_e32 v0, 0
	s_delay_alu instid0(VALU_DEP_1)
	v_dual_mov_b32 v2, 0xff :: v_dual_mov_b32 v1, v0
	v_mov_b32_e32 v3, v0
	global_store_b128 v8, v[0:3], s[4:5] scale_offset
.LBB31_14:
	s_endpgm
	.section	.rodata,"a",@progbits
	.p2align	6, 0x0
	.amdhsa_kernel _ZN7rocprim17ROCPRIM_400000_NS6detail30init_device_scan_by_key_kernelINS1_19lookback_scan_stateINS0_5tupleIJibEEELb1ELb1EEENS1_16block_id_wrapperIjLb0EEEEEvT_jjPNS9_10value_typeET0_
		.amdhsa_group_segment_fixed_size 0
		.amdhsa_private_segment_fixed_size 0
		.amdhsa_kernarg_size 288
		.amdhsa_user_sgpr_count 2
		.amdhsa_user_sgpr_dispatch_ptr 0
		.amdhsa_user_sgpr_queue_ptr 0
		.amdhsa_user_sgpr_kernarg_segment_ptr 1
		.amdhsa_user_sgpr_dispatch_id 0
		.amdhsa_user_sgpr_kernarg_preload_length 0
		.amdhsa_user_sgpr_kernarg_preload_offset 0
		.amdhsa_user_sgpr_private_segment_size 0
		.amdhsa_wavefront_size32 1
		.amdhsa_uses_dynamic_stack 0
		.amdhsa_enable_private_segment 0
		.amdhsa_system_sgpr_workgroup_id_x 1
		.amdhsa_system_sgpr_workgroup_id_y 0
		.amdhsa_system_sgpr_workgroup_id_z 0
		.amdhsa_system_sgpr_workgroup_info 0
		.amdhsa_system_vgpr_workitem_id 0
		.amdhsa_next_free_vgpr 9
		.amdhsa_next_free_sgpr 11
		.amdhsa_named_barrier_count 0
		.amdhsa_reserve_vcc 1
		.amdhsa_float_round_mode_32 0
		.amdhsa_float_round_mode_16_64 0
		.amdhsa_float_denorm_mode_32 3
		.amdhsa_float_denorm_mode_16_64 3
		.amdhsa_fp16_overflow 0
		.amdhsa_memory_ordered 1
		.amdhsa_forward_progress 1
		.amdhsa_inst_pref_size 4
		.amdhsa_round_robin_scheduling 0
		.amdhsa_exception_fp_ieee_invalid_op 0
		.amdhsa_exception_fp_denorm_src 0
		.amdhsa_exception_fp_ieee_div_zero 0
		.amdhsa_exception_fp_ieee_overflow 0
		.amdhsa_exception_fp_ieee_underflow 0
		.amdhsa_exception_fp_ieee_inexact 0
		.amdhsa_exception_int_div_zero 0
	.end_amdhsa_kernel
	.section	.text._ZN7rocprim17ROCPRIM_400000_NS6detail30init_device_scan_by_key_kernelINS1_19lookback_scan_stateINS0_5tupleIJibEEELb1ELb1EEENS1_16block_id_wrapperIjLb0EEEEEvT_jjPNS9_10value_typeET0_,"axG",@progbits,_ZN7rocprim17ROCPRIM_400000_NS6detail30init_device_scan_by_key_kernelINS1_19lookback_scan_stateINS0_5tupleIJibEEELb1ELb1EEENS1_16block_id_wrapperIjLb0EEEEEvT_jjPNS9_10value_typeET0_,comdat
.Lfunc_end31:
	.size	_ZN7rocprim17ROCPRIM_400000_NS6detail30init_device_scan_by_key_kernelINS1_19lookback_scan_stateINS0_5tupleIJibEEELb1ELb1EEENS1_16block_id_wrapperIjLb0EEEEEvT_jjPNS9_10value_typeET0_, .Lfunc_end31-_ZN7rocprim17ROCPRIM_400000_NS6detail30init_device_scan_by_key_kernelINS1_19lookback_scan_stateINS0_5tupleIJibEEELb1ELb1EEENS1_16block_id_wrapperIjLb0EEEEEvT_jjPNS9_10value_typeET0_
                                        ; -- End function
	.set _ZN7rocprim17ROCPRIM_400000_NS6detail30init_device_scan_by_key_kernelINS1_19lookback_scan_stateINS0_5tupleIJibEEELb1ELb1EEENS1_16block_id_wrapperIjLb0EEEEEvT_jjPNS9_10value_typeET0_.num_vgpr, 9
	.set _ZN7rocprim17ROCPRIM_400000_NS6detail30init_device_scan_by_key_kernelINS1_19lookback_scan_stateINS0_5tupleIJibEEELb1ELb1EEENS1_16block_id_wrapperIjLb0EEEEEvT_jjPNS9_10value_typeET0_.num_agpr, 0
	.set _ZN7rocprim17ROCPRIM_400000_NS6detail30init_device_scan_by_key_kernelINS1_19lookback_scan_stateINS0_5tupleIJibEEELb1ELb1EEENS1_16block_id_wrapperIjLb0EEEEEvT_jjPNS9_10value_typeET0_.numbered_sgpr, 11
	.set _ZN7rocprim17ROCPRIM_400000_NS6detail30init_device_scan_by_key_kernelINS1_19lookback_scan_stateINS0_5tupleIJibEEELb1ELb1EEENS1_16block_id_wrapperIjLb0EEEEEvT_jjPNS9_10value_typeET0_.num_named_barrier, 0
	.set _ZN7rocprim17ROCPRIM_400000_NS6detail30init_device_scan_by_key_kernelINS1_19lookback_scan_stateINS0_5tupleIJibEEELb1ELb1EEENS1_16block_id_wrapperIjLb0EEEEEvT_jjPNS9_10value_typeET0_.private_seg_size, 0
	.set _ZN7rocprim17ROCPRIM_400000_NS6detail30init_device_scan_by_key_kernelINS1_19lookback_scan_stateINS0_5tupleIJibEEELb1ELb1EEENS1_16block_id_wrapperIjLb0EEEEEvT_jjPNS9_10value_typeET0_.uses_vcc, 1
	.set _ZN7rocprim17ROCPRIM_400000_NS6detail30init_device_scan_by_key_kernelINS1_19lookback_scan_stateINS0_5tupleIJibEEELb1ELb1EEENS1_16block_id_wrapperIjLb0EEEEEvT_jjPNS9_10value_typeET0_.uses_flat_scratch, 0
	.set _ZN7rocprim17ROCPRIM_400000_NS6detail30init_device_scan_by_key_kernelINS1_19lookback_scan_stateINS0_5tupleIJibEEELb1ELb1EEENS1_16block_id_wrapperIjLb0EEEEEvT_jjPNS9_10value_typeET0_.has_dyn_sized_stack, 0
	.set _ZN7rocprim17ROCPRIM_400000_NS6detail30init_device_scan_by_key_kernelINS1_19lookback_scan_stateINS0_5tupleIJibEEELb1ELb1EEENS1_16block_id_wrapperIjLb0EEEEEvT_jjPNS9_10value_typeET0_.has_recursion, 0
	.set _ZN7rocprim17ROCPRIM_400000_NS6detail30init_device_scan_by_key_kernelINS1_19lookback_scan_stateINS0_5tupleIJibEEELb1ELb1EEENS1_16block_id_wrapperIjLb0EEEEEvT_jjPNS9_10value_typeET0_.has_indirect_call, 0
	.section	.AMDGPU.csdata,"",@progbits
; Kernel info:
; codeLenInByte = 432
; TotalNumSgprs: 13
; NumVgprs: 9
; ScratchSize: 0
; MemoryBound: 0
; FloatMode: 240
; IeeeMode: 1
; LDSByteSize: 0 bytes/workgroup (compile time only)
; SGPRBlocks: 0
; VGPRBlocks: 0
; NumSGPRsForWavesPerEU: 13
; NumVGPRsForWavesPerEU: 9
; NamedBarCnt: 0
; Occupancy: 16
; WaveLimiterHint : 0
; COMPUTE_PGM_RSRC2:SCRATCH_EN: 0
; COMPUTE_PGM_RSRC2:USER_SGPR: 2
; COMPUTE_PGM_RSRC2:TRAP_HANDLER: 0
; COMPUTE_PGM_RSRC2:TGID_X_EN: 1
; COMPUTE_PGM_RSRC2:TGID_Y_EN: 0
; COMPUTE_PGM_RSRC2:TGID_Z_EN: 0
; COMPUTE_PGM_RSRC2:TIDIG_COMP_CNT: 0
	.section	.text._ZN7rocprim17ROCPRIM_400000_NS6detail17trampoline_kernelINS0_14default_configENS1_27scan_by_key_config_selectorIiiEEZZNS1_16scan_by_key_implILNS1_25lookback_scan_determinismE0ELb0ES3_PKiN6hipcub16HIPCUB_304000_NS21ConstantInputIteratorIilEEPiiNSB_3SumENSB_8EqualityEiEE10hipError_tPvRmT2_T3_T4_T5_mT6_T7_P12ihipStream_tbENKUlT_T0_E_clISt17integral_constantIbLb1EESW_IbLb0EEEEDaSS_ST_EUlSS_E_NS1_11comp_targetILNS1_3genE0ELNS1_11target_archE4294967295ELNS1_3gpuE0ELNS1_3repE0EEENS1_30default_config_static_selectorELNS0_4arch9wavefront6targetE0EEEvT1_,"axG",@progbits,_ZN7rocprim17ROCPRIM_400000_NS6detail17trampoline_kernelINS0_14default_configENS1_27scan_by_key_config_selectorIiiEEZZNS1_16scan_by_key_implILNS1_25lookback_scan_determinismE0ELb0ES3_PKiN6hipcub16HIPCUB_304000_NS21ConstantInputIteratorIilEEPiiNSB_3SumENSB_8EqualityEiEE10hipError_tPvRmT2_T3_T4_T5_mT6_T7_P12ihipStream_tbENKUlT_T0_E_clISt17integral_constantIbLb1EESW_IbLb0EEEEDaSS_ST_EUlSS_E_NS1_11comp_targetILNS1_3genE0ELNS1_11target_archE4294967295ELNS1_3gpuE0ELNS1_3repE0EEENS1_30default_config_static_selectorELNS0_4arch9wavefront6targetE0EEEvT1_,comdat
	.protected	_ZN7rocprim17ROCPRIM_400000_NS6detail17trampoline_kernelINS0_14default_configENS1_27scan_by_key_config_selectorIiiEEZZNS1_16scan_by_key_implILNS1_25lookback_scan_determinismE0ELb0ES3_PKiN6hipcub16HIPCUB_304000_NS21ConstantInputIteratorIilEEPiiNSB_3SumENSB_8EqualityEiEE10hipError_tPvRmT2_T3_T4_T5_mT6_T7_P12ihipStream_tbENKUlT_T0_E_clISt17integral_constantIbLb1EESW_IbLb0EEEEDaSS_ST_EUlSS_E_NS1_11comp_targetILNS1_3genE0ELNS1_11target_archE4294967295ELNS1_3gpuE0ELNS1_3repE0EEENS1_30default_config_static_selectorELNS0_4arch9wavefront6targetE0EEEvT1_ ; -- Begin function _ZN7rocprim17ROCPRIM_400000_NS6detail17trampoline_kernelINS0_14default_configENS1_27scan_by_key_config_selectorIiiEEZZNS1_16scan_by_key_implILNS1_25lookback_scan_determinismE0ELb0ES3_PKiN6hipcub16HIPCUB_304000_NS21ConstantInputIteratorIilEEPiiNSB_3SumENSB_8EqualityEiEE10hipError_tPvRmT2_T3_T4_T5_mT6_T7_P12ihipStream_tbENKUlT_T0_E_clISt17integral_constantIbLb1EESW_IbLb0EEEEDaSS_ST_EUlSS_E_NS1_11comp_targetILNS1_3genE0ELNS1_11target_archE4294967295ELNS1_3gpuE0ELNS1_3repE0EEENS1_30default_config_static_selectorELNS0_4arch9wavefront6targetE0EEEvT1_
	.globl	_ZN7rocprim17ROCPRIM_400000_NS6detail17trampoline_kernelINS0_14default_configENS1_27scan_by_key_config_selectorIiiEEZZNS1_16scan_by_key_implILNS1_25lookback_scan_determinismE0ELb0ES3_PKiN6hipcub16HIPCUB_304000_NS21ConstantInputIteratorIilEEPiiNSB_3SumENSB_8EqualityEiEE10hipError_tPvRmT2_T3_T4_T5_mT6_T7_P12ihipStream_tbENKUlT_T0_E_clISt17integral_constantIbLb1EESW_IbLb0EEEEDaSS_ST_EUlSS_E_NS1_11comp_targetILNS1_3genE0ELNS1_11target_archE4294967295ELNS1_3gpuE0ELNS1_3repE0EEENS1_30default_config_static_selectorELNS0_4arch9wavefront6targetE0EEEvT1_
	.p2align	8
	.type	_ZN7rocprim17ROCPRIM_400000_NS6detail17trampoline_kernelINS0_14default_configENS1_27scan_by_key_config_selectorIiiEEZZNS1_16scan_by_key_implILNS1_25lookback_scan_determinismE0ELb0ES3_PKiN6hipcub16HIPCUB_304000_NS21ConstantInputIteratorIilEEPiiNSB_3SumENSB_8EqualityEiEE10hipError_tPvRmT2_T3_T4_T5_mT6_T7_P12ihipStream_tbENKUlT_T0_E_clISt17integral_constantIbLb1EESW_IbLb0EEEEDaSS_ST_EUlSS_E_NS1_11comp_targetILNS1_3genE0ELNS1_11target_archE4294967295ELNS1_3gpuE0ELNS1_3repE0EEENS1_30default_config_static_selectorELNS0_4arch9wavefront6targetE0EEEvT1_,@function
_ZN7rocprim17ROCPRIM_400000_NS6detail17trampoline_kernelINS0_14default_configENS1_27scan_by_key_config_selectorIiiEEZZNS1_16scan_by_key_implILNS1_25lookback_scan_determinismE0ELb0ES3_PKiN6hipcub16HIPCUB_304000_NS21ConstantInputIteratorIilEEPiiNSB_3SumENSB_8EqualityEiEE10hipError_tPvRmT2_T3_T4_T5_mT6_T7_P12ihipStream_tbENKUlT_T0_E_clISt17integral_constantIbLb1EESW_IbLb0EEEEDaSS_ST_EUlSS_E_NS1_11comp_targetILNS1_3genE0ELNS1_11target_archE4294967295ELNS1_3gpuE0ELNS1_3repE0EEENS1_30default_config_static_selectorELNS0_4arch9wavefront6targetE0EEEvT1_: ; @_ZN7rocprim17ROCPRIM_400000_NS6detail17trampoline_kernelINS0_14default_configENS1_27scan_by_key_config_selectorIiiEEZZNS1_16scan_by_key_implILNS1_25lookback_scan_determinismE0ELb0ES3_PKiN6hipcub16HIPCUB_304000_NS21ConstantInputIteratorIilEEPiiNSB_3SumENSB_8EqualityEiEE10hipError_tPvRmT2_T3_T4_T5_mT6_T7_P12ihipStream_tbENKUlT_T0_E_clISt17integral_constantIbLb1EESW_IbLb0EEEEDaSS_ST_EUlSS_E_NS1_11comp_targetILNS1_3genE0ELNS1_11target_archE4294967295ELNS1_3gpuE0ELNS1_3repE0EEENS1_30default_config_static_selectorELNS0_4arch9wavefront6targetE0EEEvT1_
; %bb.0:
	s_endpgm
	.section	.rodata,"a",@progbits
	.p2align	6, 0x0
	.amdhsa_kernel _ZN7rocprim17ROCPRIM_400000_NS6detail17trampoline_kernelINS0_14default_configENS1_27scan_by_key_config_selectorIiiEEZZNS1_16scan_by_key_implILNS1_25lookback_scan_determinismE0ELb0ES3_PKiN6hipcub16HIPCUB_304000_NS21ConstantInputIteratorIilEEPiiNSB_3SumENSB_8EqualityEiEE10hipError_tPvRmT2_T3_T4_T5_mT6_T7_P12ihipStream_tbENKUlT_T0_E_clISt17integral_constantIbLb1EESW_IbLb0EEEEDaSS_ST_EUlSS_E_NS1_11comp_targetILNS1_3genE0ELNS1_11target_archE4294967295ELNS1_3gpuE0ELNS1_3repE0EEENS1_30default_config_static_selectorELNS0_4arch9wavefront6targetE0EEEvT1_
		.amdhsa_group_segment_fixed_size 0
		.amdhsa_private_segment_fixed_size 0
		.amdhsa_kernarg_size 120
		.amdhsa_user_sgpr_count 2
		.amdhsa_user_sgpr_dispatch_ptr 0
		.amdhsa_user_sgpr_queue_ptr 0
		.amdhsa_user_sgpr_kernarg_segment_ptr 1
		.amdhsa_user_sgpr_dispatch_id 0
		.amdhsa_user_sgpr_kernarg_preload_length 0
		.amdhsa_user_sgpr_kernarg_preload_offset 0
		.amdhsa_user_sgpr_private_segment_size 0
		.amdhsa_wavefront_size32 1
		.amdhsa_uses_dynamic_stack 0
		.amdhsa_enable_private_segment 0
		.amdhsa_system_sgpr_workgroup_id_x 1
		.amdhsa_system_sgpr_workgroup_id_y 0
		.amdhsa_system_sgpr_workgroup_id_z 0
		.amdhsa_system_sgpr_workgroup_info 0
		.amdhsa_system_vgpr_workitem_id 0
		.amdhsa_next_free_vgpr 1
		.amdhsa_next_free_sgpr 1
		.amdhsa_named_barrier_count 0
		.amdhsa_reserve_vcc 0
		.amdhsa_float_round_mode_32 0
		.amdhsa_float_round_mode_16_64 0
		.amdhsa_float_denorm_mode_32 3
		.amdhsa_float_denorm_mode_16_64 3
		.amdhsa_fp16_overflow 0
		.amdhsa_memory_ordered 1
		.amdhsa_forward_progress 1
		.amdhsa_inst_pref_size 1
		.amdhsa_round_robin_scheduling 0
		.amdhsa_exception_fp_ieee_invalid_op 0
		.amdhsa_exception_fp_denorm_src 0
		.amdhsa_exception_fp_ieee_div_zero 0
		.amdhsa_exception_fp_ieee_overflow 0
		.amdhsa_exception_fp_ieee_underflow 0
		.amdhsa_exception_fp_ieee_inexact 0
		.amdhsa_exception_int_div_zero 0
	.end_amdhsa_kernel
	.section	.text._ZN7rocprim17ROCPRIM_400000_NS6detail17trampoline_kernelINS0_14default_configENS1_27scan_by_key_config_selectorIiiEEZZNS1_16scan_by_key_implILNS1_25lookback_scan_determinismE0ELb0ES3_PKiN6hipcub16HIPCUB_304000_NS21ConstantInputIteratorIilEEPiiNSB_3SumENSB_8EqualityEiEE10hipError_tPvRmT2_T3_T4_T5_mT6_T7_P12ihipStream_tbENKUlT_T0_E_clISt17integral_constantIbLb1EESW_IbLb0EEEEDaSS_ST_EUlSS_E_NS1_11comp_targetILNS1_3genE0ELNS1_11target_archE4294967295ELNS1_3gpuE0ELNS1_3repE0EEENS1_30default_config_static_selectorELNS0_4arch9wavefront6targetE0EEEvT1_,"axG",@progbits,_ZN7rocprim17ROCPRIM_400000_NS6detail17trampoline_kernelINS0_14default_configENS1_27scan_by_key_config_selectorIiiEEZZNS1_16scan_by_key_implILNS1_25lookback_scan_determinismE0ELb0ES3_PKiN6hipcub16HIPCUB_304000_NS21ConstantInputIteratorIilEEPiiNSB_3SumENSB_8EqualityEiEE10hipError_tPvRmT2_T3_T4_T5_mT6_T7_P12ihipStream_tbENKUlT_T0_E_clISt17integral_constantIbLb1EESW_IbLb0EEEEDaSS_ST_EUlSS_E_NS1_11comp_targetILNS1_3genE0ELNS1_11target_archE4294967295ELNS1_3gpuE0ELNS1_3repE0EEENS1_30default_config_static_selectorELNS0_4arch9wavefront6targetE0EEEvT1_,comdat
.Lfunc_end32:
	.size	_ZN7rocprim17ROCPRIM_400000_NS6detail17trampoline_kernelINS0_14default_configENS1_27scan_by_key_config_selectorIiiEEZZNS1_16scan_by_key_implILNS1_25lookback_scan_determinismE0ELb0ES3_PKiN6hipcub16HIPCUB_304000_NS21ConstantInputIteratorIilEEPiiNSB_3SumENSB_8EqualityEiEE10hipError_tPvRmT2_T3_T4_T5_mT6_T7_P12ihipStream_tbENKUlT_T0_E_clISt17integral_constantIbLb1EESW_IbLb0EEEEDaSS_ST_EUlSS_E_NS1_11comp_targetILNS1_3genE0ELNS1_11target_archE4294967295ELNS1_3gpuE0ELNS1_3repE0EEENS1_30default_config_static_selectorELNS0_4arch9wavefront6targetE0EEEvT1_, .Lfunc_end32-_ZN7rocprim17ROCPRIM_400000_NS6detail17trampoline_kernelINS0_14default_configENS1_27scan_by_key_config_selectorIiiEEZZNS1_16scan_by_key_implILNS1_25lookback_scan_determinismE0ELb0ES3_PKiN6hipcub16HIPCUB_304000_NS21ConstantInputIteratorIilEEPiiNSB_3SumENSB_8EqualityEiEE10hipError_tPvRmT2_T3_T4_T5_mT6_T7_P12ihipStream_tbENKUlT_T0_E_clISt17integral_constantIbLb1EESW_IbLb0EEEEDaSS_ST_EUlSS_E_NS1_11comp_targetILNS1_3genE0ELNS1_11target_archE4294967295ELNS1_3gpuE0ELNS1_3repE0EEENS1_30default_config_static_selectorELNS0_4arch9wavefront6targetE0EEEvT1_
                                        ; -- End function
	.set _ZN7rocprim17ROCPRIM_400000_NS6detail17trampoline_kernelINS0_14default_configENS1_27scan_by_key_config_selectorIiiEEZZNS1_16scan_by_key_implILNS1_25lookback_scan_determinismE0ELb0ES3_PKiN6hipcub16HIPCUB_304000_NS21ConstantInputIteratorIilEEPiiNSB_3SumENSB_8EqualityEiEE10hipError_tPvRmT2_T3_T4_T5_mT6_T7_P12ihipStream_tbENKUlT_T0_E_clISt17integral_constantIbLb1EESW_IbLb0EEEEDaSS_ST_EUlSS_E_NS1_11comp_targetILNS1_3genE0ELNS1_11target_archE4294967295ELNS1_3gpuE0ELNS1_3repE0EEENS1_30default_config_static_selectorELNS0_4arch9wavefront6targetE0EEEvT1_.num_vgpr, 0
	.set _ZN7rocprim17ROCPRIM_400000_NS6detail17trampoline_kernelINS0_14default_configENS1_27scan_by_key_config_selectorIiiEEZZNS1_16scan_by_key_implILNS1_25lookback_scan_determinismE0ELb0ES3_PKiN6hipcub16HIPCUB_304000_NS21ConstantInputIteratorIilEEPiiNSB_3SumENSB_8EqualityEiEE10hipError_tPvRmT2_T3_T4_T5_mT6_T7_P12ihipStream_tbENKUlT_T0_E_clISt17integral_constantIbLb1EESW_IbLb0EEEEDaSS_ST_EUlSS_E_NS1_11comp_targetILNS1_3genE0ELNS1_11target_archE4294967295ELNS1_3gpuE0ELNS1_3repE0EEENS1_30default_config_static_selectorELNS0_4arch9wavefront6targetE0EEEvT1_.num_agpr, 0
	.set _ZN7rocprim17ROCPRIM_400000_NS6detail17trampoline_kernelINS0_14default_configENS1_27scan_by_key_config_selectorIiiEEZZNS1_16scan_by_key_implILNS1_25lookback_scan_determinismE0ELb0ES3_PKiN6hipcub16HIPCUB_304000_NS21ConstantInputIteratorIilEEPiiNSB_3SumENSB_8EqualityEiEE10hipError_tPvRmT2_T3_T4_T5_mT6_T7_P12ihipStream_tbENKUlT_T0_E_clISt17integral_constantIbLb1EESW_IbLb0EEEEDaSS_ST_EUlSS_E_NS1_11comp_targetILNS1_3genE0ELNS1_11target_archE4294967295ELNS1_3gpuE0ELNS1_3repE0EEENS1_30default_config_static_selectorELNS0_4arch9wavefront6targetE0EEEvT1_.numbered_sgpr, 0
	.set _ZN7rocprim17ROCPRIM_400000_NS6detail17trampoline_kernelINS0_14default_configENS1_27scan_by_key_config_selectorIiiEEZZNS1_16scan_by_key_implILNS1_25lookback_scan_determinismE0ELb0ES3_PKiN6hipcub16HIPCUB_304000_NS21ConstantInputIteratorIilEEPiiNSB_3SumENSB_8EqualityEiEE10hipError_tPvRmT2_T3_T4_T5_mT6_T7_P12ihipStream_tbENKUlT_T0_E_clISt17integral_constantIbLb1EESW_IbLb0EEEEDaSS_ST_EUlSS_E_NS1_11comp_targetILNS1_3genE0ELNS1_11target_archE4294967295ELNS1_3gpuE0ELNS1_3repE0EEENS1_30default_config_static_selectorELNS0_4arch9wavefront6targetE0EEEvT1_.num_named_barrier, 0
	.set _ZN7rocprim17ROCPRIM_400000_NS6detail17trampoline_kernelINS0_14default_configENS1_27scan_by_key_config_selectorIiiEEZZNS1_16scan_by_key_implILNS1_25lookback_scan_determinismE0ELb0ES3_PKiN6hipcub16HIPCUB_304000_NS21ConstantInputIteratorIilEEPiiNSB_3SumENSB_8EqualityEiEE10hipError_tPvRmT2_T3_T4_T5_mT6_T7_P12ihipStream_tbENKUlT_T0_E_clISt17integral_constantIbLb1EESW_IbLb0EEEEDaSS_ST_EUlSS_E_NS1_11comp_targetILNS1_3genE0ELNS1_11target_archE4294967295ELNS1_3gpuE0ELNS1_3repE0EEENS1_30default_config_static_selectorELNS0_4arch9wavefront6targetE0EEEvT1_.private_seg_size, 0
	.set _ZN7rocprim17ROCPRIM_400000_NS6detail17trampoline_kernelINS0_14default_configENS1_27scan_by_key_config_selectorIiiEEZZNS1_16scan_by_key_implILNS1_25lookback_scan_determinismE0ELb0ES3_PKiN6hipcub16HIPCUB_304000_NS21ConstantInputIteratorIilEEPiiNSB_3SumENSB_8EqualityEiEE10hipError_tPvRmT2_T3_T4_T5_mT6_T7_P12ihipStream_tbENKUlT_T0_E_clISt17integral_constantIbLb1EESW_IbLb0EEEEDaSS_ST_EUlSS_E_NS1_11comp_targetILNS1_3genE0ELNS1_11target_archE4294967295ELNS1_3gpuE0ELNS1_3repE0EEENS1_30default_config_static_selectorELNS0_4arch9wavefront6targetE0EEEvT1_.uses_vcc, 0
	.set _ZN7rocprim17ROCPRIM_400000_NS6detail17trampoline_kernelINS0_14default_configENS1_27scan_by_key_config_selectorIiiEEZZNS1_16scan_by_key_implILNS1_25lookback_scan_determinismE0ELb0ES3_PKiN6hipcub16HIPCUB_304000_NS21ConstantInputIteratorIilEEPiiNSB_3SumENSB_8EqualityEiEE10hipError_tPvRmT2_T3_T4_T5_mT6_T7_P12ihipStream_tbENKUlT_T0_E_clISt17integral_constantIbLb1EESW_IbLb0EEEEDaSS_ST_EUlSS_E_NS1_11comp_targetILNS1_3genE0ELNS1_11target_archE4294967295ELNS1_3gpuE0ELNS1_3repE0EEENS1_30default_config_static_selectorELNS0_4arch9wavefront6targetE0EEEvT1_.uses_flat_scratch, 0
	.set _ZN7rocprim17ROCPRIM_400000_NS6detail17trampoline_kernelINS0_14default_configENS1_27scan_by_key_config_selectorIiiEEZZNS1_16scan_by_key_implILNS1_25lookback_scan_determinismE0ELb0ES3_PKiN6hipcub16HIPCUB_304000_NS21ConstantInputIteratorIilEEPiiNSB_3SumENSB_8EqualityEiEE10hipError_tPvRmT2_T3_T4_T5_mT6_T7_P12ihipStream_tbENKUlT_T0_E_clISt17integral_constantIbLb1EESW_IbLb0EEEEDaSS_ST_EUlSS_E_NS1_11comp_targetILNS1_3genE0ELNS1_11target_archE4294967295ELNS1_3gpuE0ELNS1_3repE0EEENS1_30default_config_static_selectorELNS0_4arch9wavefront6targetE0EEEvT1_.has_dyn_sized_stack, 0
	.set _ZN7rocprim17ROCPRIM_400000_NS6detail17trampoline_kernelINS0_14default_configENS1_27scan_by_key_config_selectorIiiEEZZNS1_16scan_by_key_implILNS1_25lookback_scan_determinismE0ELb0ES3_PKiN6hipcub16HIPCUB_304000_NS21ConstantInputIteratorIilEEPiiNSB_3SumENSB_8EqualityEiEE10hipError_tPvRmT2_T3_T4_T5_mT6_T7_P12ihipStream_tbENKUlT_T0_E_clISt17integral_constantIbLb1EESW_IbLb0EEEEDaSS_ST_EUlSS_E_NS1_11comp_targetILNS1_3genE0ELNS1_11target_archE4294967295ELNS1_3gpuE0ELNS1_3repE0EEENS1_30default_config_static_selectorELNS0_4arch9wavefront6targetE0EEEvT1_.has_recursion, 0
	.set _ZN7rocprim17ROCPRIM_400000_NS6detail17trampoline_kernelINS0_14default_configENS1_27scan_by_key_config_selectorIiiEEZZNS1_16scan_by_key_implILNS1_25lookback_scan_determinismE0ELb0ES3_PKiN6hipcub16HIPCUB_304000_NS21ConstantInputIteratorIilEEPiiNSB_3SumENSB_8EqualityEiEE10hipError_tPvRmT2_T3_T4_T5_mT6_T7_P12ihipStream_tbENKUlT_T0_E_clISt17integral_constantIbLb1EESW_IbLb0EEEEDaSS_ST_EUlSS_E_NS1_11comp_targetILNS1_3genE0ELNS1_11target_archE4294967295ELNS1_3gpuE0ELNS1_3repE0EEENS1_30default_config_static_selectorELNS0_4arch9wavefront6targetE0EEEvT1_.has_indirect_call, 0
	.section	.AMDGPU.csdata,"",@progbits
; Kernel info:
; codeLenInByte = 4
; TotalNumSgprs: 0
; NumVgprs: 0
; ScratchSize: 0
; MemoryBound: 0
; FloatMode: 240
; IeeeMode: 1
; LDSByteSize: 0 bytes/workgroup (compile time only)
; SGPRBlocks: 0
; VGPRBlocks: 0
; NumSGPRsForWavesPerEU: 1
; NumVGPRsForWavesPerEU: 1
; NamedBarCnt: 0
; Occupancy: 16
; WaveLimiterHint : 0
; COMPUTE_PGM_RSRC2:SCRATCH_EN: 0
; COMPUTE_PGM_RSRC2:USER_SGPR: 2
; COMPUTE_PGM_RSRC2:TRAP_HANDLER: 0
; COMPUTE_PGM_RSRC2:TGID_X_EN: 1
; COMPUTE_PGM_RSRC2:TGID_Y_EN: 0
; COMPUTE_PGM_RSRC2:TGID_Z_EN: 0
; COMPUTE_PGM_RSRC2:TIDIG_COMP_CNT: 0
	.section	.text._ZN7rocprim17ROCPRIM_400000_NS6detail17trampoline_kernelINS0_14default_configENS1_27scan_by_key_config_selectorIiiEEZZNS1_16scan_by_key_implILNS1_25lookback_scan_determinismE0ELb0ES3_PKiN6hipcub16HIPCUB_304000_NS21ConstantInputIteratorIilEEPiiNSB_3SumENSB_8EqualityEiEE10hipError_tPvRmT2_T3_T4_T5_mT6_T7_P12ihipStream_tbENKUlT_T0_E_clISt17integral_constantIbLb1EESW_IbLb0EEEEDaSS_ST_EUlSS_E_NS1_11comp_targetILNS1_3genE10ELNS1_11target_archE1201ELNS1_3gpuE5ELNS1_3repE0EEENS1_30default_config_static_selectorELNS0_4arch9wavefront6targetE0EEEvT1_,"axG",@progbits,_ZN7rocprim17ROCPRIM_400000_NS6detail17trampoline_kernelINS0_14default_configENS1_27scan_by_key_config_selectorIiiEEZZNS1_16scan_by_key_implILNS1_25lookback_scan_determinismE0ELb0ES3_PKiN6hipcub16HIPCUB_304000_NS21ConstantInputIteratorIilEEPiiNSB_3SumENSB_8EqualityEiEE10hipError_tPvRmT2_T3_T4_T5_mT6_T7_P12ihipStream_tbENKUlT_T0_E_clISt17integral_constantIbLb1EESW_IbLb0EEEEDaSS_ST_EUlSS_E_NS1_11comp_targetILNS1_3genE10ELNS1_11target_archE1201ELNS1_3gpuE5ELNS1_3repE0EEENS1_30default_config_static_selectorELNS0_4arch9wavefront6targetE0EEEvT1_,comdat
	.protected	_ZN7rocprim17ROCPRIM_400000_NS6detail17trampoline_kernelINS0_14default_configENS1_27scan_by_key_config_selectorIiiEEZZNS1_16scan_by_key_implILNS1_25lookback_scan_determinismE0ELb0ES3_PKiN6hipcub16HIPCUB_304000_NS21ConstantInputIteratorIilEEPiiNSB_3SumENSB_8EqualityEiEE10hipError_tPvRmT2_T3_T4_T5_mT6_T7_P12ihipStream_tbENKUlT_T0_E_clISt17integral_constantIbLb1EESW_IbLb0EEEEDaSS_ST_EUlSS_E_NS1_11comp_targetILNS1_3genE10ELNS1_11target_archE1201ELNS1_3gpuE5ELNS1_3repE0EEENS1_30default_config_static_selectorELNS0_4arch9wavefront6targetE0EEEvT1_ ; -- Begin function _ZN7rocprim17ROCPRIM_400000_NS6detail17trampoline_kernelINS0_14default_configENS1_27scan_by_key_config_selectorIiiEEZZNS1_16scan_by_key_implILNS1_25lookback_scan_determinismE0ELb0ES3_PKiN6hipcub16HIPCUB_304000_NS21ConstantInputIteratorIilEEPiiNSB_3SumENSB_8EqualityEiEE10hipError_tPvRmT2_T3_T4_T5_mT6_T7_P12ihipStream_tbENKUlT_T0_E_clISt17integral_constantIbLb1EESW_IbLb0EEEEDaSS_ST_EUlSS_E_NS1_11comp_targetILNS1_3genE10ELNS1_11target_archE1201ELNS1_3gpuE5ELNS1_3repE0EEENS1_30default_config_static_selectorELNS0_4arch9wavefront6targetE0EEEvT1_
	.globl	_ZN7rocprim17ROCPRIM_400000_NS6detail17trampoline_kernelINS0_14default_configENS1_27scan_by_key_config_selectorIiiEEZZNS1_16scan_by_key_implILNS1_25lookback_scan_determinismE0ELb0ES3_PKiN6hipcub16HIPCUB_304000_NS21ConstantInputIteratorIilEEPiiNSB_3SumENSB_8EqualityEiEE10hipError_tPvRmT2_T3_T4_T5_mT6_T7_P12ihipStream_tbENKUlT_T0_E_clISt17integral_constantIbLb1EESW_IbLb0EEEEDaSS_ST_EUlSS_E_NS1_11comp_targetILNS1_3genE10ELNS1_11target_archE1201ELNS1_3gpuE5ELNS1_3repE0EEENS1_30default_config_static_selectorELNS0_4arch9wavefront6targetE0EEEvT1_
	.p2align	8
	.type	_ZN7rocprim17ROCPRIM_400000_NS6detail17trampoline_kernelINS0_14default_configENS1_27scan_by_key_config_selectorIiiEEZZNS1_16scan_by_key_implILNS1_25lookback_scan_determinismE0ELb0ES3_PKiN6hipcub16HIPCUB_304000_NS21ConstantInputIteratorIilEEPiiNSB_3SumENSB_8EqualityEiEE10hipError_tPvRmT2_T3_T4_T5_mT6_T7_P12ihipStream_tbENKUlT_T0_E_clISt17integral_constantIbLb1EESW_IbLb0EEEEDaSS_ST_EUlSS_E_NS1_11comp_targetILNS1_3genE10ELNS1_11target_archE1201ELNS1_3gpuE5ELNS1_3repE0EEENS1_30default_config_static_selectorELNS0_4arch9wavefront6targetE0EEEvT1_,@function
_ZN7rocprim17ROCPRIM_400000_NS6detail17trampoline_kernelINS0_14default_configENS1_27scan_by_key_config_selectorIiiEEZZNS1_16scan_by_key_implILNS1_25lookback_scan_determinismE0ELb0ES3_PKiN6hipcub16HIPCUB_304000_NS21ConstantInputIteratorIilEEPiiNSB_3SumENSB_8EqualityEiEE10hipError_tPvRmT2_T3_T4_T5_mT6_T7_P12ihipStream_tbENKUlT_T0_E_clISt17integral_constantIbLb1EESW_IbLb0EEEEDaSS_ST_EUlSS_E_NS1_11comp_targetILNS1_3genE10ELNS1_11target_archE1201ELNS1_3gpuE5ELNS1_3repE0EEENS1_30default_config_static_selectorELNS0_4arch9wavefront6targetE0EEEvT1_: ; @_ZN7rocprim17ROCPRIM_400000_NS6detail17trampoline_kernelINS0_14default_configENS1_27scan_by_key_config_selectorIiiEEZZNS1_16scan_by_key_implILNS1_25lookback_scan_determinismE0ELb0ES3_PKiN6hipcub16HIPCUB_304000_NS21ConstantInputIteratorIilEEPiiNSB_3SumENSB_8EqualityEiEE10hipError_tPvRmT2_T3_T4_T5_mT6_T7_P12ihipStream_tbENKUlT_T0_E_clISt17integral_constantIbLb1EESW_IbLb0EEEEDaSS_ST_EUlSS_E_NS1_11comp_targetILNS1_3genE10ELNS1_11target_archE1201ELNS1_3gpuE5ELNS1_3repE0EEENS1_30default_config_static_selectorELNS0_4arch9wavefront6targetE0EEEvT1_
; %bb.0:
	.section	.rodata,"a",@progbits
	.p2align	6, 0x0
	.amdhsa_kernel _ZN7rocprim17ROCPRIM_400000_NS6detail17trampoline_kernelINS0_14default_configENS1_27scan_by_key_config_selectorIiiEEZZNS1_16scan_by_key_implILNS1_25lookback_scan_determinismE0ELb0ES3_PKiN6hipcub16HIPCUB_304000_NS21ConstantInputIteratorIilEEPiiNSB_3SumENSB_8EqualityEiEE10hipError_tPvRmT2_T3_T4_T5_mT6_T7_P12ihipStream_tbENKUlT_T0_E_clISt17integral_constantIbLb1EESW_IbLb0EEEEDaSS_ST_EUlSS_E_NS1_11comp_targetILNS1_3genE10ELNS1_11target_archE1201ELNS1_3gpuE5ELNS1_3repE0EEENS1_30default_config_static_selectorELNS0_4arch9wavefront6targetE0EEEvT1_
		.amdhsa_group_segment_fixed_size 0
		.amdhsa_private_segment_fixed_size 0
		.amdhsa_kernarg_size 120
		.amdhsa_user_sgpr_count 2
		.amdhsa_user_sgpr_dispatch_ptr 0
		.amdhsa_user_sgpr_queue_ptr 0
		.amdhsa_user_sgpr_kernarg_segment_ptr 1
		.amdhsa_user_sgpr_dispatch_id 0
		.amdhsa_user_sgpr_kernarg_preload_length 0
		.amdhsa_user_sgpr_kernarg_preload_offset 0
		.amdhsa_user_sgpr_private_segment_size 0
		.amdhsa_wavefront_size32 1
		.amdhsa_uses_dynamic_stack 0
		.amdhsa_enable_private_segment 0
		.amdhsa_system_sgpr_workgroup_id_x 1
		.amdhsa_system_sgpr_workgroup_id_y 0
		.amdhsa_system_sgpr_workgroup_id_z 0
		.amdhsa_system_sgpr_workgroup_info 0
		.amdhsa_system_vgpr_workitem_id 0
		.amdhsa_next_free_vgpr 1
		.amdhsa_next_free_sgpr 1
		.amdhsa_named_barrier_count 0
		.amdhsa_reserve_vcc 0
		.amdhsa_float_round_mode_32 0
		.amdhsa_float_round_mode_16_64 0
		.amdhsa_float_denorm_mode_32 3
		.amdhsa_float_denorm_mode_16_64 3
		.amdhsa_fp16_overflow 0
		.amdhsa_memory_ordered 1
		.amdhsa_forward_progress 1
		.amdhsa_inst_pref_size 0
		.amdhsa_round_robin_scheduling 0
		.amdhsa_exception_fp_ieee_invalid_op 0
		.amdhsa_exception_fp_denorm_src 0
		.amdhsa_exception_fp_ieee_div_zero 0
		.amdhsa_exception_fp_ieee_overflow 0
		.amdhsa_exception_fp_ieee_underflow 0
		.amdhsa_exception_fp_ieee_inexact 0
		.amdhsa_exception_int_div_zero 0
	.end_amdhsa_kernel
	.section	.text._ZN7rocprim17ROCPRIM_400000_NS6detail17trampoline_kernelINS0_14default_configENS1_27scan_by_key_config_selectorIiiEEZZNS1_16scan_by_key_implILNS1_25lookback_scan_determinismE0ELb0ES3_PKiN6hipcub16HIPCUB_304000_NS21ConstantInputIteratorIilEEPiiNSB_3SumENSB_8EqualityEiEE10hipError_tPvRmT2_T3_T4_T5_mT6_T7_P12ihipStream_tbENKUlT_T0_E_clISt17integral_constantIbLb1EESW_IbLb0EEEEDaSS_ST_EUlSS_E_NS1_11comp_targetILNS1_3genE10ELNS1_11target_archE1201ELNS1_3gpuE5ELNS1_3repE0EEENS1_30default_config_static_selectorELNS0_4arch9wavefront6targetE0EEEvT1_,"axG",@progbits,_ZN7rocprim17ROCPRIM_400000_NS6detail17trampoline_kernelINS0_14default_configENS1_27scan_by_key_config_selectorIiiEEZZNS1_16scan_by_key_implILNS1_25lookback_scan_determinismE0ELb0ES3_PKiN6hipcub16HIPCUB_304000_NS21ConstantInputIteratorIilEEPiiNSB_3SumENSB_8EqualityEiEE10hipError_tPvRmT2_T3_T4_T5_mT6_T7_P12ihipStream_tbENKUlT_T0_E_clISt17integral_constantIbLb1EESW_IbLb0EEEEDaSS_ST_EUlSS_E_NS1_11comp_targetILNS1_3genE10ELNS1_11target_archE1201ELNS1_3gpuE5ELNS1_3repE0EEENS1_30default_config_static_selectorELNS0_4arch9wavefront6targetE0EEEvT1_,comdat
.Lfunc_end33:
	.size	_ZN7rocprim17ROCPRIM_400000_NS6detail17trampoline_kernelINS0_14default_configENS1_27scan_by_key_config_selectorIiiEEZZNS1_16scan_by_key_implILNS1_25lookback_scan_determinismE0ELb0ES3_PKiN6hipcub16HIPCUB_304000_NS21ConstantInputIteratorIilEEPiiNSB_3SumENSB_8EqualityEiEE10hipError_tPvRmT2_T3_T4_T5_mT6_T7_P12ihipStream_tbENKUlT_T0_E_clISt17integral_constantIbLb1EESW_IbLb0EEEEDaSS_ST_EUlSS_E_NS1_11comp_targetILNS1_3genE10ELNS1_11target_archE1201ELNS1_3gpuE5ELNS1_3repE0EEENS1_30default_config_static_selectorELNS0_4arch9wavefront6targetE0EEEvT1_, .Lfunc_end33-_ZN7rocprim17ROCPRIM_400000_NS6detail17trampoline_kernelINS0_14default_configENS1_27scan_by_key_config_selectorIiiEEZZNS1_16scan_by_key_implILNS1_25lookback_scan_determinismE0ELb0ES3_PKiN6hipcub16HIPCUB_304000_NS21ConstantInputIteratorIilEEPiiNSB_3SumENSB_8EqualityEiEE10hipError_tPvRmT2_T3_T4_T5_mT6_T7_P12ihipStream_tbENKUlT_T0_E_clISt17integral_constantIbLb1EESW_IbLb0EEEEDaSS_ST_EUlSS_E_NS1_11comp_targetILNS1_3genE10ELNS1_11target_archE1201ELNS1_3gpuE5ELNS1_3repE0EEENS1_30default_config_static_selectorELNS0_4arch9wavefront6targetE0EEEvT1_
                                        ; -- End function
	.set _ZN7rocprim17ROCPRIM_400000_NS6detail17trampoline_kernelINS0_14default_configENS1_27scan_by_key_config_selectorIiiEEZZNS1_16scan_by_key_implILNS1_25lookback_scan_determinismE0ELb0ES3_PKiN6hipcub16HIPCUB_304000_NS21ConstantInputIteratorIilEEPiiNSB_3SumENSB_8EqualityEiEE10hipError_tPvRmT2_T3_T4_T5_mT6_T7_P12ihipStream_tbENKUlT_T0_E_clISt17integral_constantIbLb1EESW_IbLb0EEEEDaSS_ST_EUlSS_E_NS1_11comp_targetILNS1_3genE10ELNS1_11target_archE1201ELNS1_3gpuE5ELNS1_3repE0EEENS1_30default_config_static_selectorELNS0_4arch9wavefront6targetE0EEEvT1_.num_vgpr, 0
	.set _ZN7rocprim17ROCPRIM_400000_NS6detail17trampoline_kernelINS0_14default_configENS1_27scan_by_key_config_selectorIiiEEZZNS1_16scan_by_key_implILNS1_25lookback_scan_determinismE0ELb0ES3_PKiN6hipcub16HIPCUB_304000_NS21ConstantInputIteratorIilEEPiiNSB_3SumENSB_8EqualityEiEE10hipError_tPvRmT2_T3_T4_T5_mT6_T7_P12ihipStream_tbENKUlT_T0_E_clISt17integral_constantIbLb1EESW_IbLb0EEEEDaSS_ST_EUlSS_E_NS1_11comp_targetILNS1_3genE10ELNS1_11target_archE1201ELNS1_3gpuE5ELNS1_3repE0EEENS1_30default_config_static_selectorELNS0_4arch9wavefront6targetE0EEEvT1_.num_agpr, 0
	.set _ZN7rocprim17ROCPRIM_400000_NS6detail17trampoline_kernelINS0_14default_configENS1_27scan_by_key_config_selectorIiiEEZZNS1_16scan_by_key_implILNS1_25lookback_scan_determinismE0ELb0ES3_PKiN6hipcub16HIPCUB_304000_NS21ConstantInputIteratorIilEEPiiNSB_3SumENSB_8EqualityEiEE10hipError_tPvRmT2_T3_T4_T5_mT6_T7_P12ihipStream_tbENKUlT_T0_E_clISt17integral_constantIbLb1EESW_IbLb0EEEEDaSS_ST_EUlSS_E_NS1_11comp_targetILNS1_3genE10ELNS1_11target_archE1201ELNS1_3gpuE5ELNS1_3repE0EEENS1_30default_config_static_selectorELNS0_4arch9wavefront6targetE0EEEvT1_.numbered_sgpr, 0
	.set _ZN7rocprim17ROCPRIM_400000_NS6detail17trampoline_kernelINS0_14default_configENS1_27scan_by_key_config_selectorIiiEEZZNS1_16scan_by_key_implILNS1_25lookback_scan_determinismE0ELb0ES3_PKiN6hipcub16HIPCUB_304000_NS21ConstantInputIteratorIilEEPiiNSB_3SumENSB_8EqualityEiEE10hipError_tPvRmT2_T3_T4_T5_mT6_T7_P12ihipStream_tbENKUlT_T0_E_clISt17integral_constantIbLb1EESW_IbLb0EEEEDaSS_ST_EUlSS_E_NS1_11comp_targetILNS1_3genE10ELNS1_11target_archE1201ELNS1_3gpuE5ELNS1_3repE0EEENS1_30default_config_static_selectorELNS0_4arch9wavefront6targetE0EEEvT1_.num_named_barrier, 0
	.set _ZN7rocprim17ROCPRIM_400000_NS6detail17trampoline_kernelINS0_14default_configENS1_27scan_by_key_config_selectorIiiEEZZNS1_16scan_by_key_implILNS1_25lookback_scan_determinismE0ELb0ES3_PKiN6hipcub16HIPCUB_304000_NS21ConstantInputIteratorIilEEPiiNSB_3SumENSB_8EqualityEiEE10hipError_tPvRmT2_T3_T4_T5_mT6_T7_P12ihipStream_tbENKUlT_T0_E_clISt17integral_constantIbLb1EESW_IbLb0EEEEDaSS_ST_EUlSS_E_NS1_11comp_targetILNS1_3genE10ELNS1_11target_archE1201ELNS1_3gpuE5ELNS1_3repE0EEENS1_30default_config_static_selectorELNS0_4arch9wavefront6targetE0EEEvT1_.private_seg_size, 0
	.set _ZN7rocprim17ROCPRIM_400000_NS6detail17trampoline_kernelINS0_14default_configENS1_27scan_by_key_config_selectorIiiEEZZNS1_16scan_by_key_implILNS1_25lookback_scan_determinismE0ELb0ES3_PKiN6hipcub16HIPCUB_304000_NS21ConstantInputIteratorIilEEPiiNSB_3SumENSB_8EqualityEiEE10hipError_tPvRmT2_T3_T4_T5_mT6_T7_P12ihipStream_tbENKUlT_T0_E_clISt17integral_constantIbLb1EESW_IbLb0EEEEDaSS_ST_EUlSS_E_NS1_11comp_targetILNS1_3genE10ELNS1_11target_archE1201ELNS1_3gpuE5ELNS1_3repE0EEENS1_30default_config_static_selectorELNS0_4arch9wavefront6targetE0EEEvT1_.uses_vcc, 0
	.set _ZN7rocprim17ROCPRIM_400000_NS6detail17trampoline_kernelINS0_14default_configENS1_27scan_by_key_config_selectorIiiEEZZNS1_16scan_by_key_implILNS1_25lookback_scan_determinismE0ELb0ES3_PKiN6hipcub16HIPCUB_304000_NS21ConstantInputIteratorIilEEPiiNSB_3SumENSB_8EqualityEiEE10hipError_tPvRmT2_T3_T4_T5_mT6_T7_P12ihipStream_tbENKUlT_T0_E_clISt17integral_constantIbLb1EESW_IbLb0EEEEDaSS_ST_EUlSS_E_NS1_11comp_targetILNS1_3genE10ELNS1_11target_archE1201ELNS1_3gpuE5ELNS1_3repE0EEENS1_30default_config_static_selectorELNS0_4arch9wavefront6targetE0EEEvT1_.uses_flat_scratch, 0
	.set _ZN7rocprim17ROCPRIM_400000_NS6detail17trampoline_kernelINS0_14default_configENS1_27scan_by_key_config_selectorIiiEEZZNS1_16scan_by_key_implILNS1_25lookback_scan_determinismE0ELb0ES3_PKiN6hipcub16HIPCUB_304000_NS21ConstantInputIteratorIilEEPiiNSB_3SumENSB_8EqualityEiEE10hipError_tPvRmT2_T3_T4_T5_mT6_T7_P12ihipStream_tbENKUlT_T0_E_clISt17integral_constantIbLb1EESW_IbLb0EEEEDaSS_ST_EUlSS_E_NS1_11comp_targetILNS1_3genE10ELNS1_11target_archE1201ELNS1_3gpuE5ELNS1_3repE0EEENS1_30default_config_static_selectorELNS0_4arch9wavefront6targetE0EEEvT1_.has_dyn_sized_stack, 0
	.set _ZN7rocprim17ROCPRIM_400000_NS6detail17trampoline_kernelINS0_14default_configENS1_27scan_by_key_config_selectorIiiEEZZNS1_16scan_by_key_implILNS1_25lookback_scan_determinismE0ELb0ES3_PKiN6hipcub16HIPCUB_304000_NS21ConstantInputIteratorIilEEPiiNSB_3SumENSB_8EqualityEiEE10hipError_tPvRmT2_T3_T4_T5_mT6_T7_P12ihipStream_tbENKUlT_T0_E_clISt17integral_constantIbLb1EESW_IbLb0EEEEDaSS_ST_EUlSS_E_NS1_11comp_targetILNS1_3genE10ELNS1_11target_archE1201ELNS1_3gpuE5ELNS1_3repE0EEENS1_30default_config_static_selectorELNS0_4arch9wavefront6targetE0EEEvT1_.has_recursion, 0
	.set _ZN7rocprim17ROCPRIM_400000_NS6detail17trampoline_kernelINS0_14default_configENS1_27scan_by_key_config_selectorIiiEEZZNS1_16scan_by_key_implILNS1_25lookback_scan_determinismE0ELb0ES3_PKiN6hipcub16HIPCUB_304000_NS21ConstantInputIteratorIilEEPiiNSB_3SumENSB_8EqualityEiEE10hipError_tPvRmT2_T3_T4_T5_mT6_T7_P12ihipStream_tbENKUlT_T0_E_clISt17integral_constantIbLb1EESW_IbLb0EEEEDaSS_ST_EUlSS_E_NS1_11comp_targetILNS1_3genE10ELNS1_11target_archE1201ELNS1_3gpuE5ELNS1_3repE0EEENS1_30default_config_static_selectorELNS0_4arch9wavefront6targetE0EEEvT1_.has_indirect_call, 0
	.section	.AMDGPU.csdata,"",@progbits
; Kernel info:
; codeLenInByte = 0
; TotalNumSgprs: 0
; NumVgprs: 0
; ScratchSize: 0
; MemoryBound: 0
; FloatMode: 240
; IeeeMode: 1
; LDSByteSize: 0 bytes/workgroup (compile time only)
; SGPRBlocks: 0
; VGPRBlocks: 0
; NumSGPRsForWavesPerEU: 1
; NumVGPRsForWavesPerEU: 1
; NamedBarCnt: 0
; Occupancy: 16
; WaveLimiterHint : 0
; COMPUTE_PGM_RSRC2:SCRATCH_EN: 0
; COMPUTE_PGM_RSRC2:USER_SGPR: 2
; COMPUTE_PGM_RSRC2:TRAP_HANDLER: 0
; COMPUTE_PGM_RSRC2:TGID_X_EN: 1
; COMPUTE_PGM_RSRC2:TGID_Y_EN: 0
; COMPUTE_PGM_RSRC2:TGID_Z_EN: 0
; COMPUTE_PGM_RSRC2:TIDIG_COMP_CNT: 0
	.section	.text._ZN7rocprim17ROCPRIM_400000_NS6detail17trampoline_kernelINS0_14default_configENS1_27scan_by_key_config_selectorIiiEEZZNS1_16scan_by_key_implILNS1_25lookback_scan_determinismE0ELb0ES3_PKiN6hipcub16HIPCUB_304000_NS21ConstantInputIteratorIilEEPiiNSB_3SumENSB_8EqualityEiEE10hipError_tPvRmT2_T3_T4_T5_mT6_T7_P12ihipStream_tbENKUlT_T0_E_clISt17integral_constantIbLb1EESW_IbLb0EEEEDaSS_ST_EUlSS_E_NS1_11comp_targetILNS1_3genE5ELNS1_11target_archE942ELNS1_3gpuE9ELNS1_3repE0EEENS1_30default_config_static_selectorELNS0_4arch9wavefront6targetE0EEEvT1_,"axG",@progbits,_ZN7rocprim17ROCPRIM_400000_NS6detail17trampoline_kernelINS0_14default_configENS1_27scan_by_key_config_selectorIiiEEZZNS1_16scan_by_key_implILNS1_25lookback_scan_determinismE0ELb0ES3_PKiN6hipcub16HIPCUB_304000_NS21ConstantInputIteratorIilEEPiiNSB_3SumENSB_8EqualityEiEE10hipError_tPvRmT2_T3_T4_T5_mT6_T7_P12ihipStream_tbENKUlT_T0_E_clISt17integral_constantIbLb1EESW_IbLb0EEEEDaSS_ST_EUlSS_E_NS1_11comp_targetILNS1_3genE5ELNS1_11target_archE942ELNS1_3gpuE9ELNS1_3repE0EEENS1_30default_config_static_selectorELNS0_4arch9wavefront6targetE0EEEvT1_,comdat
	.protected	_ZN7rocprim17ROCPRIM_400000_NS6detail17trampoline_kernelINS0_14default_configENS1_27scan_by_key_config_selectorIiiEEZZNS1_16scan_by_key_implILNS1_25lookback_scan_determinismE0ELb0ES3_PKiN6hipcub16HIPCUB_304000_NS21ConstantInputIteratorIilEEPiiNSB_3SumENSB_8EqualityEiEE10hipError_tPvRmT2_T3_T4_T5_mT6_T7_P12ihipStream_tbENKUlT_T0_E_clISt17integral_constantIbLb1EESW_IbLb0EEEEDaSS_ST_EUlSS_E_NS1_11comp_targetILNS1_3genE5ELNS1_11target_archE942ELNS1_3gpuE9ELNS1_3repE0EEENS1_30default_config_static_selectorELNS0_4arch9wavefront6targetE0EEEvT1_ ; -- Begin function _ZN7rocprim17ROCPRIM_400000_NS6detail17trampoline_kernelINS0_14default_configENS1_27scan_by_key_config_selectorIiiEEZZNS1_16scan_by_key_implILNS1_25lookback_scan_determinismE0ELb0ES3_PKiN6hipcub16HIPCUB_304000_NS21ConstantInputIteratorIilEEPiiNSB_3SumENSB_8EqualityEiEE10hipError_tPvRmT2_T3_T4_T5_mT6_T7_P12ihipStream_tbENKUlT_T0_E_clISt17integral_constantIbLb1EESW_IbLb0EEEEDaSS_ST_EUlSS_E_NS1_11comp_targetILNS1_3genE5ELNS1_11target_archE942ELNS1_3gpuE9ELNS1_3repE0EEENS1_30default_config_static_selectorELNS0_4arch9wavefront6targetE0EEEvT1_
	.globl	_ZN7rocprim17ROCPRIM_400000_NS6detail17trampoline_kernelINS0_14default_configENS1_27scan_by_key_config_selectorIiiEEZZNS1_16scan_by_key_implILNS1_25lookback_scan_determinismE0ELb0ES3_PKiN6hipcub16HIPCUB_304000_NS21ConstantInputIteratorIilEEPiiNSB_3SumENSB_8EqualityEiEE10hipError_tPvRmT2_T3_T4_T5_mT6_T7_P12ihipStream_tbENKUlT_T0_E_clISt17integral_constantIbLb1EESW_IbLb0EEEEDaSS_ST_EUlSS_E_NS1_11comp_targetILNS1_3genE5ELNS1_11target_archE942ELNS1_3gpuE9ELNS1_3repE0EEENS1_30default_config_static_selectorELNS0_4arch9wavefront6targetE0EEEvT1_
	.p2align	8
	.type	_ZN7rocprim17ROCPRIM_400000_NS6detail17trampoline_kernelINS0_14default_configENS1_27scan_by_key_config_selectorIiiEEZZNS1_16scan_by_key_implILNS1_25lookback_scan_determinismE0ELb0ES3_PKiN6hipcub16HIPCUB_304000_NS21ConstantInputIteratorIilEEPiiNSB_3SumENSB_8EqualityEiEE10hipError_tPvRmT2_T3_T4_T5_mT6_T7_P12ihipStream_tbENKUlT_T0_E_clISt17integral_constantIbLb1EESW_IbLb0EEEEDaSS_ST_EUlSS_E_NS1_11comp_targetILNS1_3genE5ELNS1_11target_archE942ELNS1_3gpuE9ELNS1_3repE0EEENS1_30default_config_static_selectorELNS0_4arch9wavefront6targetE0EEEvT1_,@function
_ZN7rocprim17ROCPRIM_400000_NS6detail17trampoline_kernelINS0_14default_configENS1_27scan_by_key_config_selectorIiiEEZZNS1_16scan_by_key_implILNS1_25lookback_scan_determinismE0ELb0ES3_PKiN6hipcub16HIPCUB_304000_NS21ConstantInputIteratorIilEEPiiNSB_3SumENSB_8EqualityEiEE10hipError_tPvRmT2_T3_T4_T5_mT6_T7_P12ihipStream_tbENKUlT_T0_E_clISt17integral_constantIbLb1EESW_IbLb0EEEEDaSS_ST_EUlSS_E_NS1_11comp_targetILNS1_3genE5ELNS1_11target_archE942ELNS1_3gpuE9ELNS1_3repE0EEENS1_30default_config_static_selectorELNS0_4arch9wavefront6targetE0EEEvT1_: ; @_ZN7rocprim17ROCPRIM_400000_NS6detail17trampoline_kernelINS0_14default_configENS1_27scan_by_key_config_selectorIiiEEZZNS1_16scan_by_key_implILNS1_25lookback_scan_determinismE0ELb0ES3_PKiN6hipcub16HIPCUB_304000_NS21ConstantInputIteratorIilEEPiiNSB_3SumENSB_8EqualityEiEE10hipError_tPvRmT2_T3_T4_T5_mT6_T7_P12ihipStream_tbENKUlT_T0_E_clISt17integral_constantIbLb1EESW_IbLb0EEEEDaSS_ST_EUlSS_E_NS1_11comp_targetILNS1_3genE5ELNS1_11target_archE942ELNS1_3gpuE9ELNS1_3repE0EEENS1_30default_config_static_selectorELNS0_4arch9wavefront6targetE0EEEvT1_
; %bb.0:
	.section	.rodata,"a",@progbits
	.p2align	6, 0x0
	.amdhsa_kernel _ZN7rocprim17ROCPRIM_400000_NS6detail17trampoline_kernelINS0_14default_configENS1_27scan_by_key_config_selectorIiiEEZZNS1_16scan_by_key_implILNS1_25lookback_scan_determinismE0ELb0ES3_PKiN6hipcub16HIPCUB_304000_NS21ConstantInputIteratorIilEEPiiNSB_3SumENSB_8EqualityEiEE10hipError_tPvRmT2_T3_T4_T5_mT6_T7_P12ihipStream_tbENKUlT_T0_E_clISt17integral_constantIbLb1EESW_IbLb0EEEEDaSS_ST_EUlSS_E_NS1_11comp_targetILNS1_3genE5ELNS1_11target_archE942ELNS1_3gpuE9ELNS1_3repE0EEENS1_30default_config_static_selectorELNS0_4arch9wavefront6targetE0EEEvT1_
		.amdhsa_group_segment_fixed_size 0
		.amdhsa_private_segment_fixed_size 0
		.amdhsa_kernarg_size 120
		.amdhsa_user_sgpr_count 2
		.amdhsa_user_sgpr_dispatch_ptr 0
		.amdhsa_user_sgpr_queue_ptr 0
		.amdhsa_user_sgpr_kernarg_segment_ptr 1
		.amdhsa_user_sgpr_dispatch_id 0
		.amdhsa_user_sgpr_kernarg_preload_length 0
		.amdhsa_user_sgpr_kernarg_preload_offset 0
		.amdhsa_user_sgpr_private_segment_size 0
		.amdhsa_wavefront_size32 1
		.amdhsa_uses_dynamic_stack 0
		.amdhsa_enable_private_segment 0
		.amdhsa_system_sgpr_workgroup_id_x 1
		.amdhsa_system_sgpr_workgroup_id_y 0
		.amdhsa_system_sgpr_workgroup_id_z 0
		.amdhsa_system_sgpr_workgroup_info 0
		.amdhsa_system_vgpr_workitem_id 0
		.amdhsa_next_free_vgpr 1
		.amdhsa_next_free_sgpr 1
		.amdhsa_named_barrier_count 0
		.amdhsa_reserve_vcc 0
		.amdhsa_float_round_mode_32 0
		.amdhsa_float_round_mode_16_64 0
		.amdhsa_float_denorm_mode_32 3
		.amdhsa_float_denorm_mode_16_64 3
		.amdhsa_fp16_overflow 0
		.amdhsa_memory_ordered 1
		.amdhsa_forward_progress 1
		.amdhsa_inst_pref_size 0
		.amdhsa_round_robin_scheduling 0
		.amdhsa_exception_fp_ieee_invalid_op 0
		.amdhsa_exception_fp_denorm_src 0
		.amdhsa_exception_fp_ieee_div_zero 0
		.amdhsa_exception_fp_ieee_overflow 0
		.amdhsa_exception_fp_ieee_underflow 0
		.amdhsa_exception_fp_ieee_inexact 0
		.amdhsa_exception_int_div_zero 0
	.end_amdhsa_kernel
	.section	.text._ZN7rocprim17ROCPRIM_400000_NS6detail17trampoline_kernelINS0_14default_configENS1_27scan_by_key_config_selectorIiiEEZZNS1_16scan_by_key_implILNS1_25lookback_scan_determinismE0ELb0ES3_PKiN6hipcub16HIPCUB_304000_NS21ConstantInputIteratorIilEEPiiNSB_3SumENSB_8EqualityEiEE10hipError_tPvRmT2_T3_T4_T5_mT6_T7_P12ihipStream_tbENKUlT_T0_E_clISt17integral_constantIbLb1EESW_IbLb0EEEEDaSS_ST_EUlSS_E_NS1_11comp_targetILNS1_3genE5ELNS1_11target_archE942ELNS1_3gpuE9ELNS1_3repE0EEENS1_30default_config_static_selectorELNS0_4arch9wavefront6targetE0EEEvT1_,"axG",@progbits,_ZN7rocprim17ROCPRIM_400000_NS6detail17trampoline_kernelINS0_14default_configENS1_27scan_by_key_config_selectorIiiEEZZNS1_16scan_by_key_implILNS1_25lookback_scan_determinismE0ELb0ES3_PKiN6hipcub16HIPCUB_304000_NS21ConstantInputIteratorIilEEPiiNSB_3SumENSB_8EqualityEiEE10hipError_tPvRmT2_T3_T4_T5_mT6_T7_P12ihipStream_tbENKUlT_T0_E_clISt17integral_constantIbLb1EESW_IbLb0EEEEDaSS_ST_EUlSS_E_NS1_11comp_targetILNS1_3genE5ELNS1_11target_archE942ELNS1_3gpuE9ELNS1_3repE0EEENS1_30default_config_static_selectorELNS0_4arch9wavefront6targetE0EEEvT1_,comdat
.Lfunc_end34:
	.size	_ZN7rocprim17ROCPRIM_400000_NS6detail17trampoline_kernelINS0_14default_configENS1_27scan_by_key_config_selectorIiiEEZZNS1_16scan_by_key_implILNS1_25lookback_scan_determinismE0ELb0ES3_PKiN6hipcub16HIPCUB_304000_NS21ConstantInputIteratorIilEEPiiNSB_3SumENSB_8EqualityEiEE10hipError_tPvRmT2_T3_T4_T5_mT6_T7_P12ihipStream_tbENKUlT_T0_E_clISt17integral_constantIbLb1EESW_IbLb0EEEEDaSS_ST_EUlSS_E_NS1_11comp_targetILNS1_3genE5ELNS1_11target_archE942ELNS1_3gpuE9ELNS1_3repE0EEENS1_30default_config_static_selectorELNS0_4arch9wavefront6targetE0EEEvT1_, .Lfunc_end34-_ZN7rocprim17ROCPRIM_400000_NS6detail17trampoline_kernelINS0_14default_configENS1_27scan_by_key_config_selectorIiiEEZZNS1_16scan_by_key_implILNS1_25lookback_scan_determinismE0ELb0ES3_PKiN6hipcub16HIPCUB_304000_NS21ConstantInputIteratorIilEEPiiNSB_3SumENSB_8EqualityEiEE10hipError_tPvRmT2_T3_T4_T5_mT6_T7_P12ihipStream_tbENKUlT_T0_E_clISt17integral_constantIbLb1EESW_IbLb0EEEEDaSS_ST_EUlSS_E_NS1_11comp_targetILNS1_3genE5ELNS1_11target_archE942ELNS1_3gpuE9ELNS1_3repE0EEENS1_30default_config_static_selectorELNS0_4arch9wavefront6targetE0EEEvT1_
                                        ; -- End function
	.set _ZN7rocprim17ROCPRIM_400000_NS6detail17trampoline_kernelINS0_14default_configENS1_27scan_by_key_config_selectorIiiEEZZNS1_16scan_by_key_implILNS1_25lookback_scan_determinismE0ELb0ES3_PKiN6hipcub16HIPCUB_304000_NS21ConstantInputIteratorIilEEPiiNSB_3SumENSB_8EqualityEiEE10hipError_tPvRmT2_T3_T4_T5_mT6_T7_P12ihipStream_tbENKUlT_T0_E_clISt17integral_constantIbLb1EESW_IbLb0EEEEDaSS_ST_EUlSS_E_NS1_11comp_targetILNS1_3genE5ELNS1_11target_archE942ELNS1_3gpuE9ELNS1_3repE0EEENS1_30default_config_static_selectorELNS0_4arch9wavefront6targetE0EEEvT1_.num_vgpr, 0
	.set _ZN7rocprim17ROCPRIM_400000_NS6detail17trampoline_kernelINS0_14default_configENS1_27scan_by_key_config_selectorIiiEEZZNS1_16scan_by_key_implILNS1_25lookback_scan_determinismE0ELb0ES3_PKiN6hipcub16HIPCUB_304000_NS21ConstantInputIteratorIilEEPiiNSB_3SumENSB_8EqualityEiEE10hipError_tPvRmT2_T3_T4_T5_mT6_T7_P12ihipStream_tbENKUlT_T0_E_clISt17integral_constantIbLb1EESW_IbLb0EEEEDaSS_ST_EUlSS_E_NS1_11comp_targetILNS1_3genE5ELNS1_11target_archE942ELNS1_3gpuE9ELNS1_3repE0EEENS1_30default_config_static_selectorELNS0_4arch9wavefront6targetE0EEEvT1_.num_agpr, 0
	.set _ZN7rocprim17ROCPRIM_400000_NS6detail17trampoline_kernelINS0_14default_configENS1_27scan_by_key_config_selectorIiiEEZZNS1_16scan_by_key_implILNS1_25lookback_scan_determinismE0ELb0ES3_PKiN6hipcub16HIPCUB_304000_NS21ConstantInputIteratorIilEEPiiNSB_3SumENSB_8EqualityEiEE10hipError_tPvRmT2_T3_T4_T5_mT6_T7_P12ihipStream_tbENKUlT_T0_E_clISt17integral_constantIbLb1EESW_IbLb0EEEEDaSS_ST_EUlSS_E_NS1_11comp_targetILNS1_3genE5ELNS1_11target_archE942ELNS1_3gpuE9ELNS1_3repE0EEENS1_30default_config_static_selectorELNS0_4arch9wavefront6targetE0EEEvT1_.numbered_sgpr, 0
	.set _ZN7rocprim17ROCPRIM_400000_NS6detail17trampoline_kernelINS0_14default_configENS1_27scan_by_key_config_selectorIiiEEZZNS1_16scan_by_key_implILNS1_25lookback_scan_determinismE0ELb0ES3_PKiN6hipcub16HIPCUB_304000_NS21ConstantInputIteratorIilEEPiiNSB_3SumENSB_8EqualityEiEE10hipError_tPvRmT2_T3_T4_T5_mT6_T7_P12ihipStream_tbENKUlT_T0_E_clISt17integral_constantIbLb1EESW_IbLb0EEEEDaSS_ST_EUlSS_E_NS1_11comp_targetILNS1_3genE5ELNS1_11target_archE942ELNS1_3gpuE9ELNS1_3repE0EEENS1_30default_config_static_selectorELNS0_4arch9wavefront6targetE0EEEvT1_.num_named_barrier, 0
	.set _ZN7rocprim17ROCPRIM_400000_NS6detail17trampoline_kernelINS0_14default_configENS1_27scan_by_key_config_selectorIiiEEZZNS1_16scan_by_key_implILNS1_25lookback_scan_determinismE0ELb0ES3_PKiN6hipcub16HIPCUB_304000_NS21ConstantInputIteratorIilEEPiiNSB_3SumENSB_8EqualityEiEE10hipError_tPvRmT2_T3_T4_T5_mT6_T7_P12ihipStream_tbENKUlT_T0_E_clISt17integral_constantIbLb1EESW_IbLb0EEEEDaSS_ST_EUlSS_E_NS1_11comp_targetILNS1_3genE5ELNS1_11target_archE942ELNS1_3gpuE9ELNS1_3repE0EEENS1_30default_config_static_selectorELNS0_4arch9wavefront6targetE0EEEvT1_.private_seg_size, 0
	.set _ZN7rocprim17ROCPRIM_400000_NS6detail17trampoline_kernelINS0_14default_configENS1_27scan_by_key_config_selectorIiiEEZZNS1_16scan_by_key_implILNS1_25lookback_scan_determinismE0ELb0ES3_PKiN6hipcub16HIPCUB_304000_NS21ConstantInputIteratorIilEEPiiNSB_3SumENSB_8EqualityEiEE10hipError_tPvRmT2_T3_T4_T5_mT6_T7_P12ihipStream_tbENKUlT_T0_E_clISt17integral_constantIbLb1EESW_IbLb0EEEEDaSS_ST_EUlSS_E_NS1_11comp_targetILNS1_3genE5ELNS1_11target_archE942ELNS1_3gpuE9ELNS1_3repE0EEENS1_30default_config_static_selectorELNS0_4arch9wavefront6targetE0EEEvT1_.uses_vcc, 0
	.set _ZN7rocprim17ROCPRIM_400000_NS6detail17trampoline_kernelINS0_14default_configENS1_27scan_by_key_config_selectorIiiEEZZNS1_16scan_by_key_implILNS1_25lookback_scan_determinismE0ELb0ES3_PKiN6hipcub16HIPCUB_304000_NS21ConstantInputIteratorIilEEPiiNSB_3SumENSB_8EqualityEiEE10hipError_tPvRmT2_T3_T4_T5_mT6_T7_P12ihipStream_tbENKUlT_T0_E_clISt17integral_constantIbLb1EESW_IbLb0EEEEDaSS_ST_EUlSS_E_NS1_11comp_targetILNS1_3genE5ELNS1_11target_archE942ELNS1_3gpuE9ELNS1_3repE0EEENS1_30default_config_static_selectorELNS0_4arch9wavefront6targetE0EEEvT1_.uses_flat_scratch, 0
	.set _ZN7rocprim17ROCPRIM_400000_NS6detail17trampoline_kernelINS0_14default_configENS1_27scan_by_key_config_selectorIiiEEZZNS1_16scan_by_key_implILNS1_25lookback_scan_determinismE0ELb0ES3_PKiN6hipcub16HIPCUB_304000_NS21ConstantInputIteratorIilEEPiiNSB_3SumENSB_8EqualityEiEE10hipError_tPvRmT2_T3_T4_T5_mT6_T7_P12ihipStream_tbENKUlT_T0_E_clISt17integral_constantIbLb1EESW_IbLb0EEEEDaSS_ST_EUlSS_E_NS1_11comp_targetILNS1_3genE5ELNS1_11target_archE942ELNS1_3gpuE9ELNS1_3repE0EEENS1_30default_config_static_selectorELNS0_4arch9wavefront6targetE0EEEvT1_.has_dyn_sized_stack, 0
	.set _ZN7rocprim17ROCPRIM_400000_NS6detail17trampoline_kernelINS0_14default_configENS1_27scan_by_key_config_selectorIiiEEZZNS1_16scan_by_key_implILNS1_25lookback_scan_determinismE0ELb0ES3_PKiN6hipcub16HIPCUB_304000_NS21ConstantInputIteratorIilEEPiiNSB_3SumENSB_8EqualityEiEE10hipError_tPvRmT2_T3_T4_T5_mT6_T7_P12ihipStream_tbENKUlT_T0_E_clISt17integral_constantIbLb1EESW_IbLb0EEEEDaSS_ST_EUlSS_E_NS1_11comp_targetILNS1_3genE5ELNS1_11target_archE942ELNS1_3gpuE9ELNS1_3repE0EEENS1_30default_config_static_selectorELNS0_4arch9wavefront6targetE0EEEvT1_.has_recursion, 0
	.set _ZN7rocprim17ROCPRIM_400000_NS6detail17trampoline_kernelINS0_14default_configENS1_27scan_by_key_config_selectorIiiEEZZNS1_16scan_by_key_implILNS1_25lookback_scan_determinismE0ELb0ES3_PKiN6hipcub16HIPCUB_304000_NS21ConstantInputIteratorIilEEPiiNSB_3SumENSB_8EqualityEiEE10hipError_tPvRmT2_T3_T4_T5_mT6_T7_P12ihipStream_tbENKUlT_T0_E_clISt17integral_constantIbLb1EESW_IbLb0EEEEDaSS_ST_EUlSS_E_NS1_11comp_targetILNS1_3genE5ELNS1_11target_archE942ELNS1_3gpuE9ELNS1_3repE0EEENS1_30default_config_static_selectorELNS0_4arch9wavefront6targetE0EEEvT1_.has_indirect_call, 0
	.section	.AMDGPU.csdata,"",@progbits
; Kernel info:
; codeLenInByte = 0
; TotalNumSgprs: 0
; NumVgprs: 0
; ScratchSize: 0
; MemoryBound: 0
; FloatMode: 240
; IeeeMode: 1
; LDSByteSize: 0 bytes/workgroup (compile time only)
; SGPRBlocks: 0
; VGPRBlocks: 0
; NumSGPRsForWavesPerEU: 1
; NumVGPRsForWavesPerEU: 1
; NamedBarCnt: 0
; Occupancy: 16
; WaveLimiterHint : 0
; COMPUTE_PGM_RSRC2:SCRATCH_EN: 0
; COMPUTE_PGM_RSRC2:USER_SGPR: 2
; COMPUTE_PGM_RSRC2:TRAP_HANDLER: 0
; COMPUTE_PGM_RSRC2:TGID_X_EN: 1
; COMPUTE_PGM_RSRC2:TGID_Y_EN: 0
; COMPUTE_PGM_RSRC2:TGID_Z_EN: 0
; COMPUTE_PGM_RSRC2:TIDIG_COMP_CNT: 0
	.section	.text._ZN7rocprim17ROCPRIM_400000_NS6detail17trampoline_kernelINS0_14default_configENS1_27scan_by_key_config_selectorIiiEEZZNS1_16scan_by_key_implILNS1_25lookback_scan_determinismE0ELb0ES3_PKiN6hipcub16HIPCUB_304000_NS21ConstantInputIteratorIilEEPiiNSB_3SumENSB_8EqualityEiEE10hipError_tPvRmT2_T3_T4_T5_mT6_T7_P12ihipStream_tbENKUlT_T0_E_clISt17integral_constantIbLb1EESW_IbLb0EEEEDaSS_ST_EUlSS_E_NS1_11comp_targetILNS1_3genE4ELNS1_11target_archE910ELNS1_3gpuE8ELNS1_3repE0EEENS1_30default_config_static_selectorELNS0_4arch9wavefront6targetE0EEEvT1_,"axG",@progbits,_ZN7rocprim17ROCPRIM_400000_NS6detail17trampoline_kernelINS0_14default_configENS1_27scan_by_key_config_selectorIiiEEZZNS1_16scan_by_key_implILNS1_25lookback_scan_determinismE0ELb0ES3_PKiN6hipcub16HIPCUB_304000_NS21ConstantInputIteratorIilEEPiiNSB_3SumENSB_8EqualityEiEE10hipError_tPvRmT2_T3_T4_T5_mT6_T7_P12ihipStream_tbENKUlT_T0_E_clISt17integral_constantIbLb1EESW_IbLb0EEEEDaSS_ST_EUlSS_E_NS1_11comp_targetILNS1_3genE4ELNS1_11target_archE910ELNS1_3gpuE8ELNS1_3repE0EEENS1_30default_config_static_selectorELNS0_4arch9wavefront6targetE0EEEvT1_,comdat
	.protected	_ZN7rocprim17ROCPRIM_400000_NS6detail17trampoline_kernelINS0_14default_configENS1_27scan_by_key_config_selectorIiiEEZZNS1_16scan_by_key_implILNS1_25lookback_scan_determinismE0ELb0ES3_PKiN6hipcub16HIPCUB_304000_NS21ConstantInputIteratorIilEEPiiNSB_3SumENSB_8EqualityEiEE10hipError_tPvRmT2_T3_T4_T5_mT6_T7_P12ihipStream_tbENKUlT_T0_E_clISt17integral_constantIbLb1EESW_IbLb0EEEEDaSS_ST_EUlSS_E_NS1_11comp_targetILNS1_3genE4ELNS1_11target_archE910ELNS1_3gpuE8ELNS1_3repE0EEENS1_30default_config_static_selectorELNS0_4arch9wavefront6targetE0EEEvT1_ ; -- Begin function _ZN7rocprim17ROCPRIM_400000_NS6detail17trampoline_kernelINS0_14default_configENS1_27scan_by_key_config_selectorIiiEEZZNS1_16scan_by_key_implILNS1_25lookback_scan_determinismE0ELb0ES3_PKiN6hipcub16HIPCUB_304000_NS21ConstantInputIteratorIilEEPiiNSB_3SumENSB_8EqualityEiEE10hipError_tPvRmT2_T3_T4_T5_mT6_T7_P12ihipStream_tbENKUlT_T0_E_clISt17integral_constantIbLb1EESW_IbLb0EEEEDaSS_ST_EUlSS_E_NS1_11comp_targetILNS1_3genE4ELNS1_11target_archE910ELNS1_3gpuE8ELNS1_3repE0EEENS1_30default_config_static_selectorELNS0_4arch9wavefront6targetE0EEEvT1_
	.globl	_ZN7rocprim17ROCPRIM_400000_NS6detail17trampoline_kernelINS0_14default_configENS1_27scan_by_key_config_selectorIiiEEZZNS1_16scan_by_key_implILNS1_25lookback_scan_determinismE0ELb0ES3_PKiN6hipcub16HIPCUB_304000_NS21ConstantInputIteratorIilEEPiiNSB_3SumENSB_8EqualityEiEE10hipError_tPvRmT2_T3_T4_T5_mT6_T7_P12ihipStream_tbENKUlT_T0_E_clISt17integral_constantIbLb1EESW_IbLb0EEEEDaSS_ST_EUlSS_E_NS1_11comp_targetILNS1_3genE4ELNS1_11target_archE910ELNS1_3gpuE8ELNS1_3repE0EEENS1_30default_config_static_selectorELNS0_4arch9wavefront6targetE0EEEvT1_
	.p2align	8
	.type	_ZN7rocprim17ROCPRIM_400000_NS6detail17trampoline_kernelINS0_14default_configENS1_27scan_by_key_config_selectorIiiEEZZNS1_16scan_by_key_implILNS1_25lookback_scan_determinismE0ELb0ES3_PKiN6hipcub16HIPCUB_304000_NS21ConstantInputIteratorIilEEPiiNSB_3SumENSB_8EqualityEiEE10hipError_tPvRmT2_T3_T4_T5_mT6_T7_P12ihipStream_tbENKUlT_T0_E_clISt17integral_constantIbLb1EESW_IbLb0EEEEDaSS_ST_EUlSS_E_NS1_11comp_targetILNS1_3genE4ELNS1_11target_archE910ELNS1_3gpuE8ELNS1_3repE0EEENS1_30default_config_static_selectorELNS0_4arch9wavefront6targetE0EEEvT1_,@function
_ZN7rocprim17ROCPRIM_400000_NS6detail17trampoline_kernelINS0_14default_configENS1_27scan_by_key_config_selectorIiiEEZZNS1_16scan_by_key_implILNS1_25lookback_scan_determinismE0ELb0ES3_PKiN6hipcub16HIPCUB_304000_NS21ConstantInputIteratorIilEEPiiNSB_3SumENSB_8EqualityEiEE10hipError_tPvRmT2_T3_T4_T5_mT6_T7_P12ihipStream_tbENKUlT_T0_E_clISt17integral_constantIbLb1EESW_IbLb0EEEEDaSS_ST_EUlSS_E_NS1_11comp_targetILNS1_3genE4ELNS1_11target_archE910ELNS1_3gpuE8ELNS1_3repE0EEENS1_30default_config_static_selectorELNS0_4arch9wavefront6targetE0EEEvT1_: ; @_ZN7rocprim17ROCPRIM_400000_NS6detail17trampoline_kernelINS0_14default_configENS1_27scan_by_key_config_selectorIiiEEZZNS1_16scan_by_key_implILNS1_25lookback_scan_determinismE0ELb0ES3_PKiN6hipcub16HIPCUB_304000_NS21ConstantInputIteratorIilEEPiiNSB_3SumENSB_8EqualityEiEE10hipError_tPvRmT2_T3_T4_T5_mT6_T7_P12ihipStream_tbENKUlT_T0_E_clISt17integral_constantIbLb1EESW_IbLb0EEEEDaSS_ST_EUlSS_E_NS1_11comp_targetILNS1_3genE4ELNS1_11target_archE910ELNS1_3gpuE8ELNS1_3repE0EEENS1_30default_config_static_selectorELNS0_4arch9wavefront6targetE0EEEvT1_
; %bb.0:
	.section	.rodata,"a",@progbits
	.p2align	6, 0x0
	.amdhsa_kernel _ZN7rocprim17ROCPRIM_400000_NS6detail17trampoline_kernelINS0_14default_configENS1_27scan_by_key_config_selectorIiiEEZZNS1_16scan_by_key_implILNS1_25lookback_scan_determinismE0ELb0ES3_PKiN6hipcub16HIPCUB_304000_NS21ConstantInputIteratorIilEEPiiNSB_3SumENSB_8EqualityEiEE10hipError_tPvRmT2_T3_T4_T5_mT6_T7_P12ihipStream_tbENKUlT_T0_E_clISt17integral_constantIbLb1EESW_IbLb0EEEEDaSS_ST_EUlSS_E_NS1_11comp_targetILNS1_3genE4ELNS1_11target_archE910ELNS1_3gpuE8ELNS1_3repE0EEENS1_30default_config_static_selectorELNS0_4arch9wavefront6targetE0EEEvT1_
		.amdhsa_group_segment_fixed_size 0
		.amdhsa_private_segment_fixed_size 0
		.amdhsa_kernarg_size 120
		.amdhsa_user_sgpr_count 2
		.amdhsa_user_sgpr_dispatch_ptr 0
		.amdhsa_user_sgpr_queue_ptr 0
		.amdhsa_user_sgpr_kernarg_segment_ptr 1
		.amdhsa_user_sgpr_dispatch_id 0
		.amdhsa_user_sgpr_kernarg_preload_length 0
		.amdhsa_user_sgpr_kernarg_preload_offset 0
		.amdhsa_user_sgpr_private_segment_size 0
		.amdhsa_wavefront_size32 1
		.amdhsa_uses_dynamic_stack 0
		.amdhsa_enable_private_segment 0
		.amdhsa_system_sgpr_workgroup_id_x 1
		.amdhsa_system_sgpr_workgroup_id_y 0
		.amdhsa_system_sgpr_workgroup_id_z 0
		.amdhsa_system_sgpr_workgroup_info 0
		.amdhsa_system_vgpr_workitem_id 0
		.amdhsa_next_free_vgpr 1
		.amdhsa_next_free_sgpr 1
		.amdhsa_named_barrier_count 0
		.amdhsa_reserve_vcc 0
		.amdhsa_float_round_mode_32 0
		.amdhsa_float_round_mode_16_64 0
		.amdhsa_float_denorm_mode_32 3
		.amdhsa_float_denorm_mode_16_64 3
		.amdhsa_fp16_overflow 0
		.amdhsa_memory_ordered 1
		.amdhsa_forward_progress 1
		.amdhsa_inst_pref_size 0
		.amdhsa_round_robin_scheduling 0
		.amdhsa_exception_fp_ieee_invalid_op 0
		.amdhsa_exception_fp_denorm_src 0
		.amdhsa_exception_fp_ieee_div_zero 0
		.amdhsa_exception_fp_ieee_overflow 0
		.amdhsa_exception_fp_ieee_underflow 0
		.amdhsa_exception_fp_ieee_inexact 0
		.amdhsa_exception_int_div_zero 0
	.end_amdhsa_kernel
	.section	.text._ZN7rocprim17ROCPRIM_400000_NS6detail17trampoline_kernelINS0_14default_configENS1_27scan_by_key_config_selectorIiiEEZZNS1_16scan_by_key_implILNS1_25lookback_scan_determinismE0ELb0ES3_PKiN6hipcub16HIPCUB_304000_NS21ConstantInputIteratorIilEEPiiNSB_3SumENSB_8EqualityEiEE10hipError_tPvRmT2_T3_T4_T5_mT6_T7_P12ihipStream_tbENKUlT_T0_E_clISt17integral_constantIbLb1EESW_IbLb0EEEEDaSS_ST_EUlSS_E_NS1_11comp_targetILNS1_3genE4ELNS1_11target_archE910ELNS1_3gpuE8ELNS1_3repE0EEENS1_30default_config_static_selectorELNS0_4arch9wavefront6targetE0EEEvT1_,"axG",@progbits,_ZN7rocprim17ROCPRIM_400000_NS6detail17trampoline_kernelINS0_14default_configENS1_27scan_by_key_config_selectorIiiEEZZNS1_16scan_by_key_implILNS1_25lookback_scan_determinismE0ELb0ES3_PKiN6hipcub16HIPCUB_304000_NS21ConstantInputIteratorIilEEPiiNSB_3SumENSB_8EqualityEiEE10hipError_tPvRmT2_T3_T4_T5_mT6_T7_P12ihipStream_tbENKUlT_T0_E_clISt17integral_constantIbLb1EESW_IbLb0EEEEDaSS_ST_EUlSS_E_NS1_11comp_targetILNS1_3genE4ELNS1_11target_archE910ELNS1_3gpuE8ELNS1_3repE0EEENS1_30default_config_static_selectorELNS0_4arch9wavefront6targetE0EEEvT1_,comdat
.Lfunc_end35:
	.size	_ZN7rocprim17ROCPRIM_400000_NS6detail17trampoline_kernelINS0_14default_configENS1_27scan_by_key_config_selectorIiiEEZZNS1_16scan_by_key_implILNS1_25lookback_scan_determinismE0ELb0ES3_PKiN6hipcub16HIPCUB_304000_NS21ConstantInputIteratorIilEEPiiNSB_3SumENSB_8EqualityEiEE10hipError_tPvRmT2_T3_T4_T5_mT6_T7_P12ihipStream_tbENKUlT_T0_E_clISt17integral_constantIbLb1EESW_IbLb0EEEEDaSS_ST_EUlSS_E_NS1_11comp_targetILNS1_3genE4ELNS1_11target_archE910ELNS1_3gpuE8ELNS1_3repE0EEENS1_30default_config_static_selectorELNS0_4arch9wavefront6targetE0EEEvT1_, .Lfunc_end35-_ZN7rocprim17ROCPRIM_400000_NS6detail17trampoline_kernelINS0_14default_configENS1_27scan_by_key_config_selectorIiiEEZZNS1_16scan_by_key_implILNS1_25lookback_scan_determinismE0ELb0ES3_PKiN6hipcub16HIPCUB_304000_NS21ConstantInputIteratorIilEEPiiNSB_3SumENSB_8EqualityEiEE10hipError_tPvRmT2_T3_T4_T5_mT6_T7_P12ihipStream_tbENKUlT_T0_E_clISt17integral_constantIbLb1EESW_IbLb0EEEEDaSS_ST_EUlSS_E_NS1_11comp_targetILNS1_3genE4ELNS1_11target_archE910ELNS1_3gpuE8ELNS1_3repE0EEENS1_30default_config_static_selectorELNS0_4arch9wavefront6targetE0EEEvT1_
                                        ; -- End function
	.set _ZN7rocprim17ROCPRIM_400000_NS6detail17trampoline_kernelINS0_14default_configENS1_27scan_by_key_config_selectorIiiEEZZNS1_16scan_by_key_implILNS1_25lookback_scan_determinismE0ELb0ES3_PKiN6hipcub16HIPCUB_304000_NS21ConstantInputIteratorIilEEPiiNSB_3SumENSB_8EqualityEiEE10hipError_tPvRmT2_T3_T4_T5_mT6_T7_P12ihipStream_tbENKUlT_T0_E_clISt17integral_constantIbLb1EESW_IbLb0EEEEDaSS_ST_EUlSS_E_NS1_11comp_targetILNS1_3genE4ELNS1_11target_archE910ELNS1_3gpuE8ELNS1_3repE0EEENS1_30default_config_static_selectorELNS0_4arch9wavefront6targetE0EEEvT1_.num_vgpr, 0
	.set _ZN7rocprim17ROCPRIM_400000_NS6detail17trampoline_kernelINS0_14default_configENS1_27scan_by_key_config_selectorIiiEEZZNS1_16scan_by_key_implILNS1_25lookback_scan_determinismE0ELb0ES3_PKiN6hipcub16HIPCUB_304000_NS21ConstantInputIteratorIilEEPiiNSB_3SumENSB_8EqualityEiEE10hipError_tPvRmT2_T3_T4_T5_mT6_T7_P12ihipStream_tbENKUlT_T0_E_clISt17integral_constantIbLb1EESW_IbLb0EEEEDaSS_ST_EUlSS_E_NS1_11comp_targetILNS1_3genE4ELNS1_11target_archE910ELNS1_3gpuE8ELNS1_3repE0EEENS1_30default_config_static_selectorELNS0_4arch9wavefront6targetE0EEEvT1_.num_agpr, 0
	.set _ZN7rocprim17ROCPRIM_400000_NS6detail17trampoline_kernelINS0_14default_configENS1_27scan_by_key_config_selectorIiiEEZZNS1_16scan_by_key_implILNS1_25lookback_scan_determinismE0ELb0ES3_PKiN6hipcub16HIPCUB_304000_NS21ConstantInputIteratorIilEEPiiNSB_3SumENSB_8EqualityEiEE10hipError_tPvRmT2_T3_T4_T5_mT6_T7_P12ihipStream_tbENKUlT_T0_E_clISt17integral_constantIbLb1EESW_IbLb0EEEEDaSS_ST_EUlSS_E_NS1_11comp_targetILNS1_3genE4ELNS1_11target_archE910ELNS1_3gpuE8ELNS1_3repE0EEENS1_30default_config_static_selectorELNS0_4arch9wavefront6targetE0EEEvT1_.numbered_sgpr, 0
	.set _ZN7rocprim17ROCPRIM_400000_NS6detail17trampoline_kernelINS0_14default_configENS1_27scan_by_key_config_selectorIiiEEZZNS1_16scan_by_key_implILNS1_25lookback_scan_determinismE0ELb0ES3_PKiN6hipcub16HIPCUB_304000_NS21ConstantInputIteratorIilEEPiiNSB_3SumENSB_8EqualityEiEE10hipError_tPvRmT2_T3_T4_T5_mT6_T7_P12ihipStream_tbENKUlT_T0_E_clISt17integral_constantIbLb1EESW_IbLb0EEEEDaSS_ST_EUlSS_E_NS1_11comp_targetILNS1_3genE4ELNS1_11target_archE910ELNS1_3gpuE8ELNS1_3repE0EEENS1_30default_config_static_selectorELNS0_4arch9wavefront6targetE0EEEvT1_.num_named_barrier, 0
	.set _ZN7rocprim17ROCPRIM_400000_NS6detail17trampoline_kernelINS0_14default_configENS1_27scan_by_key_config_selectorIiiEEZZNS1_16scan_by_key_implILNS1_25lookback_scan_determinismE0ELb0ES3_PKiN6hipcub16HIPCUB_304000_NS21ConstantInputIteratorIilEEPiiNSB_3SumENSB_8EqualityEiEE10hipError_tPvRmT2_T3_T4_T5_mT6_T7_P12ihipStream_tbENKUlT_T0_E_clISt17integral_constantIbLb1EESW_IbLb0EEEEDaSS_ST_EUlSS_E_NS1_11comp_targetILNS1_3genE4ELNS1_11target_archE910ELNS1_3gpuE8ELNS1_3repE0EEENS1_30default_config_static_selectorELNS0_4arch9wavefront6targetE0EEEvT1_.private_seg_size, 0
	.set _ZN7rocprim17ROCPRIM_400000_NS6detail17trampoline_kernelINS0_14default_configENS1_27scan_by_key_config_selectorIiiEEZZNS1_16scan_by_key_implILNS1_25lookback_scan_determinismE0ELb0ES3_PKiN6hipcub16HIPCUB_304000_NS21ConstantInputIteratorIilEEPiiNSB_3SumENSB_8EqualityEiEE10hipError_tPvRmT2_T3_T4_T5_mT6_T7_P12ihipStream_tbENKUlT_T0_E_clISt17integral_constantIbLb1EESW_IbLb0EEEEDaSS_ST_EUlSS_E_NS1_11comp_targetILNS1_3genE4ELNS1_11target_archE910ELNS1_3gpuE8ELNS1_3repE0EEENS1_30default_config_static_selectorELNS0_4arch9wavefront6targetE0EEEvT1_.uses_vcc, 0
	.set _ZN7rocprim17ROCPRIM_400000_NS6detail17trampoline_kernelINS0_14default_configENS1_27scan_by_key_config_selectorIiiEEZZNS1_16scan_by_key_implILNS1_25lookback_scan_determinismE0ELb0ES3_PKiN6hipcub16HIPCUB_304000_NS21ConstantInputIteratorIilEEPiiNSB_3SumENSB_8EqualityEiEE10hipError_tPvRmT2_T3_T4_T5_mT6_T7_P12ihipStream_tbENKUlT_T0_E_clISt17integral_constantIbLb1EESW_IbLb0EEEEDaSS_ST_EUlSS_E_NS1_11comp_targetILNS1_3genE4ELNS1_11target_archE910ELNS1_3gpuE8ELNS1_3repE0EEENS1_30default_config_static_selectorELNS0_4arch9wavefront6targetE0EEEvT1_.uses_flat_scratch, 0
	.set _ZN7rocprim17ROCPRIM_400000_NS6detail17trampoline_kernelINS0_14default_configENS1_27scan_by_key_config_selectorIiiEEZZNS1_16scan_by_key_implILNS1_25lookback_scan_determinismE0ELb0ES3_PKiN6hipcub16HIPCUB_304000_NS21ConstantInputIteratorIilEEPiiNSB_3SumENSB_8EqualityEiEE10hipError_tPvRmT2_T3_T4_T5_mT6_T7_P12ihipStream_tbENKUlT_T0_E_clISt17integral_constantIbLb1EESW_IbLb0EEEEDaSS_ST_EUlSS_E_NS1_11comp_targetILNS1_3genE4ELNS1_11target_archE910ELNS1_3gpuE8ELNS1_3repE0EEENS1_30default_config_static_selectorELNS0_4arch9wavefront6targetE0EEEvT1_.has_dyn_sized_stack, 0
	.set _ZN7rocprim17ROCPRIM_400000_NS6detail17trampoline_kernelINS0_14default_configENS1_27scan_by_key_config_selectorIiiEEZZNS1_16scan_by_key_implILNS1_25lookback_scan_determinismE0ELb0ES3_PKiN6hipcub16HIPCUB_304000_NS21ConstantInputIteratorIilEEPiiNSB_3SumENSB_8EqualityEiEE10hipError_tPvRmT2_T3_T4_T5_mT6_T7_P12ihipStream_tbENKUlT_T0_E_clISt17integral_constantIbLb1EESW_IbLb0EEEEDaSS_ST_EUlSS_E_NS1_11comp_targetILNS1_3genE4ELNS1_11target_archE910ELNS1_3gpuE8ELNS1_3repE0EEENS1_30default_config_static_selectorELNS0_4arch9wavefront6targetE0EEEvT1_.has_recursion, 0
	.set _ZN7rocprim17ROCPRIM_400000_NS6detail17trampoline_kernelINS0_14default_configENS1_27scan_by_key_config_selectorIiiEEZZNS1_16scan_by_key_implILNS1_25lookback_scan_determinismE0ELb0ES3_PKiN6hipcub16HIPCUB_304000_NS21ConstantInputIteratorIilEEPiiNSB_3SumENSB_8EqualityEiEE10hipError_tPvRmT2_T3_T4_T5_mT6_T7_P12ihipStream_tbENKUlT_T0_E_clISt17integral_constantIbLb1EESW_IbLb0EEEEDaSS_ST_EUlSS_E_NS1_11comp_targetILNS1_3genE4ELNS1_11target_archE910ELNS1_3gpuE8ELNS1_3repE0EEENS1_30default_config_static_selectorELNS0_4arch9wavefront6targetE0EEEvT1_.has_indirect_call, 0
	.section	.AMDGPU.csdata,"",@progbits
; Kernel info:
; codeLenInByte = 0
; TotalNumSgprs: 0
; NumVgprs: 0
; ScratchSize: 0
; MemoryBound: 0
; FloatMode: 240
; IeeeMode: 1
; LDSByteSize: 0 bytes/workgroup (compile time only)
; SGPRBlocks: 0
; VGPRBlocks: 0
; NumSGPRsForWavesPerEU: 1
; NumVGPRsForWavesPerEU: 1
; NamedBarCnt: 0
; Occupancy: 16
; WaveLimiterHint : 0
; COMPUTE_PGM_RSRC2:SCRATCH_EN: 0
; COMPUTE_PGM_RSRC2:USER_SGPR: 2
; COMPUTE_PGM_RSRC2:TRAP_HANDLER: 0
; COMPUTE_PGM_RSRC2:TGID_X_EN: 1
; COMPUTE_PGM_RSRC2:TGID_Y_EN: 0
; COMPUTE_PGM_RSRC2:TGID_Z_EN: 0
; COMPUTE_PGM_RSRC2:TIDIG_COMP_CNT: 0
	.section	.text._ZN7rocprim17ROCPRIM_400000_NS6detail17trampoline_kernelINS0_14default_configENS1_27scan_by_key_config_selectorIiiEEZZNS1_16scan_by_key_implILNS1_25lookback_scan_determinismE0ELb0ES3_PKiN6hipcub16HIPCUB_304000_NS21ConstantInputIteratorIilEEPiiNSB_3SumENSB_8EqualityEiEE10hipError_tPvRmT2_T3_T4_T5_mT6_T7_P12ihipStream_tbENKUlT_T0_E_clISt17integral_constantIbLb1EESW_IbLb0EEEEDaSS_ST_EUlSS_E_NS1_11comp_targetILNS1_3genE3ELNS1_11target_archE908ELNS1_3gpuE7ELNS1_3repE0EEENS1_30default_config_static_selectorELNS0_4arch9wavefront6targetE0EEEvT1_,"axG",@progbits,_ZN7rocprim17ROCPRIM_400000_NS6detail17trampoline_kernelINS0_14default_configENS1_27scan_by_key_config_selectorIiiEEZZNS1_16scan_by_key_implILNS1_25lookback_scan_determinismE0ELb0ES3_PKiN6hipcub16HIPCUB_304000_NS21ConstantInputIteratorIilEEPiiNSB_3SumENSB_8EqualityEiEE10hipError_tPvRmT2_T3_T4_T5_mT6_T7_P12ihipStream_tbENKUlT_T0_E_clISt17integral_constantIbLb1EESW_IbLb0EEEEDaSS_ST_EUlSS_E_NS1_11comp_targetILNS1_3genE3ELNS1_11target_archE908ELNS1_3gpuE7ELNS1_3repE0EEENS1_30default_config_static_selectorELNS0_4arch9wavefront6targetE0EEEvT1_,comdat
	.protected	_ZN7rocprim17ROCPRIM_400000_NS6detail17trampoline_kernelINS0_14default_configENS1_27scan_by_key_config_selectorIiiEEZZNS1_16scan_by_key_implILNS1_25lookback_scan_determinismE0ELb0ES3_PKiN6hipcub16HIPCUB_304000_NS21ConstantInputIteratorIilEEPiiNSB_3SumENSB_8EqualityEiEE10hipError_tPvRmT2_T3_T4_T5_mT6_T7_P12ihipStream_tbENKUlT_T0_E_clISt17integral_constantIbLb1EESW_IbLb0EEEEDaSS_ST_EUlSS_E_NS1_11comp_targetILNS1_3genE3ELNS1_11target_archE908ELNS1_3gpuE7ELNS1_3repE0EEENS1_30default_config_static_selectorELNS0_4arch9wavefront6targetE0EEEvT1_ ; -- Begin function _ZN7rocprim17ROCPRIM_400000_NS6detail17trampoline_kernelINS0_14default_configENS1_27scan_by_key_config_selectorIiiEEZZNS1_16scan_by_key_implILNS1_25lookback_scan_determinismE0ELb0ES3_PKiN6hipcub16HIPCUB_304000_NS21ConstantInputIteratorIilEEPiiNSB_3SumENSB_8EqualityEiEE10hipError_tPvRmT2_T3_T4_T5_mT6_T7_P12ihipStream_tbENKUlT_T0_E_clISt17integral_constantIbLb1EESW_IbLb0EEEEDaSS_ST_EUlSS_E_NS1_11comp_targetILNS1_3genE3ELNS1_11target_archE908ELNS1_3gpuE7ELNS1_3repE0EEENS1_30default_config_static_selectorELNS0_4arch9wavefront6targetE0EEEvT1_
	.globl	_ZN7rocprim17ROCPRIM_400000_NS6detail17trampoline_kernelINS0_14default_configENS1_27scan_by_key_config_selectorIiiEEZZNS1_16scan_by_key_implILNS1_25lookback_scan_determinismE0ELb0ES3_PKiN6hipcub16HIPCUB_304000_NS21ConstantInputIteratorIilEEPiiNSB_3SumENSB_8EqualityEiEE10hipError_tPvRmT2_T3_T4_T5_mT6_T7_P12ihipStream_tbENKUlT_T0_E_clISt17integral_constantIbLb1EESW_IbLb0EEEEDaSS_ST_EUlSS_E_NS1_11comp_targetILNS1_3genE3ELNS1_11target_archE908ELNS1_3gpuE7ELNS1_3repE0EEENS1_30default_config_static_selectorELNS0_4arch9wavefront6targetE0EEEvT1_
	.p2align	8
	.type	_ZN7rocprim17ROCPRIM_400000_NS6detail17trampoline_kernelINS0_14default_configENS1_27scan_by_key_config_selectorIiiEEZZNS1_16scan_by_key_implILNS1_25lookback_scan_determinismE0ELb0ES3_PKiN6hipcub16HIPCUB_304000_NS21ConstantInputIteratorIilEEPiiNSB_3SumENSB_8EqualityEiEE10hipError_tPvRmT2_T3_T4_T5_mT6_T7_P12ihipStream_tbENKUlT_T0_E_clISt17integral_constantIbLb1EESW_IbLb0EEEEDaSS_ST_EUlSS_E_NS1_11comp_targetILNS1_3genE3ELNS1_11target_archE908ELNS1_3gpuE7ELNS1_3repE0EEENS1_30default_config_static_selectorELNS0_4arch9wavefront6targetE0EEEvT1_,@function
_ZN7rocprim17ROCPRIM_400000_NS6detail17trampoline_kernelINS0_14default_configENS1_27scan_by_key_config_selectorIiiEEZZNS1_16scan_by_key_implILNS1_25lookback_scan_determinismE0ELb0ES3_PKiN6hipcub16HIPCUB_304000_NS21ConstantInputIteratorIilEEPiiNSB_3SumENSB_8EqualityEiEE10hipError_tPvRmT2_T3_T4_T5_mT6_T7_P12ihipStream_tbENKUlT_T0_E_clISt17integral_constantIbLb1EESW_IbLb0EEEEDaSS_ST_EUlSS_E_NS1_11comp_targetILNS1_3genE3ELNS1_11target_archE908ELNS1_3gpuE7ELNS1_3repE0EEENS1_30default_config_static_selectorELNS0_4arch9wavefront6targetE0EEEvT1_: ; @_ZN7rocprim17ROCPRIM_400000_NS6detail17trampoline_kernelINS0_14default_configENS1_27scan_by_key_config_selectorIiiEEZZNS1_16scan_by_key_implILNS1_25lookback_scan_determinismE0ELb0ES3_PKiN6hipcub16HIPCUB_304000_NS21ConstantInputIteratorIilEEPiiNSB_3SumENSB_8EqualityEiEE10hipError_tPvRmT2_T3_T4_T5_mT6_T7_P12ihipStream_tbENKUlT_T0_E_clISt17integral_constantIbLb1EESW_IbLb0EEEEDaSS_ST_EUlSS_E_NS1_11comp_targetILNS1_3genE3ELNS1_11target_archE908ELNS1_3gpuE7ELNS1_3repE0EEENS1_30default_config_static_selectorELNS0_4arch9wavefront6targetE0EEEvT1_
; %bb.0:
	.section	.rodata,"a",@progbits
	.p2align	6, 0x0
	.amdhsa_kernel _ZN7rocprim17ROCPRIM_400000_NS6detail17trampoline_kernelINS0_14default_configENS1_27scan_by_key_config_selectorIiiEEZZNS1_16scan_by_key_implILNS1_25lookback_scan_determinismE0ELb0ES3_PKiN6hipcub16HIPCUB_304000_NS21ConstantInputIteratorIilEEPiiNSB_3SumENSB_8EqualityEiEE10hipError_tPvRmT2_T3_T4_T5_mT6_T7_P12ihipStream_tbENKUlT_T0_E_clISt17integral_constantIbLb1EESW_IbLb0EEEEDaSS_ST_EUlSS_E_NS1_11comp_targetILNS1_3genE3ELNS1_11target_archE908ELNS1_3gpuE7ELNS1_3repE0EEENS1_30default_config_static_selectorELNS0_4arch9wavefront6targetE0EEEvT1_
		.amdhsa_group_segment_fixed_size 0
		.amdhsa_private_segment_fixed_size 0
		.amdhsa_kernarg_size 120
		.amdhsa_user_sgpr_count 2
		.amdhsa_user_sgpr_dispatch_ptr 0
		.amdhsa_user_sgpr_queue_ptr 0
		.amdhsa_user_sgpr_kernarg_segment_ptr 1
		.amdhsa_user_sgpr_dispatch_id 0
		.amdhsa_user_sgpr_kernarg_preload_length 0
		.amdhsa_user_sgpr_kernarg_preload_offset 0
		.amdhsa_user_sgpr_private_segment_size 0
		.amdhsa_wavefront_size32 1
		.amdhsa_uses_dynamic_stack 0
		.amdhsa_enable_private_segment 0
		.amdhsa_system_sgpr_workgroup_id_x 1
		.amdhsa_system_sgpr_workgroup_id_y 0
		.amdhsa_system_sgpr_workgroup_id_z 0
		.amdhsa_system_sgpr_workgroup_info 0
		.amdhsa_system_vgpr_workitem_id 0
		.amdhsa_next_free_vgpr 1
		.amdhsa_next_free_sgpr 1
		.amdhsa_named_barrier_count 0
		.amdhsa_reserve_vcc 0
		.amdhsa_float_round_mode_32 0
		.amdhsa_float_round_mode_16_64 0
		.amdhsa_float_denorm_mode_32 3
		.amdhsa_float_denorm_mode_16_64 3
		.amdhsa_fp16_overflow 0
		.amdhsa_memory_ordered 1
		.amdhsa_forward_progress 1
		.amdhsa_inst_pref_size 0
		.amdhsa_round_robin_scheduling 0
		.amdhsa_exception_fp_ieee_invalid_op 0
		.amdhsa_exception_fp_denorm_src 0
		.amdhsa_exception_fp_ieee_div_zero 0
		.amdhsa_exception_fp_ieee_overflow 0
		.amdhsa_exception_fp_ieee_underflow 0
		.amdhsa_exception_fp_ieee_inexact 0
		.amdhsa_exception_int_div_zero 0
	.end_amdhsa_kernel
	.section	.text._ZN7rocprim17ROCPRIM_400000_NS6detail17trampoline_kernelINS0_14default_configENS1_27scan_by_key_config_selectorIiiEEZZNS1_16scan_by_key_implILNS1_25lookback_scan_determinismE0ELb0ES3_PKiN6hipcub16HIPCUB_304000_NS21ConstantInputIteratorIilEEPiiNSB_3SumENSB_8EqualityEiEE10hipError_tPvRmT2_T3_T4_T5_mT6_T7_P12ihipStream_tbENKUlT_T0_E_clISt17integral_constantIbLb1EESW_IbLb0EEEEDaSS_ST_EUlSS_E_NS1_11comp_targetILNS1_3genE3ELNS1_11target_archE908ELNS1_3gpuE7ELNS1_3repE0EEENS1_30default_config_static_selectorELNS0_4arch9wavefront6targetE0EEEvT1_,"axG",@progbits,_ZN7rocprim17ROCPRIM_400000_NS6detail17trampoline_kernelINS0_14default_configENS1_27scan_by_key_config_selectorIiiEEZZNS1_16scan_by_key_implILNS1_25lookback_scan_determinismE0ELb0ES3_PKiN6hipcub16HIPCUB_304000_NS21ConstantInputIteratorIilEEPiiNSB_3SumENSB_8EqualityEiEE10hipError_tPvRmT2_T3_T4_T5_mT6_T7_P12ihipStream_tbENKUlT_T0_E_clISt17integral_constantIbLb1EESW_IbLb0EEEEDaSS_ST_EUlSS_E_NS1_11comp_targetILNS1_3genE3ELNS1_11target_archE908ELNS1_3gpuE7ELNS1_3repE0EEENS1_30default_config_static_selectorELNS0_4arch9wavefront6targetE0EEEvT1_,comdat
.Lfunc_end36:
	.size	_ZN7rocprim17ROCPRIM_400000_NS6detail17trampoline_kernelINS0_14default_configENS1_27scan_by_key_config_selectorIiiEEZZNS1_16scan_by_key_implILNS1_25lookback_scan_determinismE0ELb0ES3_PKiN6hipcub16HIPCUB_304000_NS21ConstantInputIteratorIilEEPiiNSB_3SumENSB_8EqualityEiEE10hipError_tPvRmT2_T3_T4_T5_mT6_T7_P12ihipStream_tbENKUlT_T0_E_clISt17integral_constantIbLb1EESW_IbLb0EEEEDaSS_ST_EUlSS_E_NS1_11comp_targetILNS1_3genE3ELNS1_11target_archE908ELNS1_3gpuE7ELNS1_3repE0EEENS1_30default_config_static_selectorELNS0_4arch9wavefront6targetE0EEEvT1_, .Lfunc_end36-_ZN7rocprim17ROCPRIM_400000_NS6detail17trampoline_kernelINS0_14default_configENS1_27scan_by_key_config_selectorIiiEEZZNS1_16scan_by_key_implILNS1_25lookback_scan_determinismE0ELb0ES3_PKiN6hipcub16HIPCUB_304000_NS21ConstantInputIteratorIilEEPiiNSB_3SumENSB_8EqualityEiEE10hipError_tPvRmT2_T3_T4_T5_mT6_T7_P12ihipStream_tbENKUlT_T0_E_clISt17integral_constantIbLb1EESW_IbLb0EEEEDaSS_ST_EUlSS_E_NS1_11comp_targetILNS1_3genE3ELNS1_11target_archE908ELNS1_3gpuE7ELNS1_3repE0EEENS1_30default_config_static_selectorELNS0_4arch9wavefront6targetE0EEEvT1_
                                        ; -- End function
	.set _ZN7rocprim17ROCPRIM_400000_NS6detail17trampoline_kernelINS0_14default_configENS1_27scan_by_key_config_selectorIiiEEZZNS1_16scan_by_key_implILNS1_25lookback_scan_determinismE0ELb0ES3_PKiN6hipcub16HIPCUB_304000_NS21ConstantInputIteratorIilEEPiiNSB_3SumENSB_8EqualityEiEE10hipError_tPvRmT2_T3_T4_T5_mT6_T7_P12ihipStream_tbENKUlT_T0_E_clISt17integral_constantIbLb1EESW_IbLb0EEEEDaSS_ST_EUlSS_E_NS1_11comp_targetILNS1_3genE3ELNS1_11target_archE908ELNS1_3gpuE7ELNS1_3repE0EEENS1_30default_config_static_selectorELNS0_4arch9wavefront6targetE0EEEvT1_.num_vgpr, 0
	.set _ZN7rocprim17ROCPRIM_400000_NS6detail17trampoline_kernelINS0_14default_configENS1_27scan_by_key_config_selectorIiiEEZZNS1_16scan_by_key_implILNS1_25lookback_scan_determinismE0ELb0ES3_PKiN6hipcub16HIPCUB_304000_NS21ConstantInputIteratorIilEEPiiNSB_3SumENSB_8EqualityEiEE10hipError_tPvRmT2_T3_T4_T5_mT6_T7_P12ihipStream_tbENKUlT_T0_E_clISt17integral_constantIbLb1EESW_IbLb0EEEEDaSS_ST_EUlSS_E_NS1_11comp_targetILNS1_3genE3ELNS1_11target_archE908ELNS1_3gpuE7ELNS1_3repE0EEENS1_30default_config_static_selectorELNS0_4arch9wavefront6targetE0EEEvT1_.num_agpr, 0
	.set _ZN7rocprim17ROCPRIM_400000_NS6detail17trampoline_kernelINS0_14default_configENS1_27scan_by_key_config_selectorIiiEEZZNS1_16scan_by_key_implILNS1_25lookback_scan_determinismE0ELb0ES3_PKiN6hipcub16HIPCUB_304000_NS21ConstantInputIteratorIilEEPiiNSB_3SumENSB_8EqualityEiEE10hipError_tPvRmT2_T3_T4_T5_mT6_T7_P12ihipStream_tbENKUlT_T0_E_clISt17integral_constantIbLb1EESW_IbLb0EEEEDaSS_ST_EUlSS_E_NS1_11comp_targetILNS1_3genE3ELNS1_11target_archE908ELNS1_3gpuE7ELNS1_3repE0EEENS1_30default_config_static_selectorELNS0_4arch9wavefront6targetE0EEEvT1_.numbered_sgpr, 0
	.set _ZN7rocprim17ROCPRIM_400000_NS6detail17trampoline_kernelINS0_14default_configENS1_27scan_by_key_config_selectorIiiEEZZNS1_16scan_by_key_implILNS1_25lookback_scan_determinismE0ELb0ES3_PKiN6hipcub16HIPCUB_304000_NS21ConstantInputIteratorIilEEPiiNSB_3SumENSB_8EqualityEiEE10hipError_tPvRmT2_T3_T4_T5_mT6_T7_P12ihipStream_tbENKUlT_T0_E_clISt17integral_constantIbLb1EESW_IbLb0EEEEDaSS_ST_EUlSS_E_NS1_11comp_targetILNS1_3genE3ELNS1_11target_archE908ELNS1_3gpuE7ELNS1_3repE0EEENS1_30default_config_static_selectorELNS0_4arch9wavefront6targetE0EEEvT1_.num_named_barrier, 0
	.set _ZN7rocprim17ROCPRIM_400000_NS6detail17trampoline_kernelINS0_14default_configENS1_27scan_by_key_config_selectorIiiEEZZNS1_16scan_by_key_implILNS1_25lookback_scan_determinismE0ELb0ES3_PKiN6hipcub16HIPCUB_304000_NS21ConstantInputIteratorIilEEPiiNSB_3SumENSB_8EqualityEiEE10hipError_tPvRmT2_T3_T4_T5_mT6_T7_P12ihipStream_tbENKUlT_T0_E_clISt17integral_constantIbLb1EESW_IbLb0EEEEDaSS_ST_EUlSS_E_NS1_11comp_targetILNS1_3genE3ELNS1_11target_archE908ELNS1_3gpuE7ELNS1_3repE0EEENS1_30default_config_static_selectorELNS0_4arch9wavefront6targetE0EEEvT1_.private_seg_size, 0
	.set _ZN7rocprim17ROCPRIM_400000_NS6detail17trampoline_kernelINS0_14default_configENS1_27scan_by_key_config_selectorIiiEEZZNS1_16scan_by_key_implILNS1_25lookback_scan_determinismE0ELb0ES3_PKiN6hipcub16HIPCUB_304000_NS21ConstantInputIteratorIilEEPiiNSB_3SumENSB_8EqualityEiEE10hipError_tPvRmT2_T3_T4_T5_mT6_T7_P12ihipStream_tbENKUlT_T0_E_clISt17integral_constantIbLb1EESW_IbLb0EEEEDaSS_ST_EUlSS_E_NS1_11comp_targetILNS1_3genE3ELNS1_11target_archE908ELNS1_3gpuE7ELNS1_3repE0EEENS1_30default_config_static_selectorELNS0_4arch9wavefront6targetE0EEEvT1_.uses_vcc, 0
	.set _ZN7rocprim17ROCPRIM_400000_NS6detail17trampoline_kernelINS0_14default_configENS1_27scan_by_key_config_selectorIiiEEZZNS1_16scan_by_key_implILNS1_25lookback_scan_determinismE0ELb0ES3_PKiN6hipcub16HIPCUB_304000_NS21ConstantInputIteratorIilEEPiiNSB_3SumENSB_8EqualityEiEE10hipError_tPvRmT2_T3_T4_T5_mT6_T7_P12ihipStream_tbENKUlT_T0_E_clISt17integral_constantIbLb1EESW_IbLb0EEEEDaSS_ST_EUlSS_E_NS1_11comp_targetILNS1_3genE3ELNS1_11target_archE908ELNS1_3gpuE7ELNS1_3repE0EEENS1_30default_config_static_selectorELNS0_4arch9wavefront6targetE0EEEvT1_.uses_flat_scratch, 0
	.set _ZN7rocprim17ROCPRIM_400000_NS6detail17trampoline_kernelINS0_14default_configENS1_27scan_by_key_config_selectorIiiEEZZNS1_16scan_by_key_implILNS1_25lookback_scan_determinismE0ELb0ES3_PKiN6hipcub16HIPCUB_304000_NS21ConstantInputIteratorIilEEPiiNSB_3SumENSB_8EqualityEiEE10hipError_tPvRmT2_T3_T4_T5_mT6_T7_P12ihipStream_tbENKUlT_T0_E_clISt17integral_constantIbLb1EESW_IbLb0EEEEDaSS_ST_EUlSS_E_NS1_11comp_targetILNS1_3genE3ELNS1_11target_archE908ELNS1_3gpuE7ELNS1_3repE0EEENS1_30default_config_static_selectorELNS0_4arch9wavefront6targetE0EEEvT1_.has_dyn_sized_stack, 0
	.set _ZN7rocprim17ROCPRIM_400000_NS6detail17trampoline_kernelINS0_14default_configENS1_27scan_by_key_config_selectorIiiEEZZNS1_16scan_by_key_implILNS1_25lookback_scan_determinismE0ELb0ES3_PKiN6hipcub16HIPCUB_304000_NS21ConstantInputIteratorIilEEPiiNSB_3SumENSB_8EqualityEiEE10hipError_tPvRmT2_T3_T4_T5_mT6_T7_P12ihipStream_tbENKUlT_T0_E_clISt17integral_constantIbLb1EESW_IbLb0EEEEDaSS_ST_EUlSS_E_NS1_11comp_targetILNS1_3genE3ELNS1_11target_archE908ELNS1_3gpuE7ELNS1_3repE0EEENS1_30default_config_static_selectorELNS0_4arch9wavefront6targetE0EEEvT1_.has_recursion, 0
	.set _ZN7rocprim17ROCPRIM_400000_NS6detail17trampoline_kernelINS0_14default_configENS1_27scan_by_key_config_selectorIiiEEZZNS1_16scan_by_key_implILNS1_25lookback_scan_determinismE0ELb0ES3_PKiN6hipcub16HIPCUB_304000_NS21ConstantInputIteratorIilEEPiiNSB_3SumENSB_8EqualityEiEE10hipError_tPvRmT2_T3_T4_T5_mT6_T7_P12ihipStream_tbENKUlT_T0_E_clISt17integral_constantIbLb1EESW_IbLb0EEEEDaSS_ST_EUlSS_E_NS1_11comp_targetILNS1_3genE3ELNS1_11target_archE908ELNS1_3gpuE7ELNS1_3repE0EEENS1_30default_config_static_selectorELNS0_4arch9wavefront6targetE0EEEvT1_.has_indirect_call, 0
	.section	.AMDGPU.csdata,"",@progbits
; Kernel info:
; codeLenInByte = 0
; TotalNumSgprs: 0
; NumVgprs: 0
; ScratchSize: 0
; MemoryBound: 0
; FloatMode: 240
; IeeeMode: 1
; LDSByteSize: 0 bytes/workgroup (compile time only)
; SGPRBlocks: 0
; VGPRBlocks: 0
; NumSGPRsForWavesPerEU: 1
; NumVGPRsForWavesPerEU: 1
; NamedBarCnt: 0
; Occupancy: 16
; WaveLimiterHint : 0
; COMPUTE_PGM_RSRC2:SCRATCH_EN: 0
; COMPUTE_PGM_RSRC2:USER_SGPR: 2
; COMPUTE_PGM_RSRC2:TRAP_HANDLER: 0
; COMPUTE_PGM_RSRC2:TGID_X_EN: 1
; COMPUTE_PGM_RSRC2:TGID_Y_EN: 0
; COMPUTE_PGM_RSRC2:TGID_Z_EN: 0
; COMPUTE_PGM_RSRC2:TIDIG_COMP_CNT: 0
	.section	.text._ZN7rocprim17ROCPRIM_400000_NS6detail17trampoline_kernelINS0_14default_configENS1_27scan_by_key_config_selectorIiiEEZZNS1_16scan_by_key_implILNS1_25lookback_scan_determinismE0ELb0ES3_PKiN6hipcub16HIPCUB_304000_NS21ConstantInputIteratorIilEEPiiNSB_3SumENSB_8EqualityEiEE10hipError_tPvRmT2_T3_T4_T5_mT6_T7_P12ihipStream_tbENKUlT_T0_E_clISt17integral_constantIbLb1EESW_IbLb0EEEEDaSS_ST_EUlSS_E_NS1_11comp_targetILNS1_3genE2ELNS1_11target_archE906ELNS1_3gpuE6ELNS1_3repE0EEENS1_30default_config_static_selectorELNS0_4arch9wavefront6targetE0EEEvT1_,"axG",@progbits,_ZN7rocprim17ROCPRIM_400000_NS6detail17trampoline_kernelINS0_14default_configENS1_27scan_by_key_config_selectorIiiEEZZNS1_16scan_by_key_implILNS1_25lookback_scan_determinismE0ELb0ES3_PKiN6hipcub16HIPCUB_304000_NS21ConstantInputIteratorIilEEPiiNSB_3SumENSB_8EqualityEiEE10hipError_tPvRmT2_T3_T4_T5_mT6_T7_P12ihipStream_tbENKUlT_T0_E_clISt17integral_constantIbLb1EESW_IbLb0EEEEDaSS_ST_EUlSS_E_NS1_11comp_targetILNS1_3genE2ELNS1_11target_archE906ELNS1_3gpuE6ELNS1_3repE0EEENS1_30default_config_static_selectorELNS0_4arch9wavefront6targetE0EEEvT1_,comdat
	.protected	_ZN7rocprim17ROCPRIM_400000_NS6detail17trampoline_kernelINS0_14default_configENS1_27scan_by_key_config_selectorIiiEEZZNS1_16scan_by_key_implILNS1_25lookback_scan_determinismE0ELb0ES3_PKiN6hipcub16HIPCUB_304000_NS21ConstantInputIteratorIilEEPiiNSB_3SumENSB_8EqualityEiEE10hipError_tPvRmT2_T3_T4_T5_mT6_T7_P12ihipStream_tbENKUlT_T0_E_clISt17integral_constantIbLb1EESW_IbLb0EEEEDaSS_ST_EUlSS_E_NS1_11comp_targetILNS1_3genE2ELNS1_11target_archE906ELNS1_3gpuE6ELNS1_3repE0EEENS1_30default_config_static_selectorELNS0_4arch9wavefront6targetE0EEEvT1_ ; -- Begin function _ZN7rocprim17ROCPRIM_400000_NS6detail17trampoline_kernelINS0_14default_configENS1_27scan_by_key_config_selectorIiiEEZZNS1_16scan_by_key_implILNS1_25lookback_scan_determinismE0ELb0ES3_PKiN6hipcub16HIPCUB_304000_NS21ConstantInputIteratorIilEEPiiNSB_3SumENSB_8EqualityEiEE10hipError_tPvRmT2_T3_T4_T5_mT6_T7_P12ihipStream_tbENKUlT_T0_E_clISt17integral_constantIbLb1EESW_IbLb0EEEEDaSS_ST_EUlSS_E_NS1_11comp_targetILNS1_3genE2ELNS1_11target_archE906ELNS1_3gpuE6ELNS1_3repE0EEENS1_30default_config_static_selectorELNS0_4arch9wavefront6targetE0EEEvT1_
	.globl	_ZN7rocprim17ROCPRIM_400000_NS6detail17trampoline_kernelINS0_14default_configENS1_27scan_by_key_config_selectorIiiEEZZNS1_16scan_by_key_implILNS1_25lookback_scan_determinismE0ELb0ES3_PKiN6hipcub16HIPCUB_304000_NS21ConstantInputIteratorIilEEPiiNSB_3SumENSB_8EqualityEiEE10hipError_tPvRmT2_T3_T4_T5_mT6_T7_P12ihipStream_tbENKUlT_T0_E_clISt17integral_constantIbLb1EESW_IbLb0EEEEDaSS_ST_EUlSS_E_NS1_11comp_targetILNS1_3genE2ELNS1_11target_archE906ELNS1_3gpuE6ELNS1_3repE0EEENS1_30default_config_static_selectorELNS0_4arch9wavefront6targetE0EEEvT1_
	.p2align	8
	.type	_ZN7rocprim17ROCPRIM_400000_NS6detail17trampoline_kernelINS0_14default_configENS1_27scan_by_key_config_selectorIiiEEZZNS1_16scan_by_key_implILNS1_25lookback_scan_determinismE0ELb0ES3_PKiN6hipcub16HIPCUB_304000_NS21ConstantInputIteratorIilEEPiiNSB_3SumENSB_8EqualityEiEE10hipError_tPvRmT2_T3_T4_T5_mT6_T7_P12ihipStream_tbENKUlT_T0_E_clISt17integral_constantIbLb1EESW_IbLb0EEEEDaSS_ST_EUlSS_E_NS1_11comp_targetILNS1_3genE2ELNS1_11target_archE906ELNS1_3gpuE6ELNS1_3repE0EEENS1_30default_config_static_selectorELNS0_4arch9wavefront6targetE0EEEvT1_,@function
_ZN7rocprim17ROCPRIM_400000_NS6detail17trampoline_kernelINS0_14default_configENS1_27scan_by_key_config_selectorIiiEEZZNS1_16scan_by_key_implILNS1_25lookback_scan_determinismE0ELb0ES3_PKiN6hipcub16HIPCUB_304000_NS21ConstantInputIteratorIilEEPiiNSB_3SumENSB_8EqualityEiEE10hipError_tPvRmT2_T3_T4_T5_mT6_T7_P12ihipStream_tbENKUlT_T0_E_clISt17integral_constantIbLb1EESW_IbLb0EEEEDaSS_ST_EUlSS_E_NS1_11comp_targetILNS1_3genE2ELNS1_11target_archE906ELNS1_3gpuE6ELNS1_3repE0EEENS1_30default_config_static_selectorELNS0_4arch9wavefront6targetE0EEEvT1_: ; @_ZN7rocprim17ROCPRIM_400000_NS6detail17trampoline_kernelINS0_14default_configENS1_27scan_by_key_config_selectorIiiEEZZNS1_16scan_by_key_implILNS1_25lookback_scan_determinismE0ELb0ES3_PKiN6hipcub16HIPCUB_304000_NS21ConstantInputIteratorIilEEPiiNSB_3SumENSB_8EqualityEiEE10hipError_tPvRmT2_T3_T4_T5_mT6_T7_P12ihipStream_tbENKUlT_T0_E_clISt17integral_constantIbLb1EESW_IbLb0EEEEDaSS_ST_EUlSS_E_NS1_11comp_targetILNS1_3genE2ELNS1_11target_archE906ELNS1_3gpuE6ELNS1_3repE0EEENS1_30default_config_static_selectorELNS0_4arch9wavefront6targetE0EEEvT1_
; %bb.0:
	.section	.rodata,"a",@progbits
	.p2align	6, 0x0
	.amdhsa_kernel _ZN7rocprim17ROCPRIM_400000_NS6detail17trampoline_kernelINS0_14default_configENS1_27scan_by_key_config_selectorIiiEEZZNS1_16scan_by_key_implILNS1_25lookback_scan_determinismE0ELb0ES3_PKiN6hipcub16HIPCUB_304000_NS21ConstantInputIteratorIilEEPiiNSB_3SumENSB_8EqualityEiEE10hipError_tPvRmT2_T3_T4_T5_mT6_T7_P12ihipStream_tbENKUlT_T0_E_clISt17integral_constantIbLb1EESW_IbLb0EEEEDaSS_ST_EUlSS_E_NS1_11comp_targetILNS1_3genE2ELNS1_11target_archE906ELNS1_3gpuE6ELNS1_3repE0EEENS1_30default_config_static_selectorELNS0_4arch9wavefront6targetE0EEEvT1_
		.amdhsa_group_segment_fixed_size 0
		.amdhsa_private_segment_fixed_size 0
		.amdhsa_kernarg_size 120
		.amdhsa_user_sgpr_count 2
		.amdhsa_user_sgpr_dispatch_ptr 0
		.amdhsa_user_sgpr_queue_ptr 0
		.amdhsa_user_sgpr_kernarg_segment_ptr 1
		.amdhsa_user_sgpr_dispatch_id 0
		.amdhsa_user_sgpr_kernarg_preload_length 0
		.amdhsa_user_sgpr_kernarg_preload_offset 0
		.amdhsa_user_sgpr_private_segment_size 0
		.amdhsa_wavefront_size32 1
		.amdhsa_uses_dynamic_stack 0
		.amdhsa_enable_private_segment 0
		.amdhsa_system_sgpr_workgroup_id_x 1
		.amdhsa_system_sgpr_workgroup_id_y 0
		.amdhsa_system_sgpr_workgroup_id_z 0
		.amdhsa_system_sgpr_workgroup_info 0
		.amdhsa_system_vgpr_workitem_id 0
		.amdhsa_next_free_vgpr 1
		.amdhsa_next_free_sgpr 1
		.amdhsa_named_barrier_count 0
		.amdhsa_reserve_vcc 0
		.amdhsa_float_round_mode_32 0
		.amdhsa_float_round_mode_16_64 0
		.amdhsa_float_denorm_mode_32 3
		.amdhsa_float_denorm_mode_16_64 3
		.amdhsa_fp16_overflow 0
		.amdhsa_memory_ordered 1
		.amdhsa_forward_progress 1
		.amdhsa_inst_pref_size 0
		.amdhsa_round_robin_scheduling 0
		.amdhsa_exception_fp_ieee_invalid_op 0
		.amdhsa_exception_fp_denorm_src 0
		.amdhsa_exception_fp_ieee_div_zero 0
		.amdhsa_exception_fp_ieee_overflow 0
		.amdhsa_exception_fp_ieee_underflow 0
		.amdhsa_exception_fp_ieee_inexact 0
		.amdhsa_exception_int_div_zero 0
	.end_amdhsa_kernel
	.section	.text._ZN7rocprim17ROCPRIM_400000_NS6detail17trampoline_kernelINS0_14default_configENS1_27scan_by_key_config_selectorIiiEEZZNS1_16scan_by_key_implILNS1_25lookback_scan_determinismE0ELb0ES3_PKiN6hipcub16HIPCUB_304000_NS21ConstantInputIteratorIilEEPiiNSB_3SumENSB_8EqualityEiEE10hipError_tPvRmT2_T3_T4_T5_mT6_T7_P12ihipStream_tbENKUlT_T0_E_clISt17integral_constantIbLb1EESW_IbLb0EEEEDaSS_ST_EUlSS_E_NS1_11comp_targetILNS1_3genE2ELNS1_11target_archE906ELNS1_3gpuE6ELNS1_3repE0EEENS1_30default_config_static_selectorELNS0_4arch9wavefront6targetE0EEEvT1_,"axG",@progbits,_ZN7rocprim17ROCPRIM_400000_NS6detail17trampoline_kernelINS0_14default_configENS1_27scan_by_key_config_selectorIiiEEZZNS1_16scan_by_key_implILNS1_25lookback_scan_determinismE0ELb0ES3_PKiN6hipcub16HIPCUB_304000_NS21ConstantInputIteratorIilEEPiiNSB_3SumENSB_8EqualityEiEE10hipError_tPvRmT2_T3_T4_T5_mT6_T7_P12ihipStream_tbENKUlT_T0_E_clISt17integral_constantIbLb1EESW_IbLb0EEEEDaSS_ST_EUlSS_E_NS1_11comp_targetILNS1_3genE2ELNS1_11target_archE906ELNS1_3gpuE6ELNS1_3repE0EEENS1_30default_config_static_selectorELNS0_4arch9wavefront6targetE0EEEvT1_,comdat
.Lfunc_end37:
	.size	_ZN7rocprim17ROCPRIM_400000_NS6detail17trampoline_kernelINS0_14default_configENS1_27scan_by_key_config_selectorIiiEEZZNS1_16scan_by_key_implILNS1_25lookback_scan_determinismE0ELb0ES3_PKiN6hipcub16HIPCUB_304000_NS21ConstantInputIteratorIilEEPiiNSB_3SumENSB_8EqualityEiEE10hipError_tPvRmT2_T3_T4_T5_mT6_T7_P12ihipStream_tbENKUlT_T0_E_clISt17integral_constantIbLb1EESW_IbLb0EEEEDaSS_ST_EUlSS_E_NS1_11comp_targetILNS1_3genE2ELNS1_11target_archE906ELNS1_3gpuE6ELNS1_3repE0EEENS1_30default_config_static_selectorELNS0_4arch9wavefront6targetE0EEEvT1_, .Lfunc_end37-_ZN7rocprim17ROCPRIM_400000_NS6detail17trampoline_kernelINS0_14default_configENS1_27scan_by_key_config_selectorIiiEEZZNS1_16scan_by_key_implILNS1_25lookback_scan_determinismE0ELb0ES3_PKiN6hipcub16HIPCUB_304000_NS21ConstantInputIteratorIilEEPiiNSB_3SumENSB_8EqualityEiEE10hipError_tPvRmT2_T3_T4_T5_mT6_T7_P12ihipStream_tbENKUlT_T0_E_clISt17integral_constantIbLb1EESW_IbLb0EEEEDaSS_ST_EUlSS_E_NS1_11comp_targetILNS1_3genE2ELNS1_11target_archE906ELNS1_3gpuE6ELNS1_3repE0EEENS1_30default_config_static_selectorELNS0_4arch9wavefront6targetE0EEEvT1_
                                        ; -- End function
	.set _ZN7rocprim17ROCPRIM_400000_NS6detail17trampoline_kernelINS0_14default_configENS1_27scan_by_key_config_selectorIiiEEZZNS1_16scan_by_key_implILNS1_25lookback_scan_determinismE0ELb0ES3_PKiN6hipcub16HIPCUB_304000_NS21ConstantInputIteratorIilEEPiiNSB_3SumENSB_8EqualityEiEE10hipError_tPvRmT2_T3_T4_T5_mT6_T7_P12ihipStream_tbENKUlT_T0_E_clISt17integral_constantIbLb1EESW_IbLb0EEEEDaSS_ST_EUlSS_E_NS1_11comp_targetILNS1_3genE2ELNS1_11target_archE906ELNS1_3gpuE6ELNS1_3repE0EEENS1_30default_config_static_selectorELNS0_4arch9wavefront6targetE0EEEvT1_.num_vgpr, 0
	.set _ZN7rocprim17ROCPRIM_400000_NS6detail17trampoline_kernelINS0_14default_configENS1_27scan_by_key_config_selectorIiiEEZZNS1_16scan_by_key_implILNS1_25lookback_scan_determinismE0ELb0ES3_PKiN6hipcub16HIPCUB_304000_NS21ConstantInputIteratorIilEEPiiNSB_3SumENSB_8EqualityEiEE10hipError_tPvRmT2_T3_T4_T5_mT6_T7_P12ihipStream_tbENKUlT_T0_E_clISt17integral_constantIbLb1EESW_IbLb0EEEEDaSS_ST_EUlSS_E_NS1_11comp_targetILNS1_3genE2ELNS1_11target_archE906ELNS1_3gpuE6ELNS1_3repE0EEENS1_30default_config_static_selectorELNS0_4arch9wavefront6targetE0EEEvT1_.num_agpr, 0
	.set _ZN7rocprim17ROCPRIM_400000_NS6detail17trampoline_kernelINS0_14default_configENS1_27scan_by_key_config_selectorIiiEEZZNS1_16scan_by_key_implILNS1_25lookback_scan_determinismE0ELb0ES3_PKiN6hipcub16HIPCUB_304000_NS21ConstantInputIteratorIilEEPiiNSB_3SumENSB_8EqualityEiEE10hipError_tPvRmT2_T3_T4_T5_mT6_T7_P12ihipStream_tbENKUlT_T0_E_clISt17integral_constantIbLb1EESW_IbLb0EEEEDaSS_ST_EUlSS_E_NS1_11comp_targetILNS1_3genE2ELNS1_11target_archE906ELNS1_3gpuE6ELNS1_3repE0EEENS1_30default_config_static_selectorELNS0_4arch9wavefront6targetE0EEEvT1_.numbered_sgpr, 0
	.set _ZN7rocprim17ROCPRIM_400000_NS6detail17trampoline_kernelINS0_14default_configENS1_27scan_by_key_config_selectorIiiEEZZNS1_16scan_by_key_implILNS1_25lookback_scan_determinismE0ELb0ES3_PKiN6hipcub16HIPCUB_304000_NS21ConstantInputIteratorIilEEPiiNSB_3SumENSB_8EqualityEiEE10hipError_tPvRmT2_T3_T4_T5_mT6_T7_P12ihipStream_tbENKUlT_T0_E_clISt17integral_constantIbLb1EESW_IbLb0EEEEDaSS_ST_EUlSS_E_NS1_11comp_targetILNS1_3genE2ELNS1_11target_archE906ELNS1_3gpuE6ELNS1_3repE0EEENS1_30default_config_static_selectorELNS0_4arch9wavefront6targetE0EEEvT1_.num_named_barrier, 0
	.set _ZN7rocprim17ROCPRIM_400000_NS6detail17trampoline_kernelINS0_14default_configENS1_27scan_by_key_config_selectorIiiEEZZNS1_16scan_by_key_implILNS1_25lookback_scan_determinismE0ELb0ES3_PKiN6hipcub16HIPCUB_304000_NS21ConstantInputIteratorIilEEPiiNSB_3SumENSB_8EqualityEiEE10hipError_tPvRmT2_T3_T4_T5_mT6_T7_P12ihipStream_tbENKUlT_T0_E_clISt17integral_constantIbLb1EESW_IbLb0EEEEDaSS_ST_EUlSS_E_NS1_11comp_targetILNS1_3genE2ELNS1_11target_archE906ELNS1_3gpuE6ELNS1_3repE0EEENS1_30default_config_static_selectorELNS0_4arch9wavefront6targetE0EEEvT1_.private_seg_size, 0
	.set _ZN7rocprim17ROCPRIM_400000_NS6detail17trampoline_kernelINS0_14default_configENS1_27scan_by_key_config_selectorIiiEEZZNS1_16scan_by_key_implILNS1_25lookback_scan_determinismE0ELb0ES3_PKiN6hipcub16HIPCUB_304000_NS21ConstantInputIteratorIilEEPiiNSB_3SumENSB_8EqualityEiEE10hipError_tPvRmT2_T3_T4_T5_mT6_T7_P12ihipStream_tbENKUlT_T0_E_clISt17integral_constantIbLb1EESW_IbLb0EEEEDaSS_ST_EUlSS_E_NS1_11comp_targetILNS1_3genE2ELNS1_11target_archE906ELNS1_3gpuE6ELNS1_3repE0EEENS1_30default_config_static_selectorELNS0_4arch9wavefront6targetE0EEEvT1_.uses_vcc, 0
	.set _ZN7rocprim17ROCPRIM_400000_NS6detail17trampoline_kernelINS0_14default_configENS1_27scan_by_key_config_selectorIiiEEZZNS1_16scan_by_key_implILNS1_25lookback_scan_determinismE0ELb0ES3_PKiN6hipcub16HIPCUB_304000_NS21ConstantInputIteratorIilEEPiiNSB_3SumENSB_8EqualityEiEE10hipError_tPvRmT2_T3_T4_T5_mT6_T7_P12ihipStream_tbENKUlT_T0_E_clISt17integral_constantIbLb1EESW_IbLb0EEEEDaSS_ST_EUlSS_E_NS1_11comp_targetILNS1_3genE2ELNS1_11target_archE906ELNS1_3gpuE6ELNS1_3repE0EEENS1_30default_config_static_selectorELNS0_4arch9wavefront6targetE0EEEvT1_.uses_flat_scratch, 0
	.set _ZN7rocprim17ROCPRIM_400000_NS6detail17trampoline_kernelINS0_14default_configENS1_27scan_by_key_config_selectorIiiEEZZNS1_16scan_by_key_implILNS1_25lookback_scan_determinismE0ELb0ES3_PKiN6hipcub16HIPCUB_304000_NS21ConstantInputIteratorIilEEPiiNSB_3SumENSB_8EqualityEiEE10hipError_tPvRmT2_T3_T4_T5_mT6_T7_P12ihipStream_tbENKUlT_T0_E_clISt17integral_constantIbLb1EESW_IbLb0EEEEDaSS_ST_EUlSS_E_NS1_11comp_targetILNS1_3genE2ELNS1_11target_archE906ELNS1_3gpuE6ELNS1_3repE0EEENS1_30default_config_static_selectorELNS0_4arch9wavefront6targetE0EEEvT1_.has_dyn_sized_stack, 0
	.set _ZN7rocprim17ROCPRIM_400000_NS6detail17trampoline_kernelINS0_14default_configENS1_27scan_by_key_config_selectorIiiEEZZNS1_16scan_by_key_implILNS1_25lookback_scan_determinismE0ELb0ES3_PKiN6hipcub16HIPCUB_304000_NS21ConstantInputIteratorIilEEPiiNSB_3SumENSB_8EqualityEiEE10hipError_tPvRmT2_T3_T4_T5_mT6_T7_P12ihipStream_tbENKUlT_T0_E_clISt17integral_constantIbLb1EESW_IbLb0EEEEDaSS_ST_EUlSS_E_NS1_11comp_targetILNS1_3genE2ELNS1_11target_archE906ELNS1_3gpuE6ELNS1_3repE0EEENS1_30default_config_static_selectorELNS0_4arch9wavefront6targetE0EEEvT1_.has_recursion, 0
	.set _ZN7rocprim17ROCPRIM_400000_NS6detail17trampoline_kernelINS0_14default_configENS1_27scan_by_key_config_selectorIiiEEZZNS1_16scan_by_key_implILNS1_25lookback_scan_determinismE0ELb0ES3_PKiN6hipcub16HIPCUB_304000_NS21ConstantInputIteratorIilEEPiiNSB_3SumENSB_8EqualityEiEE10hipError_tPvRmT2_T3_T4_T5_mT6_T7_P12ihipStream_tbENKUlT_T0_E_clISt17integral_constantIbLb1EESW_IbLb0EEEEDaSS_ST_EUlSS_E_NS1_11comp_targetILNS1_3genE2ELNS1_11target_archE906ELNS1_3gpuE6ELNS1_3repE0EEENS1_30default_config_static_selectorELNS0_4arch9wavefront6targetE0EEEvT1_.has_indirect_call, 0
	.section	.AMDGPU.csdata,"",@progbits
; Kernel info:
; codeLenInByte = 0
; TotalNumSgprs: 0
; NumVgprs: 0
; ScratchSize: 0
; MemoryBound: 0
; FloatMode: 240
; IeeeMode: 1
; LDSByteSize: 0 bytes/workgroup (compile time only)
; SGPRBlocks: 0
; VGPRBlocks: 0
; NumSGPRsForWavesPerEU: 1
; NumVGPRsForWavesPerEU: 1
; NamedBarCnt: 0
; Occupancy: 16
; WaveLimiterHint : 0
; COMPUTE_PGM_RSRC2:SCRATCH_EN: 0
; COMPUTE_PGM_RSRC2:USER_SGPR: 2
; COMPUTE_PGM_RSRC2:TRAP_HANDLER: 0
; COMPUTE_PGM_RSRC2:TGID_X_EN: 1
; COMPUTE_PGM_RSRC2:TGID_Y_EN: 0
; COMPUTE_PGM_RSRC2:TGID_Z_EN: 0
; COMPUTE_PGM_RSRC2:TIDIG_COMP_CNT: 0
	.section	.text._ZN7rocprim17ROCPRIM_400000_NS6detail17trampoline_kernelINS0_14default_configENS1_27scan_by_key_config_selectorIiiEEZZNS1_16scan_by_key_implILNS1_25lookback_scan_determinismE0ELb0ES3_PKiN6hipcub16HIPCUB_304000_NS21ConstantInputIteratorIilEEPiiNSB_3SumENSB_8EqualityEiEE10hipError_tPvRmT2_T3_T4_T5_mT6_T7_P12ihipStream_tbENKUlT_T0_E_clISt17integral_constantIbLb1EESW_IbLb0EEEEDaSS_ST_EUlSS_E_NS1_11comp_targetILNS1_3genE10ELNS1_11target_archE1200ELNS1_3gpuE4ELNS1_3repE0EEENS1_30default_config_static_selectorELNS0_4arch9wavefront6targetE0EEEvT1_,"axG",@progbits,_ZN7rocprim17ROCPRIM_400000_NS6detail17trampoline_kernelINS0_14default_configENS1_27scan_by_key_config_selectorIiiEEZZNS1_16scan_by_key_implILNS1_25lookback_scan_determinismE0ELb0ES3_PKiN6hipcub16HIPCUB_304000_NS21ConstantInputIteratorIilEEPiiNSB_3SumENSB_8EqualityEiEE10hipError_tPvRmT2_T3_T4_T5_mT6_T7_P12ihipStream_tbENKUlT_T0_E_clISt17integral_constantIbLb1EESW_IbLb0EEEEDaSS_ST_EUlSS_E_NS1_11comp_targetILNS1_3genE10ELNS1_11target_archE1200ELNS1_3gpuE4ELNS1_3repE0EEENS1_30default_config_static_selectorELNS0_4arch9wavefront6targetE0EEEvT1_,comdat
	.protected	_ZN7rocprim17ROCPRIM_400000_NS6detail17trampoline_kernelINS0_14default_configENS1_27scan_by_key_config_selectorIiiEEZZNS1_16scan_by_key_implILNS1_25lookback_scan_determinismE0ELb0ES3_PKiN6hipcub16HIPCUB_304000_NS21ConstantInputIteratorIilEEPiiNSB_3SumENSB_8EqualityEiEE10hipError_tPvRmT2_T3_T4_T5_mT6_T7_P12ihipStream_tbENKUlT_T0_E_clISt17integral_constantIbLb1EESW_IbLb0EEEEDaSS_ST_EUlSS_E_NS1_11comp_targetILNS1_3genE10ELNS1_11target_archE1200ELNS1_3gpuE4ELNS1_3repE0EEENS1_30default_config_static_selectorELNS0_4arch9wavefront6targetE0EEEvT1_ ; -- Begin function _ZN7rocprim17ROCPRIM_400000_NS6detail17trampoline_kernelINS0_14default_configENS1_27scan_by_key_config_selectorIiiEEZZNS1_16scan_by_key_implILNS1_25lookback_scan_determinismE0ELb0ES3_PKiN6hipcub16HIPCUB_304000_NS21ConstantInputIteratorIilEEPiiNSB_3SumENSB_8EqualityEiEE10hipError_tPvRmT2_T3_T4_T5_mT6_T7_P12ihipStream_tbENKUlT_T0_E_clISt17integral_constantIbLb1EESW_IbLb0EEEEDaSS_ST_EUlSS_E_NS1_11comp_targetILNS1_3genE10ELNS1_11target_archE1200ELNS1_3gpuE4ELNS1_3repE0EEENS1_30default_config_static_selectorELNS0_4arch9wavefront6targetE0EEEvT1_
	.globl	_ZN7rocprim17ROCPRIM_400000_NS6detail17trampoline_kernelINS0_14default_configENS1_27scan_by_key_config_selectorIiiEEZZNS1_16scan_by_key_implILNS1_25lookback_scan_determinismE0ELb0ES3_PKiN6hipcub16HIPCUB_304000_NS21ConstantInputIteratorIilEEPiiNSB_3SumENSB_8EqualityEiEE10hipError_tPvRmT2_T3_T4_T5_mT6_T7_P12ihipStream_tbENKUlT_T0_E_clISt17integral_constantIbLb1EESW_IbLb0EEEEDaSS_ST_EUlSS_E_NS1_11comp_targetILNS1_3genE10ELNS1_11target_archE1200ELNS1_3gpuE4ELNS1_3repE0EEENS1_30default_config_static_selectorELNS0_4arch9wavefront6targetE0EEEvT1_
	.p2align	8
	.type	_ZN7rocprim17ROCPRIM_400000_NS6detail17trampoline_kernelINS0_14default_configENS1_27scan_by_key_config_selectorIiiEEZZNS1_16scan_by_key_implILNS1_25lookback_scan_determinismE0ELb0ES3_PKiN6hipcub16HIPCUB_304000_NS21ConstantInputIteratorIilEEPiiNSB_3SumENSB_8EqualityEiEE10hipError_tPvRmT2_T3_T4_T5_mT6_T7_P12ihipStream_tbENKUlT_T0_E_clISt17integral_constantIbLb1EESW_IbLb0EEEEDaSS_ST_EUlSS_E_NS1_11comp_targetILNS1_3genE10ELNS1_11target_archE1200ELNS1_3gpuE4ELNS1_3repE0EEENS1_30default_config_static_selectorELNS0_4arch9wavefront6targetE0EEEvT1_,@function
_ZN7rocprim17ROCPRIM_400000_NS6detail17trampoline_kernelINS0_14default_configENS1_27scan_by_key_config_selectorIiiEEZZNS1_16scan_by_key_implILNS1_25lookback_scan_determinismE0ELb0ES3_PKiN6hipcub16HIPCUB_304000_NS21ConstantInputIteratorIilEEPiiNSB_3SumENSB_8EqualityEiEE10hipError_tPvRmT2_T3_T4_T5_mT6_T7_P12ihipStream_tbENKUlT_T0_E_clISt17integral_constantIbLb1EESW_IbLb0EEEEDaSS_ST_EUlSS_E_NS1_11comp_targetILNS1_3genE10ELNS1_11target_archE1200ELNS1_3gpuE4ELNS1_3repE0EEENS1_30default_config_static_selectorELNS0_4arch9wavefront6targetE0EEEvT1_: ; @_ZN7rocprim17ROCPRIM_400000_NS6detail17trampoline_kernelINS0_14default_configENS1_27scan_by_key_config_selectorIiiEEZZNS1_16scan_by_key_implILNS1_25lookback_scan_determinismE0ELb0ES3_PKiN6hipcub16HIPCUB_304000_NS21ConstantInputIteratorIilEEPiiNSB_3SumENSB_8EqualityEiEE10hipError_tPvRmT2_T3_T4_T5_mT6_T7_P12ihipStream_tbENKUlT_T0_E_clISt17integral_constantIbLb1EESW_IbLb0EEEEDaSS_ST_EUlSS_E_NS1_11comp_targetILNS1_3genE10ELNS1_11target_archE1200ELNS1_3gpuE4ELNS1_3repE0EEENS1_30default_config_static_selectorELNS0_4arch9wavefront6targetE0EEEvT1_
; %bb.0:
	.section	.rodata,"a",@progbits
	.p2align	6, 0x0
	.amdhsa_kernel _ZN7rocprim17ROCPRIM_400000_NS6detail17trampoline_kernelINS0_14default_configENS1_27scan_by_key_config_selectorIiiEEZZNS1_16scan_by_key_implILNS1_25lookback_scan_determinismE0ELb0ES3_PKiN6hipcub16HIPCUB_304000_NS21ConstantInputIteratorIilEEPiiNSB_3SumENSB_8EqualityEiEE10hipError_tPvRmT2_T3_T4_T5_mT6_T7_P12ihipStream_tbENKUlT_T0_E_clISt17integral_constantIbLb1EESW_IbLb0EEEEDaSS_ST_EUlSS_E_NS1_11comp_targetILNS1_3genE10ELNS1_11target_archE1200ELNS1_3gpuE4ELNS1_3repE0EEENS1_30default_config_static_selectorELNS0_4arch9wavefront6targetE0EEEvT1_
		.amdhsa_group_segment_fixed_size 0
		.amdhsa_private_segment_fixed_size 0
		.amdhsa_kernarg_size 120
		.amdhsa_user_sgpr_count 2
		.amdhsa_user_sgpr_dispatch_ptr 0
		.amdhsa_user_sgpr_queue_ptr 0
		.amdhsa_user_sgpr_kernarg_segment_ptr 1
		.amdhsa_user_sgpr_dispatch_id 0
		.amdhsa_user_sgpr_kernarg_preload_length 0
		.amdhsa_user_sgpr_kernarg_preload_offset 0
		.amdhsa_user_sgpr_private_segment_size 0
		.amdhsa_wavefront_size32 1
		.amdhsa_uses_dynamic_stack 0
		.amdhsa_enable_private_segment 0
		.amdhsa_system_sgpr_workgroup_id_x 1
		.amdhsa_system_sgpr_workgroup_id_y 0
		.amdhsa_system_sgpr_workgroup_id_z 0
		.amdhsa_system_sgpr_workgroup_info 0
		.amdhsa_system_vgpr_workitem_id 0
		.amdhsa_next_free_vgpr 1
		.amdhsa_next_free_sgpr 1
		.amdhsa_named_barrier_count 0
		.amdhsa_reserve_vcc 0
		.amdhsa_float_round_mode_32 0
		.amdhsa_float_round_mode_16_64 0
		.amdhsa_float_denorm_mode_32 3
		.amdhsa_float_denorm_mode_16_64 3
		.amdhsa_fp16_overflow 0
		.amdhsa_memory_ordered 1
		.amdhsa_forward_progress 1
		.amdhsa_inst_pref_size 0
		.amdhsa_round_robin_scheduling 0
		.amdhsa_exception_fp_ieee_invalid_op 0
		.amdhsa_exception_fp_denorm_src 0
		.amdhsa_exception_fp_ieee_div_zero 0
		.amdhsa_exception_fp_ieee_overflow 0
		.amdhsa_exception_fp_ieee_underflow 0
		.amdhsa_exception_fp_ieee_inexact 0
		.amdhsa_exception_int_div_zero 0
	.end_amdhsa_kernel
	.section	.text._ZN7rocprim17ROCPRIM_400000_NS6detail17trampoline_kernelINS0_14default_configENS1_27scan_by_key_config_selectorIiiEEZZNS1_16scan_by_key_implILNS1_25lookback_scan_determinismE0ELb0ES3_PKiN6hipcub16HIPCUB_304000_NS21ConstantInputIteratorIilEEPiiNSB_3SumENSB_8EqualityEiEE10hipError_tPvRmT2_T3_T4_T5_mT6_T7_P12ihipStream_tbENKUlT_T0_E_clISt17integral_constantIbLb1EESW_IbLb0EEEEDaSS_ST_EUlSS_E_NS1_11comp_targetILNS1_3genE10ELNS1_11target_archE1200ELNS1_3gpuE4ELNS1_3repE0EEENS1_30default_config_static_selectorELNS0_4arch9wavefront6targetE0EEEvT1_,"axG",@progbits,_ZN7rocprim17ROCPRIM_400000_NS6detail17trampoline_kernelINS0_14default_configENS1_27scan_by_key_config_selectorIiiEEZZNS1_16scan_by_key_implILNS1_25lookback_scan_determinismE0ELb0ES3_PKiN6hipcub16HIPCUB_304000_NS21ConstantInputIteratorIilEEPiiNSB_3SumENSB_8EqualityEiEE10hipError_tPvRmT2_T3_T4_T5_mT6_T7_P12ihipStream_tbENKUlT_T0_E_clISt17integral_constantIbLb1EESW_IbLb0EEEEDaSS_ST_EUlSS_E_NS1_11comp_targetILNS1_3genE10ELNS1_11target_archE1200ELNS1_3gpuE4ELNS1_3repE0EEENS1_30default_config_static_selectorELNS0_4arch9wavefront6targetE0EEEvT1_,comdat
.Lfunc_end38:
	.size	_ZN7rocprim17ROCPRIM_400000_NS6detail17trampoline_kernelINS0_14default_configENS1_27scan_by_key_config_selectorIiiEEZZNS1_16scan_by_key_implILNS1_25lookback_scan_determinismE0ELb0ES3_PKiN6hipcub16HIPCUB_304000_NS21ConstantInputIteratorIilEEPiiNSB_3SumENSB_8EqualityEiEE10hipError_tPvRmT2_T3_T4_T5_mT6_T7_P12ihipStream_tbENKUlT_T0_E_clISt17integral_constantIbLb1EESW_IbLb0EEEEDaSS_ST_EUlSS_E_NS1_11comp_targetILNS1_3genE10ELNS1_11target_archE1200ELNS1_3gpuE4ELNS1_3repE0EEENS1_30default_config_static_selectorELNS0_4arch9wavefront6targetE0EEEvT1_, .Lfunc_end38-_ZN7rocprim17ROCPRIM_400000_NS6detail17trampoline_kernelINS0_14default_configENS1_27scan_by_key_config_selectorIiiEEZZNS1_16scan_by_key_implILNS1_25lookback_scan_determinismE0ELb0ES3_PKiN6hipcub16HIPCUB_304000_NS21ConstantInputIteratorIilEEPiiNSB_3SumENSB_8EqualityEiEE10hipError_tPvRmT2_T3_T4_T5_mT6_T7_P12ihipStream_tbENKUlT_T0_E_clISt17integral_constantIbLb1EESW_IbLb0EEEEDaSS_ST_EUlSS_E_NS1_11comp_targetILNS1_3genE10ELNS1_11target_archE1200ELNS1_3gpuE4ELNS1_3repE0EEENS1_30default_config_static_selectorELNS0_4arch9wavefront6targetE0EEEvT1_
                                        ; -- End function
	.set _ZN7rocprim17ROCPRIM_400000_NS6detail17trampoline_kernelINS0_14default_configENS1_27scan_by_key_config_selectorIiiEEZZNS1_16scan_by_key_implILNS1_25lookback_scan_determinismE0ELb0ES3_PKiN6hipcub16HIPCUB_304000_NS21ConstantInputIteratorIilEEPiiNSB_3SumENSB_8EqualityEiEE10hipError_tPvRmT2_T3_T4_T5_mT6_T7_P12ihipStream_tbENKUlT_T0_E_clISt17integral_constantIbLb1EESW_IbLb0EEEEDaSS_ST_EUlSS_E_NS1_11comp_targetILNS1_3genE10ELNS1_11target_archE1200ELNS1_3gpuE4ELNS1_3repE0EEENS1_30default_config_static_selectorELNS0_4arch9wavefront6targetE0EEEvT1_.num_vgpr, 0
	.set _ZN7rocprim17ROCPRIM_400000_NS6detail17trampoline_kernelINS0_14default_configENS1_27scan_by_key_config_selectorIiiEEZZNS1_16scan_by_key_implILNS1_25lookback_scan_determinismE0ELb0ES3_PKiN6hipcub16HIPCUB_304000_NS21ConstantInputIteratorIilEEPiiNSB_3SumENSB_8EqualityEiEE10hipError_tPvRmT2_T3_T4_T5_mT6_T7_P12ihipStream_tbENKUlT_T0_E_clISt17integral_constantIbLb1EESW_IbLb0EEEEDaSS_ST_EUlSS_E_NS1_11comp_targetILNS1_3genE10ELNS1_11target_archE1200ELNS1_3gpuE4ELNS1_3repE0EEENS1_30default_config_static_selectorELNS0_4arch9wavefront6targetE0EEEvT1_.num_agpr, 0
	.set _ZN7rocprim17ROCPRIM_400000_NS6detail17trampoline_kernelINS0_14default_configENS1_27scan_by_key_config_selectorIiiEEZZNS1_16scan_by_key_implILNS1_25lookback_scan_determinismE0ELb0ES3_PKiN6hipcub16HIPCUB_304000_NS21ConstantInputIteratorIilEEPiiNSB_3SumENSB_8EqualityEiEE10hipError_tPvRmT2_T3_T4_T5_mT6_T7_P12ihipStream_tbENKUlT_T0_E_clISt17integral_constantIbLb1EESW_IbLb0EEEEDaSS_ST_EUlSS_E_NS1_11comp_targetILNS1_3genE10ELNS1_11target_archE1200ELNS1_3gpuE4ELNS1_3repE0EEENS1_30default_config_static_selectorELNS0_4arch9wavefront6targetE0EEEvT1_.numbered_sgpr, 0
	.set _ZN7rocprim17ROCPRIM_400000_NS6detail17trampoline_kernelINS0_14default_configENS1_27scan_by_key_config_selectorIiiEEZZNS1_16scan_by_key_implILNS1_25lookback_scan_determinismE0ELb0ES3_PKiN6hipcub16HIPCUB_304000_NS21ConstantInputIteratorIilEEPiiNSB_3SumENSB_8EqualityEiEE10hipError_tPvRmT2_T3_T4_T5_mT6_T7_P12ihipStream_tbENKUlT_T0_E_clISt17integral_constantIbLb1EESW_IbLb0EEEEDaSS_ST_EUlSS_E_NS1_11comp_targetILNS1_3genE10ELNS1_11target_archE1200ELNS1_3gpuE4ELNS1_3repE0EEENS1_30default_config_static_selectorELNS0_4arch9wavefront6targetE0EEEvT1_.num_named_barrier, 0
	.set _ZN7rocprim17ROCPRIM_400000_NS6detail17trampoline_kernelINS0_14default_configENS1_27scan_by_key_config_selectorIiiEEZZNS1_16scan_by_key_implILNS1_25lookback_scan_determinismE0ELb0ES3_PKiN6hipcub16HIPCUB_304000_NS21ConstantInputIteratorIilEEPiiNSB_3SumENSB_8EqualityEiEE10hipError_tPvRmT2_T3_T4_T5_mT6_T7_P12ihipStream_tbENKUlT_T0_E_clISt17integral_constantIbLb1EESW_IbLb0EEEEDaSS_ST_EUlSS_E_NS1_11comp_targetILNS1_3genE10ELNS1_11target_archE1200ELNS1_3gpuE4ELNS1_3repE0EEENS1_30default_config_static_selectorELNS0_4arch9wavefront6targetE0EEEvT1_.private_seg_size, 0
	.set _ZN7rocprim17ROCPRIM_400000_NS6detail17trampoline_kernelINS0_14default_configENS1_27scan_by_key_config_selectorIiiEEZZNS1_16scan_by_key_implILNS1_25lookback_scan_determinismE0ELb0ES3_PKiN6hipcub16HIPCUB_304000_NS21ConstantInputIteratorIilEEPiiNSB_3SumENSB_8EqualityEiEE10hipError_tPvRmT2_T3_T4_T5_mT6_T7_P12ihipStream_tbENKUlT_T0_E_clISt17integral_constantIbLb1EESW_IbLb0EEEEDaSS_ST_EUlSS_E_NS1_11comp_targetILNS1_3genE10ELNS1_11target_archE1200ELNS1_3gpuE4ELNS1_3repE0EEENS1_30default_config_static_selectorELNS0_4arch9wavefront6targetE0EEEvT1_.uses_vcc, 0
	.set _ZN7rocprim17ROCPRIM_400000_NS6detail17trampoline_kernelINS0_14default_configENS1_27scan_by_key_config_selectorIiiEEZZNS1_16scan_by_key_implILNS1_25lookback_scan_determinismE0ELb0ES3_PKiN6hipcub16HIPCUB_304000_NS21ConstantInputIteratorIilEEPiiNSB_3SumENSB_8EqualityEiEE10hipError_tPvRmT2_T3_T4_T5_mT6_T7_P12ihipStream_tbENKUlT_T0_E_clISt17integral_constantIbLb1EESW_IbLb0EEEEDaSS_ST_EUlSS_E_NS1_11comp_targetILNS1_3genE10ELNS1_11target_archE1200ELNS1_3gpuE4ELNS1_3repE0EEENS1_30default_config_static_selectorELNS0_4arch9wavefront6targetE0EEEvT1_.uses_flat_scratch, 0
	.set _ZN7rocprim17ROCPRIM_400000_NS6detail17trampoline_kernelINS0_14default_configENS1_27scan_by_key_config_selectorIiiEEZZNS1_16scan_by_key_implILNS1_25lookback_scan_determinismE0ELb0ES3_PKiN6hipcub16HIPCUB_304000_NS21ConstantInputIteratorIilEEPiiNSB_3SumENSB_8EqualityEiEE10hipError_tPvRmT2_T3_T4_T5_mT6_T7_P12ihipStream_tbENKUlT_T0_E_clISt17integral_constantIbLb1EESW_IbLb0EEEEDaSS_ST_EUlSS_E_NS1_11comp_targetILNS1_3genE10ELNS1_11target_archE1200ELNS1_3gpuE4ELNS1_3repE0EEENS1_30default_config_static_selectorELNS0_4arch9wavefront6targetE0EEEvT1_.has_dyn_sized_stack, 0
	.set _ZN7rocprim17ROCPRIM_400000_NS6detail17trampoline_kernelINS0_14default_configENS1_27scan_by_key_config_selectorIiiEEZZNS1_16scan_by_key_implILNS1_25lookback_scan_determinismE0ELb0ES3_PKiN6hipcub16HIPCUB_304000_NS21ConstantInputIteratorIilEEPiiNSB_3SumENSB_8EqualityEiEE10hipError_tPvRmT2_T3_T4_T5_mT6_T7_P12ihipStream_tbENKUlT_T0_E_clISt17integral_constantIbLb1EESW_IbLb0EEEEDaSS_ST_EUlSS_E_NS1_11comp_targetILNS1_3genE10ELNS1_11target_archE1200ELNS1_3gpuE4ELNS1_3repE0EEENS1_30default_config_static_selectorELNS0_4arch9wavefront6targetE0EEEvT1_.has_recursion, 0
	.set _ZN7rocprim17ROCPRIM_400000_NS6detail17trampoline_kernelINS0_14default_configENS1_27scan_by_key_config_selectorIiiEEZZNS1_16scan_by_key_implILNS1_25lookback_scan_determinismE0ELb0ES3_PKiN6hipcub16HIPCUB_304000_NS21ConstantInputIteratorIilEEPiiNSB_3SumENSB_8EqualityEiEE10hipError_tPvRmT2_T3_T4_T5_mT6_T7_P12ihipStream_tbENKUlT_T0_E_clISt17integral_constantIbLb1EESW_IbLb0EEEEDaSS_ST_EUlSS_E_NS1_11comp_targetILNS1_3genE10ELNS1_11target_archE1200ELNS1_3gpuE4ELNS1_3repE0EEENS1_30default_config_static_selectorELNS0_4arch9wavefront6targetE0EEEvT1_.has_indirect_call, 0
	.section	.AMDGPU.csdata,"",@progbits
; Kernel info:
; codeLenInByte = 0
; TotalNumSgprs: 0
; NumVgprs: 0
; ScratchSize: 0
; MemoryBound: 0
; FloatMode: 240
; IeeeMode: 1
; LDSByteSize: 0 bytes/workgroup (compile time only)
; SGPRBlocks: 0
; VGPRBlocks: 0
; NumSGPRsForWavesPerEU: 1
; NumVGPRsForWavesPerEU: 1
; NamedBarCnt: 0
; Occupancy: 16
; WaveLimiterHint : 0
; COMPUTE_PGM_RSRC2:SCRATCH_EN: 0
; COMPUTE_PGM_RSRC2:USER_SGPR: 2
; COMPUTE_PGM_RSRC2:TRAP_HANDLER: 0
; COMPUTE_PGM_RSRC2:TGID_X_EN: 1
; COMPUTE_PGM_RSRC2:TGID_Y_EN: 0
; COMPUTE_PGM_RSRC2:TGID_Z_EN: 0
; COMPUTE_PGM_RSRC2:TIDIG_COMP_CNT: 0
	.section	.text._ZN7rocprim17ROCPRIM_400000_NS6detail17trampoline_kernelINS0_14default_configENS1_27scan_by_key_config_selectorIiiEEZZNS1_16scan_by_key_implILNS1_25lookback_scan_determinismE0ELb0ES3_PKiN6hipcub16HIPCUB_304000_NS21ConstantInputIteratorIilEEPiiNSB_3SumENSB_8EqualityEiEE10hipError_tPvRmT2_T3_T4_T5_mT6_T7_P12ihipStream_tbENKUlT_T0_E_clISt17integral_constantIbLb1EESW_IbLb0EEEEDaSS_ST_EUlSS_E_NS1_11comp_targetILNS1_3genE9ELNS1_11target_archE1100ELNS1_3gpuE3ELNS1_3repE0EEENS1_30default_config_static_selectorELNS0_4arch9wavefront6targetE0EEEvT1_,"axG",@progbits,_ZN7rocprim17ROCPRIM_400000_NS6detail17trampoline_kernelINS0_14default_configENS1_27scan_by_key_config_selectorIiiEEZZNS1_16scan_by_key_implILNS1_25lookback_scan_determinismE0ELb0ES3_PKiN6hipcub16HIPCUB_304000_NS21ConstantInputIteratorIilEEPiiNSB_3SumENSB_8EqualityEiEE10hipError_tPvRmT2_T3_T4_T5_mT6_T7_P12ihipStream_tbENKUlT_T0_E_clISt17integral_constantIbLb1EESW_IbLb0EEEEDaSS_ST_EUlSS_E_NS1_11comp_targetILNS1_3genE9ELNS1_11target_archE1100ELNS1_3gpuE3ELNS1_3repE0EEENS1_30default_config_static_selectorELNS0_4arch9wavefront6targetE0EEEvT1_,comdat
	.protected	_ZN7rocprim17ROCPRIM_400000_NS6detail17trampoline_kernelINS0_14default_configENS1_27scan_by_key_config_selectorIiiEEZZNS1_16scan_by_key_implILNS1_25lookback_scan_determinismE0ELb0ES3_PKiN6hipcub16HIPCUB_304000_NS21ConstantInputIteratorIilEEPiiNSB_3SumENSB_8EqualityEiEE10hipError_tPvRmT2_T3_T4_T5_mT6_T7_P12ihipStream_tbENKUlT_T0_E_clISt17integral_constantIbLb1EESW_IbLb0EEEEDaSS_ST_EUlSS_E_NS1_11comp_targetILNS1_3genE9ELNS1_11target_archE1100ELNS1_3gpuE3ELNS1_3repE0EEENS1_30default_config_static_selectorELNS0_4arch9wavefront6targetE0EEEvT1_ ; -- Begin function _ZN7rocprim17ROCPRIM_400000_NS6detail17trampoline_kernelINS0_14default_configENS1_27scan_by_key_config_selectorIiiEEZZNS1_16scan_by_key_implILNS1_25lookback_scan_determinismE0ELb0ES3_PKiN6hipcub16HIPCUB_304000_NS21ConstantInputIteratorIilEEPiiNSB_3SumENSB_8EqualityEiEE10hipError_tPvRmT2_T3_T4_T5_mT6_T7_P12ihipStream_tbENKUlT_T0_E_clISt17integral_constantIbLb1EESW_IbLb0EEEEDaSS_ST_EUlSS_E_NS1_11comp_targetILNS1_3genE9ELNS1_11target_archE1100ELNS1_3gpuE3ELNS1_3repE0EEENS1_30default_config_static_selectorELNS0_4arch9wavefront6targetE0EEEvT1_
	.globl	_ZN7rocprim17ROCPRIM_400000_NS6detail17trampoline_kernelINS0_14default_configENS1_27scan_by_key_config_selectorIiiEEZZNS1_16scan_by_key_implILNS1_25lookback_scan_determinismE0ELb0ES3_PKiN6hipcub16HIPCUB_304000_NS21ConstantInputIteratorIilEEPiiNSB_3SumENSB_8EqualityEiEE10hipError_tPvRmT2_T3_T4_T5_mT6_T7_P12ihipStream_tbENKUlT_T0_E_clISt17integral_constantIbLb1EESW_IbLb0EEEEDaSS_ST_EUlSS_E_NS1_11comp_targetILNS1_3genE9ELNS1_11target_archE1100ELNS1_3gpuE3ELNS1_3repE0EEENS1_30default_config_static_selectorELNS0_4arch9wavefront6targetE0EEEvT1_
	.p2align	8
	.type	_ZN7rocprim17ROCPRIM_400000_NS6detail17trampoline_kernelINS0_14default_configENS1_27scan_by_key_config_selectorIiiEEZZNS1_16scan_by_key_implILNS1_25lookback_scan_determinismE0ELb0ES3_PKiN6hipcub16HIPCUB_304000_NS21ConstantInputIteratorIilEEPiiNSB_3SumENSB_8EqualityEiEE10hipError_tPvRmT2_T3_T4_T5_mT6_T7_P12ihipStream_tbENKUlT_T0_E_clISt17integral_constantIbLb1EESW_IbLb0EEEEDaSS_ST_EUlSS_E_NS1_11comp_targetILNS1_3genE9ELNS1_11target_archE1100ELNS1_3gpuE3ELNS1_3repE0EEENS1_30default_config_static_selectorELNS0_4arch9wavefront6targetE0EEEvT1_,@function
_ZN7rocprim17ROCPRIM_400000_NS6detail17trampoline_kernelINS0_14default_configENS1_27scan_by_key_config_selectorIiiEEZZNS1_16scan_by_key_implILNS1_25lookback_scan_determinismE0ELb0ES3_PKiN6hipcub16HIPCUB_304000_NS21ConstantInputIteratorIilEEPiiNSB_3SumENSB_8EqualityEiEE10hipError_tPvRmT2_T3_T4_T5_mT6_T7_P12ihipStream_tbENKUlT_T0_E_clISt17integral_constantIbLb1EESW_IbLb0EEEEDaSS_ST_EUlSS_E_NS1_11comp_targetILNS1_3genE9ELNS1_11target_archE1100ELNS1_3gpuE3ELNS1_3repE0EEENS1_30default_config_static_selectorELNS0_4arch9wavefront6targetE0EEEvT1_: ; @_ZN7rocprim17ROCPRIM_400000_NS6detail17trampoline_kernelINS0_14default_configENS1_27scan_by_key_config_selectorIiiEEZZNS1_16scan_by_key_implILNS1_25lookback_scan_determinismE0ELb0ES3_PKiN6hipcub16HIPCUB_304000_NS21ConstantInputIteratorIilEEPiiNSB_3SumENSB_8EqualityEiEE10hipError_tPvRmT2_T3_T4_T5_mT6_T7_P12ihipStream_tbENKUlT_T0_E_clISt17integral_constantIbLb1EESW_IbLb0EEEEDaSS_ST_EUlSS_E_NS1_11comp_targetILNS1_3genE9ELNS1_11target_archE1100ELNS1_3gpuE3ELNS1_3repE0EEENS1_30default_config_static_selectorELNS0_4arch9wavefront6targetE0EEEvT1_
; %bb.0:
	.section	.rodata,"a",@progbits
	.p2align	6, 0x0
	.amdhsa_kernel _ZN7rocprim17ROCPRIM_400000_NS6detail17trampoline_kernelINS0_14default_configENS1_27scan_by_key_config_selectorIiiEEZZNS1_16scan_by_key_implILNS1_25lookback_scan_determinismE0ELb0ES3_PKiN6hipcub16HIPCUB_304000_NS21ConstantInputIteratorIilEEPiiNSB_3SumENSB_8EqualityEiEE10hipError_tPvRmT2_T3_T4_T5_mT6_T7_P12ihipStream_tbENKUlT_T0_E_clISt17integral_constantIbLb1EESW_IbLb0EEEEDaSS_ST_EUlSS_E_NS1_11comp_targetILNS1_3genE9ELNS1_11target_archE1100ELNS1_3gpuE3ELNS1_3repE0EEENS1_30default_config_static_selectorELNS0_4arch9wavefront6targetE0EEEvT1_
		.amdhsa_group_segment_fixed_size 0
		.amdhsa_private_segment_fixed_size 0
		.amdhsa_kernarg_size 120
		.amdhsa_user_sgpr_count 2
		.amdhsa_user_sgpr_dispatch_ptr 0
		.amdhsa_user_sgpr_queue_ptr 0
		.amdhsa_user_sgpr_kernarg_segment_ptr 1
		.amdhsa_user_sgpr_dispatch_id 0
		.amdhsa_user_sgpr_kernarg_preload_length 0
		.amdhsa_user_sgpr_kernarg_preload_offset 0
		.amdhsa_user_sgpr_private_segment_size 0
		.amdhsa_wavefront_size32 1
		.amdhsa_uses_dynamic_stack 0
		.amdhsa_enable_private_segment 0
		.amdhsa_system_sgpr_workgroup_id_x 1
		.amdhsa_system_sgpr_workgroup_id_y 0
		.amdhsa_system_sgpr_workgroup_id_z 0
		.amdhsa_system_sgpr_workgroup_info 0
		.amdhsa_system_vgpr_workitem_id 0
		.amdhsa_next_free_vgpr 1
		.amdhsa_next_free_sgpr 1
		.amdhsa_named_barrier_count 0
		.amdhsa_reserve_vcc 0
		.amdhsa_float_round_mode_32 0
		.amdhsa_float_round_mode_16_64 0
		.amdhsa_float_denorm_mode_32 3
		.amdhsa_float_denorm_mode_16_64 3
		.amdhsa_fp16_overflow 0
		.amdhsa_memory_ordered 1
		.amdhsa_forward_progress 1
		.amdhsa_inst_pref_size 0
		.amdhsa_round_robin_scheduling 0
		.amdhsa_exception_fp_ieee_invalid_op 0
		.amdhsa_exception_fp_denorm_src 0
		.amdhsa_exception_fp_ieee_div_zero 0
		.amdhsa_exception_fp_ieee_overflow 0
		.amdhsa_exception_fp_ieee_underflow 0
		.amdhsa_exception_fp_ieee_inexact 0
		.amdhsa_exception_int_div_zero 0
	.end_amdhsa_kernel
	.section	.text._ZN7rocprim17ROCPRIM_400000_NS6detail17trampoline_kernelINS0_14default_configENS1_27scan_by_key_config_selectorIiiEEZZNS1_16scan_by_key_implILNS1_25lookback_scan_determinismE0ELb0ES3_PKiN6hipcub16HIPCUB_304000_NS21ConstantInputIteratorIilEEPiiNSB_3SumENSB_8EqualityEiEE10hipError_tPvRmT2_T3_T4_T5_mT6_T7_P12ihipStream_tbENKUlT_T0_E_clISt17integral_constantIbLb1EESW_IbLb0EEEEDaSS_ST_EUlSS_E_NS1_11comp_targetILNS1_3genE9ELNS1_11target_archE1100ELNS1_3gpuE3ELNS1_3repE0EEENS1_30default_config_static_selectorELNS0_4arch9wavefront6targetE0EEEvT1_,"axG",@progbits,_ZN7rocprim17ROCPRIM_400000_NS6detail17trampoline_kernelINS0_14default_configENS1_27scan_by_key_config_selectorIiiEEZZNS1_16scan_by_key_implILNS1_25lookback_scan_determinismE0ELb0ES3_PKiN6hipcub16HIPCUB_304000_NS21ConstantInputIteratorIilEEPiiNSB_3SumENSB_8EqualityEiEE10hipError_tPvRmT2_T3_T4_T5_mT6_T7_P12ihipStream_tbENKUlT_T0_E_clISt17integral_constantIbLb1EESW_IbLb0EEEEDaSS_ST_EUlSS_E_NS1_11comp_targetILNS1_3genE9ELNS1_11target_archE1100ELNS1_3gpuE3ELNS1_3repE0EEENS1_30default_config_static_selectorELNS0_4arch9wavefront6targetE0EEEvT1_,comdat
.Lfunc_end39:
	.size	_ZN7rocprim17ROCPRIM_400000_NS6detail17trampoline_kernelINS0_14default_configENS1_27scan_by_key_config_selectorIiiEEZZNS1_16scan_by_key_implILNS1_25lookback_scan_determinismE0ELb0ES3_PKiN6hipcub16HIPCUB_304000_NS21ConstantInputIteratorIilEEPiiNSB_3SumENSB_8EqualityEiEE10hipError_tPvRmT2_T3_T4_T5_mT6_T7_P12ihipStream_tbENKUlT_T0_E_clISt17integral_constantIbLb1EESW_IbLb0EEEEDaSS_ST_EUlSS_E_NS1_11comp_targetILNS1_3genE9ELNS1_11target_archE1100ELNS1_3gpuE3ELNS1_3repE0EEENS1_30default_config_static_selectorELNS0_4arch9wavefront6targetE0EEEvT1_, .Lfunc_end39-_ZN7rocprim17ROCPRIM_400000_NS6detail17trampoline_kernelINS0_14default_configENS1_27scan_by_key_config_selectorIiiEEZZNS1_16scan_by_key_implILNS1_25lookback_scan_determinismE0ELb0ES3_PKiN6hipcub16HIPCUB_304000_NS21ConstantInputIteratorIilEEPiiNSB_3SumENSB_8EqualityEiEE10hipError_tPvRmT2_T3_T4_T5_mT6_T7_P12ihipStream_tbENKUlT_T0_E_clISt17integral_constantIbLb1EESW_IbLb0EEEEDaSS_ST_EUlSS_E_NS1_11comp_targetILNS1_3genE9ELNS1_11target_archE1100ELNS1_3gpuE3ELNS1_3repE0EEENS1_30default_config_static_selectorELNS0_4arch9wavefront6targetE0EEEvT1_
                                        ; -- End function
	.set _ZN7rocprim17ROCPRIM_400000_NS6detail17trampoline_kernelINS0_14default_configENS1_27scan_by_key_config_selectorIiiEEZZNS1_16scan_by_key_implILNS1_25lookback_scan_determinismE0ELb0ES3_PKiN6hipcub16HIPCUB_304000_NS21ConstantInputIteratorIilEEPiiNSB_3SumENSB_8EqualityEiEE10hipError_tPvRmT2_T3_T4_T5_mT6_T7_P12ihipStream_tbENKUlT_T0_E_clISt17integral_constantIbLb1EESW_IbLb0EEEEDaSS_ST_EUlSS_E_NS1_11comp_targetILNS1_3genE9ELNS1_11target_archE1100ELNS1_3gpuE3ELNS1_3repE0EEENS1_30default_config_static_selectorELNS0_4arch9wavefront6targetE0EEEvT1_.num_vgpr, 0
	.set _ZN7rocprim17ROCPRIM_400000_NS6detail17trampoline_kernelINS0_14default_configENS1_27scan_by_key_config_selectorIiiEEZZNS1_16scan_by_key_implILNS1_25lookback_scan_determinismE0ELb0ES3_PKiN6hipcub16HIPCUB_304000_NS21ConstantInputIteratorIilEEPiiNSB_3SumENSB_8EqualityEiEE10hipError_tPvRmT2_T3_T4_T5_mT6_T7_P12ihipStream_tbENKUlT_T0_E_clISt17integral_constantIbLb1EESW_IbLb0EEEEDaSS_ST_EUlSS_E_NS1_11comp_targetILNS1_3genE9ELNS1_11target_archE1100ELNS1_3gpuE3ELNS1_3repE0EEENS1_30default_config_static_selectorELNS0_4arch9wavefront6targetE0EEEvT1_.num_agpr, 0
	.set _ZN7rocprim17ROCPRIM_400000_NS6detail17trampoline_kernelINS0_14default_configENS1_27scan_by_key_config_selectorIiiEEZZNS1_16scan_by_key_implILNS1_25lookback_scan_determinismE0ELb0ES3_PKiN6hipcub16HIPCUB_304000_NS21ConstantInputIteratorIilEEPiiNSB_3SumENSB_8EqualityEiEE10hipError_tPvRmT2_T3_T4_T5_mT6_T7_P12ihipStream_tbENKUlT_T0_E_clISt17integral_constantIbLb1EESW_IbLb0EEEEDaSS_ST_EUlSS_E_NS1_11comp_targetILNS1_3genE9ELNS1_11target_archE1100ELNS1_3gpuE3ELNS1_3repE0EEENS1_30default_config_static_selectorELNS0_4arch9wavefront6targetE0EEEvT1_.numbered_sgpr, 0
	.set _ZN7rocprim17ROCPRIM_400000_NS6detail17trampoline_kernelINS0_14default_configENS1_27scan_by_key_config_selectorIiiEEZZNS1_16scan_by_key_implILNS1_25lookback_scan_determinismE0ELb0ES3_PKiN6hipcub16HIPCUB_304000_NS21ConstantInputIteratorIilEEPiiNSB_3SumENSB_8EqualityEiEE10hipError_tPvRmT2_T3_T4_T5_mT6_T7_P12ihipStream_tbENKUlT_T0_E_clISt17integral_constantIbLb1EESW_IbLb0EEEEDaSS_ST_EUlSS_E_NS1_11comp_targetILNS1_3genE9ELNS1_11target_archE1100ELNS1_3gpuE3ELNS1_3repE0EEENS1_30default_config_static_selectorELNS0_4arch9wavefront6targetE0EEEvT1_.num_named_barrier, 0
	.set _ZN7rocprim17ROCPRIM_400000_NS6detail17trampoline_kernelINS0_14default_configENS1_27scan_by_key_config_selectorIiiEEZZNS1_16scan_by_key_implILNS1_25lookback_scan_determinismE0ELb0ES3_PKiN6hipcub16HIPCUB_304000_NS21ConstantInputIteratorIilEEPiiNSB_3SumENSB_8EqualityEiEE10hipError_tPvRmT2_T3_T4_T5_mT6_T7_P12ihipStream_tbENKUlT_T0_E_clISt17integral_constantIbLb1EESW_IbLb0EEEEDaSS_ST_EUlSS_E_NS1_11comp_targetILNS1_3genE9ELNS1_11target_archE1100ELNS1_3gpuE3ELNS1_3repE0EEENS1_30default_config_static_selectorELNS0_4arch9wavefront6targetE0EEEvT1_.private_seg_size, 0
	.set _ZN7rocprim17ROCPRIM_400000_NS6detail17trampoline_kernelINS0_14default_configENS1_27scan_by_key_config_selectorIiiEEZZNS1_16scan_by_key_implILNS1_25lookback_scan_determinismE0ELb0ES3_PKiN6hipcub16HIPCUB_304000_NS21ConstantInputIteratorIilEEPiiNSB_3SumENSB_8EqualityEiEE10hipError_tPvRmT2_T3_T4_T5_mT6_T7_P12ihipStream_tbENKUlT_T0_E_clISt17integral_constantIbLb1EESW_IbLb0EEEEDaSS_ST_EUlSS_E_NS1_11comp_targetILNS1_3genE9ELNS1_11target_archE1100ELNS1_3gpuE3ELNS1_3repE0EEENS1_30default_config_static_selectorELNS0_4arch9wavefront6targetE0EEEvT1_.uses_vcc, 0
	.set _ZN7rocprim17ROCPRIM_400000_NS6detail17trampoline_kernelINS0_14default_configENS1_27scan_by_key_config_selectorIiiEEZZNS1_16scan_by_key_implILNS1_25lookback_scan_determinismE0ELb0ES3_PKiN6hipcub16HIPCUB_304000_NS21ConstantInputIteratorIilEEPiiNSB_3SumENSB_8EqualityEiEE10hipError_tPvRmT2_T3_T4_T5_mT6_T7_P12ihipStream_tbENKUlT_T0_E_clISt17integral_constantIbLb1EESW_IbLb0EEEEDaSS_ST_EUlSS_E_NS1_11comp_targetILNS1_3genE9ELNS1_11target_archE1100ELNS1_3gpuE3ELNS1_3repE0EEENS1_30default_config_static_selectorELNS0_4arch9wavefront6targetE0EEEvT1_.uses_flat_scratch, 0
	.set _ZN7rocprim17ROCPRIM_400000_NS6detail17trampoline_kernelINS0_14default_configENS1_27scan_by_key_config_selectorIiiEEZZNS1_16scan_by_key_implILNS1_25lookback_scan_determinismE0ELb0ES3_PKiN6hipcub16HIPCUB_304000_NS21ConstantInputIteratorIilEEPiiNSB_3SumENSB_8EqualityEiEE10hipError_tPvRmT2_T3_T4_T5_mT6_T7_P12ihipStream_tbENKUlT_T0_E_clISt17integral_constantIbLb1EESW_IbLb0EEEEDaSS_ST_EUlSS_E_NS1_11comp_targetILNS1_3genE9ELNS1_11target_archE1100ELNS1_3gpuE3ELNS1_3repE0EEENS1_30default_config_static_selectorELNS0_4arch9wavefront6targetE0EEEvT1_.has_dyn_sized_stack, 0
	.set _ZN7rocprim17ROCPRIM_400000_NS6detail17trampoline_kernelINS0_14default_configENS1_27scan_by_key_config_selectorIiiEEZZNS1_16scan_by_key_implILNS1_25lookback_scan_determinismE0ELb0ES3_PKiN6hipcub16HIPCUB_304000_NS21ConstantInputIteratorIilEEPiiNSB_3SumENSB_8EqualityEiEE10hipError_tPvRmT2_T3_T4_T5_mT6_T7_P12ihipStream_tbENKUlT_T0_E_clISt17integral_constantIbLb1EESW_IbLb0EEEEDaSS_ST_EUlSS_E_NS1_11comp_targetILNS1_3genE9ELNS1_11target_archE1100ELNS1_3gpuE3ELNS1_3repE0EEENS1_30default_config_static_selectorELNS0_4arch9wavefront6targetE0EEEvT1_.has_recursion, 0
	.set _ZN7rocprim17ROCPRIM_400000_NS6detail17trampoline_kernelINS0_14default_configENS1_27scan_by_key_config_selectorIiiEEZZNS1_16scan_by_key_implILNS1_25lookback_scan_determinismE0ELb0ES3_PKiN6hipcub16HIPCUB_304000_NS21ConstantInputIteratorIilEEPiiNSB_3SumENSB_8EqualityEiEE10hipError_tPvRmT2_T3_T4_T5_mT6_T7_P12ihipStream_tbENKUlT_T0_E_clISt17integral_constantIbLb1EESW_IbLb0EEEEDaSS_ST_EUlSS_E_NS1_11comp_targetILNS1_3genE9ELNS1_11target_archE1100ELNS1_3gpuE3ELNS1_3repE0EEENS1_30default_config_static_selectorELNS0_4arch9wavefront6targetE0EEEvT1_.has_indirect_call, 0
	.section	.AMDGPU.csdata,"",@progbits
; Kernel info:
; codeLenInByte = 0
; TotalNumSgprs: 0
; NumVgprs: 0
; ScratchSize: 0
; MemoryBound: 0
; FloatMode: 240
; IeeeMode: 1
; LDSByteSize: 0 bytes/workgroup (compile time only)
; SGPRBlocks: 0
; VGPRBlocks: 0
; NumSGPRsForWavesPerEU: 1
; NumVGPRsForWavesPerEU: 1
; NamedBarCnt: 0
; Occupancy: 16
; WaveLimiterHint : 0
; COMPUTE_PGM_RSRC2:SCRATCH_EN: 0
; COMPUTE_PGM_RSRC2:USER_SGPR: 2
; COMPUTE_PGM_RSRC2:TRAP_HANDLER: 0
; COMPUTE_PGM_RSRC2:TGID_X_EN: 1
; COMPUTE_PGM_RSRC2:TGID_Y_EN: 0
; COMPUTE_PGM_RSRC2:TGID_Z_EN: 0
; COMPUTE_PGM_RSRC2:TIDIG_COMP_CNT: 0
	.section	.text._ZN7rocprim17ROCPRIM_400000_NS6detail17trampoline_kernelINS0_14default_configENS1_27scan_by_key_config_selectorIiiEEZZNS1_16scan_by_key_implILNS1_25lookback_scan_determinismE0ELb0ES3_PKiN6hipcub16HIPCUB_304000_NS21ConstantInputIteratorIilEEPiiNSB_3SumENSB_8EqualityEiEE10hipError_tPvRmT2_T3_T4_T5_mT6_T7_P12ihipStream_tbENKUlT_T0_E_clISt17integral_constantIbLb1EESW_IbLb0EEEEDaSS_ST_EUlSS_E_NS1_11comp_targetILNS1_3genE8ELNS1_11target_archE1030ELNS1_3gpuE2ELNS1_3repE0EEENS1_30default_config_static_selectorELNS0_4arch9wavefront6targetE0EEEvT1_,"axG",@progbits,_ZN7rocprim17ROCPRIM_400000_NS6detail17trampoline_kernelINS0_14default_configENS1_27scan_by_key_config_selectorIiiEEZZNS1_16scan_by_key_implILNS1_25lookback_scan_determinismE0ELb0ES3_PKiN6hipcub16HIPCUB_304000_NS21ConstantInputIteratorIilEEPiiNSB_3SumENSB_8EqualityEiEE10hipError_tPvRmT2_T3_T4_T5_mT6_T7_P12ihipStream_tbENKUlT_T0_E_clISt17integral_constantIbLb1EESW_IbLb0EEEEDaSS_ST_EUlSS_E_NS1_11comp_targetILNS1_3genE8ELNS1_11target_archE1030ELNS1_3gpuE2ELNS1_3repE0EEENS1_30default_config_static_selectorELNS0_4arch9wavefront6targetE0EEEvT1_,comdat
	.protected	_ZN7rocprim17ROCPRIM_400000_NS6detail17trampoline_kernelINS0_14default_configENS1_27scan_by_key_config_selectorIiiEEZZNS1_16scan_by_key_implILNS1_25lookback_scan_determinismE0ELb0ES3_PKiN6hipcub16HIPCUB_304000_NS21ConstantInputIteratorIilEEPiiNSB_3SumENSB_8EqualityEiEE10hipError_tPvRmT2_T3_T4_T5_mT6_T7_P12ihipStream_tbENKUlT_T0_E_clISt17integral_constantIbLb1EESW_IbLb0EEEEDaSS_ST_EUlSS_E_NS1_11comp_targetILNS1_3genE8ELNS1_11target_archE1030ELNS1_3gpuE2ELNS1_3repE0EEENS1_30default_config_static_selectorELNS0_4arch9wavefront6targetE0EEEvT1_ ; -- Begin function _ZN7rocprim17ROCPRIM_400000_NS6detail17trampoline_kernelINS0_14default_configENS1_27scan_by_key_config_selectorIiiEEZZNS1_16scan_by_key_implILNS1_25lookback_scan_determinismE0ELb0ES3_PKiN6hipcub16HIPCUB_304000_NS21ConstantInputIteratorIilEEPiiNSB_3SumENSB_8EqualityEiEE10hipError_tPvRmT2_T3_T4_T5_mT6_T7_P12ihipStream_tbENKUlT_T0_E_clISt17integral_constantIbLb1EESW_IbLb0EEEEDaSS_ST_EUlSS_E_NS1_11comp_targetILNS1_3genE8ELNS1_11target_archE1030ELNS1_3gpuE2ELNS1_3repE0EEENS1_30default_config_static_selectorELNS0_4arch9wavefront6targetE0EEEvT1_
	.globl	_ZN7rocprim17ROCPRIM_400000_NS6detail17trampoline_kernelINS0_14default_configENS1_27scan_by_key_config_selectorIiiEEZZNS1_16scan_by_key_implILNS1_25lookback_scan_determinismE0ELb0ES3_PKiN6hipcub16HIPCUB_304000_NS21ConstantInputIteratorIilEEPiiNSB_3SumENSB_8EqualityEiEE10hipError_tPvRmT2_T3_T4_T5_mT6_T7_P12ihipStream_tbENKUlT_T0_E_clISt17integral_constantIbLb1EESW_IbLb0EEEEDaSS_ST_EUlSS_E_NS1_11comp_targetILNS1_3genE8ELNS1_11target_archE1030ELNS1_3gpuE2ELNS1_3repE0EEENS1_30default_config_static_selectorELNS0_4arch9wavefront6targetE0EEEvT1_
	.p2align	8
	.type	_ZN7rocprim17ROCPRIM_400000_NS6detail17trampoline_kernelINS0_14default_configENS1_27scan_by_key_config_selectorIiiEEZZNS1_16scan_by_key_implILNS1_25lookback_scan_determinismE0ELb0ES3_PKiN6hipcub16HIPCUB_304000_NS21ConstantInputIteratorIilEEPiiNSB_3SumENSB_8EqualityEiEE10hipError_tPvRmT2_T3_T4_T5_mT6_T7_P12ihipStream_tbENKUlT_T0_E_clISt17integral_constantIbLb1EESW_IbLb0EEEEDaSS_ST_EUlSS_E_NS1_11comp_targetILNS1_3genE8ELNS1_11target_archE1030ELNS1_3gpuE2ELNS1_3repE0EEENS1_30default_config_static_selectorELNS0_4arch9wavefront6targetE0EEEvT1_,@function
_ZN7rocprim17ROCPRIM_400000_NS6detail17trampoline_kernelINS0_14default_configENS1_27scan_by_key_config_selectorIiiEEZZNS1_16scan_by_key_implILNS1_25lookback_scan_determinismE0ELb0ES3_PKiN6hipcub16HIPCUB_304000_NS21ConstantInputIteratorIilEEPiiNSB_3SumENSB_8EqualityEiEE10hipError_tPvRmT2_T3_T4_T5_mT6_T7_P12ihipStream_tbENKUlT_T0_E_clISt17integral_constantIbLb1EESW_IbLb0EEEEDaSS_ST_EUlSS_E_NS1_11comp_targetILNS1_3genE8ELNS1_11target_archE1030ELNS1_3gpuE2ELNS1_3repE0EEENS1_30default_config_static_selectorELNS0_4arch9wavefront6targetE0EEEvT1_: ; @_ZN7rocprim17ROCPRIM_400000_NS6detail17trampoline_kernelINS0_14default_configENS1_27scan_by_key_config_selectorIiiEEZZNS1_16scan_by_key_implILNS1_25lookback_scan_determinismE0ELb0ES3_PKiN6hipcub16HIPCUB_304000_NS21ConstantInputIteratorIilEEPiiNSB_3SumENSB_8EqualityEiEE10hipError_tPvRmT2_T3_T4_T5_mT6_T7_P12ihipStream_tbENKUlT_T0_E_clISt17integral_constantIbLb1EESW_IbLb0EEEEDaSS_ST_EUlSS_E_NS1_11comp_targetILNS1_3genE8ELNS1_11target_archE1030ELNS1_3gpuE2ELNS1_3repE0EEENS1_30default_config_static_selectorELNS0_4arch9wavefront6targetE0EEEvT1_
; %bb.0:
	.section	.rodata,"a",@progbits
	.p2align	6, 0x0
	.amdhsa_kernel _ZN7rocprim17ROCPRIM_400000_NS6detail17trampoline_kernelINS0_14default_configENS1_27scan_by_key_config_selectorIiiEEZZNS1_16scan_by_key_implILNS1_25lookback_scan_determinismE0ELb0ES3_PKiN6hipcub16HIPCUB_304000_NS21ConstantInputIteratorIilEEPiiNSB_3SumENSB_8EqualityEiEE10hipError_tPvRmT2_T3_T4_T5_mT6_T7_P12ihipStream_tbENKUlT_T0_E_clISt17integral_constantIbLb1EESW_IbLb0EEEEDaSS_ST_EUlSS_E_NS1_11comp_targetILNS1_3genE8ELNS1_11target_archE1030ELNS1_3gpuE2ELNS1_3repE0EEENS1_30default_config_static_selectorELNS0_4arch9wavefront6targetE0EEEvT1_
		.amdhsa_group_segment_fixed_size 0
		.amdhsa_private_segment_fixed_size 0
		.amdhsa_kernarg_size 120
		.amdhsa_user_sgpr_count 2
		.amdhsa_user_sgpr_dispatch_ptr 0
		.amdhsa_user_sgpr_queue_ptr 0
		.amdhsa_user_sgpr_kernarg_segment_ptr 1
		.amdhsa_user_sgpr_dispatch_id 0
		.amdhsa_user_sgpr_kernarg_preload_length 0
		.amdhsa_user_sgpr_kernarg_preload_offset 0
		.amdhsa_user_sgpr_private_segment_size 0
		.amdhsa_wavefront_size32 1
		.amdhsa_uses_dynamic_stack 0
		.amdhsa_enable_private_segment 0
		.amdhsa_system_sgpr_workgroup_id_x 1
		.amdhsa_system_sgpr_workgroup_id_y 0
		.amdhsa_system_sgpr_workgroup_id_z 0
		.amdhsa_system_sgpr_workgroup_info 0
		.amdhsa_system_vgpr_workitem_id 0
		.amdhsa_next_free_vgpr 1
		.amdhsa_next_free_sgpr 1
		.amdhsa_named_barrier_count 0
		.amdhsa_reserve_vcc 0
		.amdhsa_float_round_mode_32 0
		.amdhsa_float_round_mode_16_64 0
		.amdhsa_float_denorm_mode_32 3
		.amdhsa_float_denorm_mode_16_64 3
		.amdhsa_fp16_overflow 0
		.amdhsa_memory_ordered 1
		.amdhsa_forward_progress 1
		.amdhsa_inst_pref_size 0
		.amdhsa_round_robin_scheduling 0
		.amdhsa_exception_fp_ieee_invalid_op 0
		.amdhsa_exception_fp_denorm_src 0
		.amdhsa_exception_fp_ieee_div_zero 0
		.amdhsa_exception_fp_ieee_overflow 0
		.amdhsa_exception_fp_ieee_underflow 0
		.amdhsa_exception_fp_ieee_inexact 0
		.amdhsa_exception_int_div_zero 0
	.end_amdhsa_kernel
	.section	.text._ZN7rocprim17ROCPRIM_400000_NS6detail17trampoline_kernelINS0_14default_configENS1_27scan_by_key_config_selectorIiiEEZZNS1_16scan_by_key_implILNS1_25lookback_scan_determinismE0ELb0ES3_PKiN6hipcub16HIPCUB_304000_NS21ConstantInputIteratorIilEEPiiNSB_3SumENSB_8EqualityEiEE10hipError_tPvRmT2_T3_T4_T5_mT6_T7_P12ihipStream_tbENKUlT_T0_E_clISt17integral_constantIbLb1EESW_IbLb0EEEEDaSS_ST_EUlSS_E_NS1_11comp_targetILNS1_3genE8ELNS1_11target_archE1030ELNS1_3gpuE2ELNS1_3repE0EEENS1_30default_config_static_selectorELNS0_4arch9wavefront6targetE0EEEvT1_,"axG",@progbits,_ZN7rocprim17ROCPRIM_400000_NS6detail17trampoline_kernelINS0_14default_configENS1_27scan_by_key_config_selectorIiiEEZZNS1_16scan_by_key_implILNS1_25lookback_scan_determinismE0ELb0ES3_PKiN6hipcub16HIPCUB_304000_NS21ConstantInputIteratorIilEEPiiNSB_3SumENSB_8EqualityEiEE10hipError_tPvRmT2_T3_T4_T5_mT6_T7_P12ihipStream_tbENKUlT_T0_E_clISt17integral_constantIbLb1EESW_IbLb0EEEEDaSS_ST_EUlSS_E_NS1_11comp_targetILNS1_3genE8ELNS1_11target_archE1030ELNS1_3gpuE2ELNS1_3repE0EEENS1_30default_config_static_selectorELNS0_4arch9wavefront6targetE0EEEvT1_,comdat
.Lfunc_end40:
	.size	_ZN7rocprim17ROCPRIM_400000_NS6detail17trampoline_kernelINS0_14default_configENS1_27scan_by_key_config_selectorIiiEEZZNS1_16scan_by_key_implILNS1_25lookback_scan_determinismE0ELb0ES3_PKiN6hipcub16HIPCUB_304000_NS21ConstantInputIteratorIilEEPiiNSB_3SumENSB_8EqualityEiEE10hipError_tPvRmT2_T3_T4_T5_mT6_T7_P12ihipStream_tbENKUlT_T0_E_clISt17integral_constantIbLb1EESW_IbLb0EEEEDaSS_ST_EUlSS_E_NS1_11comp_targetILNS1_3genE8ELNS1_11target_archE1030ELNS1_3gpuE2ELNS1_3repE0EEENS1_30default_config_static_selectorELNS0_4arch9wavefront6targetE0EEEvT1_, .Lfunc_end40-_ZN7rocprim17ROCPRIM_400000_NS6detail17trampoline_kernelINS0_14default_configENS1_27scan_by_key_config_selectorIiiEEZZNS1_16scan_by_key_implILNS1_25lookback_scan_determinismE0ELb0ES3_PKiN6hipcub16HIPCUB_304000_NS21ConstantInputIteratorIilEEPiiNSB_3SumENSB_8EqualityEiEE10hipError_tPvRmT2_T3_T4_T5_mT6_T7_P12ihipStream_tbENKUlT_T0_E_clISt17integral_constantIbLb1EESW_IbLb0EEEEDaSS_ST_EUlSS_E_NS1_11comp_targetILNS1_3genE8ELNS1_11target_archE1030ELNS1_3gpuE2ELNS1_3repE0EEENS1_30default_config_static_selectorELNS0_4arch9wavefront6targetE0EEEvT1_
                                        ; -- End function
	.set _ZN7rocprim17ROCPRIM_400000_NS6detail17trampoline_kernelINS0_14default_configENS1_27scan_by_key_config_selectorIiiEEZZNS1_16scan_by_key_implILNS1_25lookback_scan_determinismE0ELb0ES3_PKiN6hipcub16HIPCUB_304000_NS21ConstantInputIteratorIilEEPiiNSB_3SumENSB_8EqualityEiEE10hipError_tPvRmT2_T3_T4_T5_mT6_T7_P12ihipStream_tbENKUlT_T0_E_clISt17integral_constantIbLb1EESW_IbLb0EEEEDaSS_ST_EUlSS_E_NS1_11comp_targetILNS1_3genE8ELNS1_11target_archE1030ELNS1_3gpuE2ELNS1_3repE0EEENS1_30default_config_static_selectorELNS0_4arch9wavefront6targetE0EEEvT1_.num_vgpr, 0
	.set _ZN7rocprim17ROCPRIM_400000_NS6detail17trampoline_kernelINS0_14default_configENS1_27scan_by_key_config_selectorIiiEEZZNS1_16scan_by_key_implILNS1_25lookback_scan_determinismE0ELb0ES3_PKiN6hipcub16HIPCUB_304000_NS21ConstantInputIteratorIilEEPiiNSB_3SumENSB_8EqualityEiEE10hipError_tPvRmT2_T3_T4_T5_mT6_T7_P12ihipStream_tbENKUlT_T0_E_clISt17integral_constantIbLb1EESW_IbLb0EEEEDaSS_ST_EUlSS_E_NS1_11comp_targetILNS1_3genE8ELNS1_11target_archE1030ELNS1_3gpuE2ELNS1_3repE0EEENS1_30default_config_static_selectorELNS0_4arch9wavefront6targetE0EEEvT1_.num_agpr, 0
	.set _ZN7rocprim17ROCPRIM_400000_NS6detail17trampoline_kernelINS0_14default_configENS1_27scan_by_key_config_selectorIiiEEZZNS1_16scan_by_key_implILNS1_25lookback_scan_determinismE0ELb0ES3_PKiN6hipcub16HIPCUB_304000_NS21ConstantInputIteratorIilEEPiiNSB_3SumENSB_8EqualityEiEE10hipError_tPvRmT2_T3_T4_T5_mT6_T7_P12ihipStream_tbENKUlT_T0_E_clISt17integral_constantIbLb1EESW_IbLb0EEEEDaSS_ST_EUlSS_E_NS1_11comp_targetILNS1_3genE8ELNS1_11target_archE1030ELNS1_3gpuE2ELNS1_3repE0EEENS1_30default_config_static_selectorELNS0_4arch9wavefront6targetE0EEEvT1_.numbered_sgpr, 0
	.set _ZN7rocprim17ROCPRIM_400000_NS6detail17trampoline_kernelINS0_14default_configENS1_27scan_by_key_config_selectorIiiEEZZNS1_16scan_by_key_implILNS1_25lookback_scan_determinismE0ELb0ES3_PKiN6hipcub16HIPCUB_304000_NS21ConstantInputIteratorIilEEPiiNSB_3SumENSB_8EqualityEiEE10hipError_tPvRmT2_T3_T4_T5_mT6_T7_P12ihipStream_tbENKUlT_T0_E_clISt17integral_constantIbLb1EESW_IbLb0EEEEDaSS_ST_EUlSS_E_NS1_11comp_targetILNS1_3genE8ELNS1_11target_archE1030ELNS1_3gpuE2ELNS1_3repE0EEENS1_30default_config_static_selectorELNS0_4arch9wavefront6targetE0EEEvT1_.num_named_barrier, 0
	.set _ZN7rocprim17ROCPRIM_400000_NS6detail17trampoline_kernelINS0_14default_configENS1_27scan_by_key_config_selectorIiiEEZZNS1_16scan_by_key_implILNS1_25lookback_scan_determinismE0ELb0ES3_PKiN6hipcub16HIPCUB_304000_NS21ConstantInputIteratorIilEEPiiNSB_3SumENSB_8EqualityEiEE10hipError_tPvRmT2_T3_T4_T5_mT6_T7_P12ihipStream_tbENKUlT_T0_E_clISt17integral_constantIbLb1EESW_IbLb0EEEEDaSS_ST_EUlSS_E_NS1_11comp_targetILNS1_3genE8ELNS1_11target_archE1030ELNS1_3gpuE2ELNS1_3repE0EEENS1_30default_config_static_selectorELNS0_4arch9wavefront6targetE0EEEvT1_.private_seg_size, 0
	.set _ZN7rocprim17ROCPRIM_400000_NS6detail17trampoline_kernelINS0_14default_configENS1_27scan_by_key_config_selectorIiiEEZZNS1_16scan_by_key_implILNS1_25lookback_scan_determinismE0ELb0ES3_PKiN6hipcub16HIPCUB_304000_NS21ConstantInputIteratorIilEEPiiNSB_3SumENSB_8EqualityEiEE10hipError_tPvRmT2_T3_T4_T5_mT6_T7_P12ihipStream_tbENKUlT_T0_E_clISt17integral_constantIbLb1EESW_IbLb0EEEEDaSS_ST_EUlSS_E_NS1_11comp_targetILNS1_3genE8ELNS1_11target_archE1030ELNS1_3gpuE2ELNS1_3repE0EEENS1_30default_config_static_selectorELNS0_4arch9wavefront6targetE0EEEvT1_.uses_vcc, 0
	.set _ZN7rocprim17ROCPRIM_400000_NS6detail17trampoline_kernelINS0_14default_configENS1_27scan_by_key_config_selectorIiiEEZZNS1_16scan_by_key_implILNS1_25lookback_scan_determinismE0ELb0ES3_PKiN6hipcub16HIPCUB_304000_NS21ConstantInputIteratorIilEEPiiNSB_3SumENSB_8EqualityEiEE10hipError_tPvRmT2_T3_T4_T5_mT6_T7_P12ihipStream_tbENKUlT_T0_E_clISt17integral_constantIbLb1EESW_IbLb0EEEEDaSS_ST_EUlSS_E_NS1_11comp_targetILNS1_3genE8ELNS1_11target_archE1030ELNS1_3gpuE2ELNS1_3repE0EEENS1_30default_config_static_selectorELNS0_4arch9wavefront6targetE0EEEvT1_.uses_flat_scratch, 0
	.set _ZN7rocprim17ROCPRIM_400000_NS6detail17trampoline_kernelINS0_14default_configENS1_27scan_by_key_config_selectorIiiEEZZNS1_16scan_by_key_implILNS1_25lookback_scan_determinismE0ELb0ES3_PKiN6hipcub16HIPCUB_304000_NS21ConstantInputIteratorIilEEPiiNSB_3SumENSB_8EqualityEiEE10hipError_tPvRmT2_T3_T4_T5_mT6_T7_P12ihipStream_tbENKUlT_T0_E_clISt17integral_constantIbLb1EESW_IbLb0EEEEDaSS_ST_EUlSS_E_NS1_11comp_targetILNS1_3genE8ELNS1_11target_archE1030ELNS1_3gpuE2ELNS1_3repE0EEENS1_30default_config_static_selectorELNS0_4arch9wavefront6targetE0EEEvT1_.has_dyn_sized_stack, 0
	.set _ZN7rocprim17ROCPRIM_400000_NS6detail17trampoline_kernelINS0_14default_configENS1_27scan_by_key_config_selectorIiiEEZZNS1_16scan_by_key_implILNS1_25lookback_scan_determinismE0ELb0ES3_PKiN6hipcub16HIPCUB_304000_NS21ConstantInputIteratorIilEEPiiNSB_3SumENSB_8EqualityEiEE10hipError_tPvRmT2_T3_T4_T5_mT6_T7_P12ihipStream_tbENKUlT_T0_E_clISt17integral_constantIbLb1EESW_IbLb0EEEEDaSS_ST_EUlSS_E_NS1_11comp_targetILNS1_3genE8ELNS1_11target_archE1030ELNS1_3gpuE2ELNS1_3repE0EEENS1_30default_config_static_selectorELNS0_4arch9wavefront6targetE0EEEvT1_.has_recursion, 0
	.set _ZN7rocprim17ROCPRIM_400000_NS6detail17trampoline_kernelINS0_14default_configENS1_27scan_by_key_config_selectorIiiEEZZNS1_16scan_by_key_implILNS1_25lookback_scan_determinismE0ELb0ES3_PKiN6hipcub16HIPCUB_304000_NS21ConstantInputIteratorIilEEPiiNSB_3SumENSB_8EqualityEiEE10hipError_tPvRmT2_T3_T4_T5_mT6_T7_P12ihipStream_tbENKUlT_T0_E_clISt17integral_constantIbLb1EESW_IbLb0EEEEDaSS_ST_EUlSS_E_NS1_11comp_targetILNS1_3genE8ELNS1_11target_archE1030ELNS1_3gpuE2ELNS1_3repE0EEENS1_30default_config_static_selectorELNS0_4arch9wavefront6targetE0EEEvT1_.has_indirect_call, 0
	.section	.AMDGPU.csdata,"",@progbits
; Kernel info:
; codeLenInByte = 0
; TotalNumSgprs: 0
; NumVgprs: 0
; ScratchSize: 0
; MemoryBound: 0
; FloatMode: 240
; IeeeMode: 1
; LDSByteSize: 0 bytes/workgroup (compile time only)
; SGPRBlocks: 0
; VGPRBlocks: 0
; NumSGPRsForWavesPerEU: 1
; NumVGPRsForWavesPerEU: 1
; NamedBarCnt: 0
; Occupancy: 16
; WaveLimiterHint : 0
; COMPUTE_PGM_RSRC2:SCRATCH_EN: 0
; COMPUTE_PGM_RSRC2:USER_SGPR: 2
; COMPUTE_PGM_RSRC2:TRAP_HANDLER: 0
; COMPUTE_PGM_RSRC2:TGID_X_EN: 1
; COMPUTE_PGM_RSRC2:TGID_Y_EN: 0
; COMPUTE_PGM_RSRC2:TGID_Z_EN: 0
; COMPUTE_PGM_RSRC2:TIDIG_COMP_CNT: 0
	.section	.text._ZN7rocprim17ROCPRIM_400000_NS6detail30init_device_scan_by_key_kernelINS1_19lookback_scan_stateINS0_5tupleIJibEEELb0ELb1EEEPKijNS1_16block_id_wrapperIjLb1EEEEEvT_jjPNSB_10value_typeET0_PNSt15iterator_traitsISE_E10value_typeEmT1_T2_,"axG",@progbits,_ZN7rocprim17ROCPRIM_400000_NS6detail30init_device_scan_by_key_kernelINS1_19lookback_scan_stateINS0_5tupleIJibEEELb0ELb1EEEPKijNS1_16block_id_wrapperIjLb1EEEEEvT_jjPNSB_10value_typeET0_PNSt15iterator_traitsISE_E10value_typeEmT1_T2_,comdat
	.protected	_ZN7rocprim17ROCPRIM_400000_NS6detail30init_device_scan_by_key_kernelINS1_19lookback_scan_stateINS0_5tupleIJibEEELb0ELb1EEEPKijNS1_16block_id_wrapperIjLb1EEEEEvT_jjPNSB_10value_typeET0_PNSt15iterator_traitsISE_E10value_typeEmT1_T2_ ; -- Begin function _ZN7rocprim17ROCPRIM_400000_NS6detail30init_device_scan_by_key_kernelINS1_19lookback_scan_stateINS0_5tupleIJibEEELb0ELb1EEEPKijNS1_16block_id_wrapperIjLb1EEEEEvT_jjPNSB_10value_typeET0_PNSt15iterator_traitsISE_E10value_typeEmT1_T2_
	.globl	_ZN7rocprim17ROCPRIM_400000_NS6detail30init_device_scan_by_key_kernelINS1_19lookback_scan_stateINS0_5tupleIJibEEELb0ELb1EEEPKijNS1_16block_id_wrapperIjLb1EEEEEvT_jjPNSB_10value_typeET0_PNSt15iterator_traitsISE_E10value_typeEmT1_T2_
	.p2align	8
	.type	_ZN7rocprim17ROCPRIM_400000_NS6detail30init_device_scan_by_key_kernelINS1_19lookback_scan_stateINS0_5tupleIJibEEELb0ELb1EEEPKijNS1_16block_id_wrapperIjLb1EEEEEvT_jjPNSB_10value_typeET0_PNSt15iterator_traitsISE_E10value_typeEmT1_T2_,@function
_ZN7rocprim17ROCPRIM_400000_NS6detail30init_device_scan_by_key_kernelINS1_19lookback_scan_stateINS0_5tupleIJibEEELb0ELb1EEEPKijNS1_16block_id_wrapperIjLb1EEEEEvT_jjPNSB_10value_typeET0_PNSt15iterator_traitsISE_E10value_typeEmT1_T2_: ; @_ZN7rocprim17ROCPRIM_400000_NS6detail30init_device_scan_by_key_kernelINS1_19lookback_scan_stateINS0_5tupleIJibEEELb0ELb1EEEPKijNS1_16block_id_wrapperIjLb1EEEEEvT_jjPNSB_10value_typeET0_PNSt15iterator_traitsISE_E10value_typeEmT1_T2_
; %bb.0:
	s_clause 0x2
	s_load_b32 s2, s[0:1], 0x4c
	s_load_b32 s14, s[0:1], 0x40
	s_load_b256 s[4:11], s[0:1], 0x0
	s_bfe_u32 s3, ttmp6, 0x4000c
	s_and_b32 s12, ttmp6, 15
	s_add_co_i32 s3, s3, 1
	s_getreg_b32 s13, hwreg(HW_REG_IB_STS2, 6, 4)
	s_mul_i32 s3, ttmp9, s3
	s_delay_alu instid0(SALU_CYCLE_1)
	s_add_co_i32 s12, s12, s3
	s_wait_kmcnt 0x0
	s_and_b32 s15, s2, 0xffff
	s_cmp_eq_u32 s13, 0
	s_cselect_b32 s2, ttmp9, s12
	s_cmp_eq_u64 s[8:9], 0
	v_mad_u32 v4, s2, s15, v0
	s_cbranch_scc1 .LBB41_8
; %bb.1:
	s_cmp_lt_u32 s7, s6
	s_mov_b32 s16, exec_lo
	s_cselect_b32 s2, s7, 0
	s_delay_alu instid0(VALU_DEP_1) | instid1(SALU_CYCLE_1)
	v_cmpx_eq_u32_e64 s2, v4
	s_cbranch_execz .LBB41_7
; %bb.2:
	s_add_co_i32 s2, s7, 32
	s_mov_b32 s3, 0
	v_mov_b32_e32 v7, 0
	s_lshl_b64 s[12:13], s[2:3], 4
	s_mov_b32 s2, exec_lo
	s_add_nc_u64 s[12:13], s[4:5], s[12:13]
	s_delay_alu instid0(SALU_CYCLE_1) | instskip(SKIP_2) | instid1(VALU_DEP_1)
	v_mov_b64_e32 v[0:1], s[12:13]
	;;#ASMSTART
	global_load_b128 v[0:3], v[0:1] off scope:SCOPE_DEV	
s_wait_loadcnt 0x0
	;;#ASMEND
	v_and_b32_e32 v6, 0xff, v2
	v_cmpx_eq_u64_e32 0, v[6:7]
	s_cbranch_execz .LBB41_6
; %bb.3:
	v_mov_b64_e32 v[8:9], s[12:13]
.LBB41_4:                               ; =>This Inner Loop Header: Depth=1
	;;#ASMSTART
	global_load_b128 v[0:3], v[8:9] off scope:SCOPE_DEV	
s_wait_loadcnt 0x0
	;;#ASMEND
	v_and_b32_e32 v6, 0xff, v2
	s_delay_alu instid0(VALU_DEP_1) | instskip(SKIP_1) | instid1(SALU_CYCLE_1)
	v_cmp_ne_u64_e32 vcc_lo, 0, v[6:7]
	s_or_b32 s3, vcc_lo, s3
	s_and_not1_b32 exec_lo, exec_lo, s3
	s_cbranch_execnz .LBB41_4
; %bb.5:
	s_or_b32 exec_lo, exec_lo, s3
.LBB41_6:
	s_delay_alu instid0(SALU_CYCLE_1)
	s_or_b32 exec_lo, exec_lo, s2
	v_mov_b32_e32 v2, 0
	s_clause 0x1
	global_store_b32 v2, v0, s[8:9]
	global_store_b8 v2, v1, s[8:9] offset:4
.LBB41_7:
	s_wait_xcnt 0x0
	s_or_b32 exec_lo, exec_lo, s16
.LBB41_8:
	s_delay_alu instid0(SALU_CYCLE_1) | instskip(NEXT) | instid1(VALU_DEP_1)
	s_mov_b32 s2, exec_lo
	v_cmpx_eq_u32_e32 0, v4
	s_cbranch_execz .LBB41_10
; %bb.9:
	s_load_b64 s[8:9], s[0:1], 0x38
	v_mov_b32_e32 v0, 0
	s_wait_kmcnt 0x0
	global_store_b32 v0, v0, s[8:9]
.LBB41_10:
	s_wait_xcnt 0x0
	s_or_b32 exec_lo, exec_lo, s2
	s_delay_alu instid0(SALU_CYCLE_1)
	s_mov_b32 s2, exec_lo
	v_cmpx_gt_u32_e64 s6, v4
	s_cbranch_execz .LBB41_12
; %bb.11:
	v_dual_mov_b32 v0, 0 :: v_dual_add_nc_u32 v5, 32, v4
	s_delay_alu instid0(VALU_DEP_1)
	v_dual_mov_b32 v1, v0 :: v_dual_mov_b32 v2, v0
	v_mov_b32_e32 v3, v0
	global_store_b128 v5, v[0:3], s[4:5] scale_offset
.LBB41_12:
	s_wait_xcnt 0x0
	s_or_b32 exec_lo, exec_lo, s2
	v_mov_b32_e32 v5, 0
	s_mov_b32 s2, exec_lo
	v_cmpx_gt_u32_e32 32, v4
	s_cbranch_execz .LBB41_14
; %bb.13:
	s_delay_alu instid0(VALU_DEP_2)
	v_lshl_add_u64 v[6:7], v[4:5], 4, s[4:5]
	v_dual_mov_b32 v2, 0xff :: v_dual_mov_b32 v1, v5
	v_dual_mov_b32 v0, v5 :: v_dual_mov_b32 v3, v5
	global_store_b128 v[6:7], v[0:3], off
.LBB41_14:
	s_wait_xcnt 0x0
	s_or_b32 exec_lo, exec_lo, s2
	s_load_b64 s[2:3], s[0:1], 0x28
	s_mov_b32 s4, exec_lo
	s_wait_kmcnt 0x0
	v_cmpx_gt_u64_e64 s[2:3], v[4:5]
	s_cbranch_execz .LBB41_17
; %bb.15:
	s_clause 0x1
	s_load_b32 s4, s[0:1], 0x30
	s_load_b64 s[6:7], s[0:1], 0x20
	s_mov_b32 s5, 0
	s_wait_xcnt 0x0
	s_mul_i32 s0, s14, s15
	s_mov_b32 s9, s5
	s_mov_b32 s1, s5
	s_wait_kmcnt 0x0
	v_mul_u64_e32 v[0:1], s[4:5], v[4:5]
	s_add_co_i32 s8, s4, -1
	v_lshl_add_u64 v[2:3], v[4:5], 2, s[6:7]
	s_lshl_b64 s[8:9], s[8:9], 2
	s_delay_alu instid0(SALU_CYCLE_1) | instskip(SKIP_1) | instid1(SALU_CYCLE_1)
	s_add_nc_u64 s[8:9], s[10:11], s[8:9]
	s_mul_u64 s[10:11], s[4:5], s[0:1]
	s_lshl_b64 s[6:7], s[10:11], 2
	s_delay_alu instid0(VALU_DEP_2)
	v_lshl_add_u64 v[0:1], v[0:1], 2, s[8:9]
	s_lshl_b64 s[8:9], s[0:1], 2
.LBB41_16:                              ; =>This Inner Loop Header: Depth=1
	global_load_b32 v6, v[0:1], off
	v_add_nc_u64_e32 v[4:5], s[0:1], v[4:5]
	s_wait_xcnt 0x0
	v_add_nc_u64_e32 v[0:1], s[6:7], v[0:1]
	s_delay_alu instid0(VALU_DEP_2)
	v_cmp_le_u64_e32 vcc_lo, s[2:3], v[4:5]
	s_or_b32 s5, vcc_lo, s5
	s_wait_loadcnt 0x0
	global_store_b32 v[2:3], v6, off
	s_wait_xcnt 0x0
	v_add_nc_u64_e32 v[2:3], s[8:9], v[2:3]
	s_and_not1_b32 exec_lo, exec_lo, s5
	s_cbranch_execnz .LBB41_16
.LBB41_17:
	s_endpgm
	.section	.rodata,"a",@progbits
	.p2align	6, 0x0
	.amdhsa_kernel _ZN7rocprim17ROCPRIM_400000_NS6detail30init_device_scan_by_key_kernelINS1_19lookback_scan_stateINS0_5tupleIJibEEELb0ELb1EEEPKijNS1_16block_id_wrapperIjLb1EEEEEvT_jjPNSB_10value_typeET0_PNSt15iterator_traitsISE_E10value_typeEmT1_T2_
		.amdhsa_group_segment_fixed_size 0
		.amdhsa_private_segment_fixed_size 0
		.amdhsa_kernarg_size 320
		.amdhsa_user_sgpr_count 2
		.amdhsa_user_sgpr_dispatch_ptr 0
		.amdhsa_user_sgpr_queue_ptr 0
		.amdhsa_user_sgpr_kernarg_segment_ptr 1
		.amdhsa_user_sgpr_dispatch_id 0
		.amdhsa_user_sgpr_kernarg_preload_length 0
		.amdhsa_user_sgpr_kernarg_preload_offset 0
		.amdhsa_user_sgpr_private_segment_size 0
		.amdhsa_wavefront_size32 1
		.amdhsa_uses_dynamic_stack 0
		.amdhsa_enable_private_segment 0
		.amdhsa_system_sgpr_workgroup_id_x 1
		.amdhsa_system_sgpr_workgroup_id_y 0
		.amdhsa_system_sgpr_workgroup_id_z 0
		.amdhsa_system_sgpr_workgroup_info 0
		.amdhsa_system_vgpr_workitem_id 0
		.amdhsa_next_free_vgpr 10
		.amdhsa_next_free_sgpr 17
		.amdhsa_named_barrier_count 0
		.amdhsa_reserve_vcc 1
		.amdhsa_float_round_mode_32 0
		.amdhsa_float_round_mode_16_64 0
		.amdhsa_float_denorm_mode_32 3
		.amdhsa_float_denorm_mode_16_64 3
		.amdhsa_fp16_overflow 0
		.amdhsa_memory_ordered 1
		.amdhsa_forward_progress 1
		.amdhsa_inst_pref_size 5
		.amdhsa_round_robin_scheduling 0
		.amdhsa_exception_fp_ieee_invalid_op 0
		.amdhsa_exception_fp_denorm_src 0
		.amdhsa_exception_fp_ieee_div_zero 0
		.amdhsa_exception_fp_ieee_overflow 0
		.amdhsa_exception_fp_ieee_underflow 0
		.amdhsa_exception_fp_ieee_inexact 0
		.amdhsa_exception_int_div_zero 0
	.end_amdhsa_kernel
	.section	.text._ZN7rocprim17ROCPRIM_400000_NS6detail30init_device_scan_by_key_kernelINS1_19lookback_scan_stateINS0_5tupleIJibEEELb0ELb1EEEPKijNS1_16block_id_wrapperIjLb1EEEEEvT_jjPNSB_10value_typeET0_PNSt15iterator_traitsISE_E10value_typeEmT1_T2_,"axG",@progbits,_ZN7rocprim17ROCPRIM_400000_NS6detail30init_device_scan_by_key_kernelINS1_19lookback_scan_stateINS0_5tupleIJibEEELb0ELb1EEEPKijNS1_16block_id_wrapperIjLb1EEEEEvT_jjPNSB_10value_typeET0_PNSt15iterator_traitsISE_E10value_typeEmT1_T2_,comdat
.Lfunc_end41:
	.size	_ZN7rocprim17ROCPRIM_400000_NS6detail30init_device_scan_by_key_kernelINS1_19lookback_scan_stateINS0_5tupleIJibEEELb0ELb1EEEPKijNS1_16block_id_wrapperIjLb1EEEEEvT_jjPNSB_10value_typeET0_PNSt15iterator_traitsISE_E10value_typeEmT1_T2_, .Lfunc_end41-_ZN7rocprim17ROCPRIM_400000_NS6detail30init_device_scan_by_key_kernelINS1_19lookback_scan_stateINS0_5tupleIJibEEELb0ELb1EEEPKijNS1_16block_id_wrapperIjLb1EEEEEvT_jjPNSB_10value_typeET0_PNSt15iterator_traitsISE_E10value_typeEmT1_T2_
                                        ; -- End function
	.set _ZN7rocprim17ROCPRIM_400000_NS6detail30init_device_scan_by_key_kernelINS1_19lookback_scan_stateINS0_5tupleIJibEEELb0ELb1EEEPKijNS1_16block_id_wrapperIjLb1EEEEEvT_jjPNSB_10value_typeET0_PNSt15iterator_traitsISE_E10value_typeEmT1_T2_.num_vgpr, 10
	.set _ZN7rocprim17ROCPRIM_400000_NS6detail30init_device_scan_by_key_kernelINS1_19lookback_scan_stateINS0_5tupleIJibEEELb0ELb1EEEPKijNS1_16block_id_wrapperIjLb1EEEEEvT_jjPNSB_10value_typeET0_PNSt15iterator_traitsISE_E10value_typeEmT1_T2_.num_agpr, 0
	.set _ZN7rocprim17ROCPRIM_400000_NS6detail30init_device_scan_by_key_kernelINS1_19lookback_scan_stateINS0_5tupleIJibEEELb0ELb1EEEPKijNS1_16block_id_wrapperIjLb1EEEEEvT_jjPNSB_10value_typeET0_PNSt15iterator_traitsISE_E10value_typeEmT1_T2_.numbered_sgpr, 17
	.set _ZN7rocprim17ROCPRIM_400000_NS6detail30init_device_scan_by_key_kernelINS1_19lookback_scan_stateINS0_5tupleIJibEEELb0ELb1EEEPKijNS1_16block_id_wrapperIjLb1EEEEEvT_jjPNSB_10value_typeET0_PNSt15iterator_traitsISE_E10value_typeEmT1_T2_.num_named_barrier, 0
	.set _ZN7rocprim17ROCPRIM_400000_NS6detail30init_device_scan_by_key_kernelINS1_19lookback_scan_stateINS0_5tupleIJibEEELb0ELb1EEEPKijNS1_16block_id_wrapperIjLb1EEEEEvT_jjPNSB_10value_typeET0_PNSt15iterator_traitsISE_E10value_typeEmT1_T2_.private_seg_size, 0
	.set _ZN7rocprim17ROCPRIM_400000_NS6detail30init_device_scan_by_key_kernelINS1_19lookback_scan_stateINS0_5tupleIJibEEELb0ELb1EEEPKijNS1_16block_id_wrapperIjLb1EEEEEvT_jjPNSB_10value_typeET0_PNSt15iterator_traitsISE_E10value_typeEmT1_T2_.uses_vcc, 1
	.set _ZN7rocprim17ROCPRIM_400000_NS6detail30init_device_scan_by_key_kernelINS1_19lookback_scan_stateINS0_5tupleIJibEEELb0ELb1EEEPKijNS1_16block_id_wrapperIjLb1EEEEEvT_jjPNSB_10value_typeET0_PNSt15iterator_traitsISE_E10value_typeEmT1_T2_.uses_flat_scratch, 0
	.set _ZN7rocprim17ROCPRIM_400000_NS6detail30init_device_scan_by_key_kernelINS1_19lookback_scan_stateINS0_5tupleIJibEEELb0ELb1EEEPKijNS1_16block_id_wrapperIjLb1EEEEEvT_jjPNSB_10value_typeET0_PNSt15iterator_traitsISE_E10value_typeEmT1_T2_.has_dyn_sized_stack, 0
	.set _ZN7rocprim17ROCPRIM_400000_NS6detail30init_device_scan_by_key_kernelINS1_19lookback_scan_stateINS0_5tupleIJibEEELb0ELb1EEEPKijNS1_16block_id_wrapperIjLb1EEEEEvT_jjPNSB_10value_typeET0_PNSt15iterator_traitsISE_E10value_typeEmT1_T2_.has_recursion, 0
	.set _ZN7rocprim17ROCPRIM_400000_NS6detail30init_device_scan_by_key_kernelINS1_19lookback_scan_stateINS0_5tupleIJibEEELb0ELb1EEEPKijNS1_16block_id_wrapperIjLb1EEEEEvT_jjPNSB_10value_typeET0_PNSt15iterator_traitsISE_E10value_typeEmT1_T2_.has_indirect_call, 0
	.section	.AMDGPU.csdata,"",@progbits
; Kernel info:
; codeLenInByte = 636
; TotalNumSgprs: 19
; NumVgprs: 10
; ScratchSize: 0
; MemoryBound: 0
; FloatMode: 240
; IeeeMode: 1
; LDSByteSize: 0 bytes/workgroup (compile time only)
; SGPRBlocks: 0
; VGPRBlocks: 0
; NumSGPRsForWavesPerEU: 19
; NumVGPRsForWavesPerEU: 10
; NamedBarCnt: 0
; Occupancy: 16
; WaveLimiterHint : 0
; COMPUTE_PGM_RSRC2:SCRATCH_EN: 0
; COMPUTE_PGM_RSRC2:USER_SGPR: 2
; COMPUTE_PGM_RSRC2:TRAP_HANDLER: 0
; COMPUTE_PGM_RSRC2:TGID_X_EN: 1
; COMPUTE_PGM_RSRC2:TGID_Y_EN: 0
; COMPUTE_PGM_RSRC2:TGID_Z_EN: 0
; COMPUTE_PGM_RSRC2:TIDIG_COMP_CNT: 0
	.section	.text._ZN7rocprim17ROCPRIM_400000_NS6detail30init_device_scan_by_key_kernelINS1_19lookback_scan_stateINS0_5tupleIJibEEELb0ELb1EEENS1_16block_id_wrapperIjLb1EEEEEvT_jjPNS9_10value_typeET0_,"axG",@progbits,_ZN7rocprim17ROCPRIM_400000_NS6detail30init_device_scan_by_key_kernelINS1_19lookback_scan_stateINS0_5tupleIJibEEELb0ELb1EEENS1_16block_id_wrapperIjLb1EEEEEvT_jjPNS9_10value_typeET0_,comdat
	.protected	_ZN7rocprim17ROCPRIM_400000_NS6detail30init_device_scan_by_key_kernelINS1_19lookback_scan_stateINS0_5tupleIJibEEELb0ELb1EEENS1_16block_id_wrapperIjLb1EEEEEvT_jjPNS9_10value_typeET0_ ; -- Begin function _ZN7rocprim17ROCPRIM_400000_NS6detail30init_device_scan_by_key_kernelINS1_19lookback_scan_stateINS0_5tupleIJibEEELb0ELb1EEENS1_16block_id_wrapperIjLb1EEEEEvT_jjPNS9_10value_typeET0_
	.globl	_ZN7rocprim17ROCPRIM_400000_NS6detail30init_device_scan_by_key_kernelINS1_19lookback_scan_stateINS0_5tupleIJibEEELb0ELb1EEENS1_16block_id_wrapperIjLb1EEEEEvT_jjPNS9_10value_typeET0_
	.p2align	8
	.type	_ZN7rocprim17ROCPRIM_400000_NS6detail30init_device_scan_by_key_kernelINS1_19lookback_scan_stateINS0_5tupleIJibEEELb0ELb1EEENS1_16block_id_wrapperIjLb1EEEEEvT_jjPNS9_10value_typeET0_,@function
_ZN7rocprim17ROCPRIM_400000_NS6detail30init_device_scan_by_key_kernelINS1_19lookback_scan_stateINS0_5tupleIJibEEELb0ELb1EEENS1_16block_id_wrapperIjLb1EEEEEvT_jjPNS9_10value_typeET0_: ; @_ZN7rocprim17ROCPRIM_400000_NS6detail30init_device_scan_by_key_kernelINS1_19lookback_scan_stateINS0_5tupleIJibEEELb0ELb1EEENS1_16block_id_wrapperIjLb1EEEEEvT_jjPNS9_10value_typeET0_
; %bb.0:
	s_clause 0x1
	s_load_b32 s2, s[0:1], 0x2c
	s_load_b256 s[4:11], s[0:1], 0x0
	s_wait_xcnt 0x0
	s_bfe_u32 s0, ttmp6, 0x4000c
	s_and_b32 s1, ttmp6, 15
	s_add_co_i32 s0, s0, 1
	s_getreg_b32 s3, hwreg(HW_REG_IB_STS2, 6, 4)
	s_mul_i32 s0, ttmp9, s0
	s_delay_alu instid0(SALU_CYCLE_1)
	s_add_co_i32 s1, s1, s0
	s_wait_kmcnt 0x0
	s_and_b32 s2, s2, 0xffff
	s_cmp_eq_u32 s3, 0
	s_cselect_b32 s0, ttmp9, s1
	s_cmp_eq_u64 s[8:9], 0
	v_mad_u32 v8, s0, s2, v0
	s_cbranch_scc1 .LBB42_8
; %bb.1:
	s_cmp_lt_u32 s7, s6
	s_mov_b32 s12, exec_lo
	s_cselect_b32 s0, s7, 0
	s_delay_alu instid0(VALU_DEP_1) | instid1(SALU_CYCLE_1)
	v_cmpx_eq_u32_e64 s0, v8
	s_cbranch_execz .LBB42_7
; %bb.2:
	s_add_co_i32 s0, s7, 32
	s_mov_b32 s1, 0
	v_mov_b32_e32 v5, 0
	s_lshl_b64 s[2:3], s[0:1], 4
	s_mov_b32 s0, exec_lo
	s_add_nc_u64 s[2:3], s[4:5], s[2:3]
	s_delay_alu instid0(SALU_CYCLE_1) | instskip(SKIP_2) | instid1(VALU_DEP_1)
	v_mov_b64_e32 v[0:1], s[2:3]
	;;#ASMSTART
	global_load_b128 v[0:3], v[0:1] off scope:SCOPE_DEV	
s_wait_loadcnt 0x0
	;;#ASMEND
	v_and_b32_e32 v4, 0xff, v2
	v_cmpx_eq_u64_e32 0, v[4:5]
	s_cbranch_execz .LBB42_6
; %bb.3:
	v_mov_b64_e32 v[6:7], s[2:3]
.LBB42_4:                               ; =>This Inner Loop Header: Depth=1
	;;#ASMSTART
	global_load_b128 v[0:3], v[6:7] off scope:SCOPE_DEV	
s_wait_loadcnt 0x0
	;;#ASMEND
	v_and_b32_e32 v4, 0xff, v2
	s_delay_alu instid0(VALU_DEP_1) | instskip(SKIP_1) | instid1(SALU_CYCLE_1)
	v_cmp_ne_u64_e32 vcc_lo, 0, v[4:5]
	s_or_b32 s1, vcc_lo, s1
	s_and_not1_b32 exec_lo, exec_lo, s1
	s_cbranch_execnz .LBB42_4
; %bb.5:
	s_or_b32 exec_lo, exec_lo, s1
.LBB42_6:
	s_delay_alu instid0(SALU_CYCLE_1)
	s_or_b32 exec_lo, exec_lo, s0
	v_mov_b32_e32 v2, 0
	s_clause 0x1
	global_store_b32 v2, v0, s[8:9]
	global_store_b8 v2, v1, s[8:9] offset:4
.LBB42_7:
	s_wait_xcnt 0x0
	s_or_b32 exec_lo, exec_lo, s12
.LBB42_8:
	s_delay_alu instid0(SALU_CYCLE_1) | instskip(NEXT) | instid1(VALU_DEP_1)
	s_mov_b32 s0, exec_lo
	v_cmpx_eq_u32_e32 0, v8
	s_cbranch_execz .LBB42_10
; %bb.9:
	v_mov_b32_e32 v0, 0
	global_store_b32 v0, v0, s[10:11]
.LBB42_10:
	s_wait_xcnt 0x0
	s_or_b32 exec_lo, exec_lo, s0
	s_delay_alu instid0(SALU_CYCLE_1)
	s_mov_b32 s0, exec_lo
	v_cmpx_gt_u32_e64 s6, v8
	s_cbranch_execz .LBB42_12
; %bb.11:
	v_dual_mov_b32 v0, 0 :: v_dual_add_nc_u32 v4, 32, v8
	s_delay_alu instid0(VALU_DEP_1)
	v_dual_mov_b32 v1, v0 :: v_dual_mov_b32 v2, v0
	v_mov_b32_e32 v3, v0
	global_store_b128 v4, v[0:3], s[4:5] scale_offset
.LBB42_12:
	s_wait_xcnt 0x0
	s_or_b32 exec_lo, exec_lo, s0
	s_delay_alu instid0(SALU_CYCLE_1)
	s_mov_b32 s0, exec_lo
	v_cmpx_gt_u32_e32 32, v8
	s_cbranch_execz .LBB42_14
; %bb.13:
	v_mov_b32_e32 v0, 0
	s_delay_alu instid0(VALU_DEP_1)
	v_dual_mov_b32 v2, 0xff :: v_dual_mov_b32 v1, v0
	v_mov_b32_e32 v3, v0
	global_store_b128 v8, v[0:3], s[4:5] scale_offset
.LBB42_14:
	s_endpgm
	.section	.rodata,"a",@progbits
	.p2align	6, 0x0
	.amdhsa_kernel _ZN7rocprim17ROCPRIM_400000_NS6detail30init_device_scan_by_key_kernelINS1_19lookback_scan_stateINS0_5tupleIJibEEELb0ELb1EEENS1_16block_id_wrapperIjLb1EEEEEvT_jjPNS9_10value_typeET0_
		.amdhsa_group_segment_fixed_size 0
		.amdhsa_private_segment_fixed_size 0
		.amdhsa_kernarg_size 288
		.amdhsa_user_sgpr_count 2
		.amdhsa_user_sgpr_dispatch_ptr 0
		.amdhsa_user_sgpr_queue_ptr 0
		.amdhsa_user_sgpr_kernarg_segment_ptr 1
		.amdhsa_user_sgpr_dispatch_id 0
		.amdhsa_user_sgpr_kernarg_preload_length 0
		.amdhsa_user_sgpr_kernarg_preload_offset 0
		.amdhsa_user_sgpr_private_segment_size 0
		.amdhsa_wavefront_size32 1
		.amdhsa_uses_dynamic_stack 0
		.amdhsa_enable_private_segment 0
		.amdhsa_system_sgpr_workgroup_id_x 1
		.amdhsa_system_sgpr_workgroup_id_y 0
		.amdhsa_system_sgpr_workgroup_id_z 0
		.amdhsa_system_sgpr_workgroup_info 0
		.amdhsa_system_vgpr_workitem_id 0
		.amdhsa_next_free_vgpr 9
		.amdhsa_next_free_sgpr 13
		.amdhsa_named_barrier_count 0
		.amdhsa_reserve_vcc 1
		.amdhsa_float_round_mode_32 0
		.amdhsa_float_round_mode_16_64 0
		.amdhsa_float_denorm_mode_32 3
		.amdhsa_float_denorm_mode_16_64 3
		.amdhsa_fp16_overflow 0
		.amdhsa_memory_ordered 1
		.amdhsa_forward_progress 1
		.amdhsa_inst_pref_size 4
		.amdhsa_round_robin_scheduling 0
		.amdhsa_exception_fp_ieee_invalid_op 0
		.amdhsa_exception_fp_denorm_src 0
		.amdhsa_exception_fp_ieee_div_zero 0
		.amdhsa_exception_fp_ieee_overflow 0
		.amdhsa_exception_fp_ieee_underflow 0
		.amdhsa_exception_fp_ieee_inexact 0
		.amdhsa_exception_int_div_zero 0
	.end_amdhsa_kernel
	.section	.text._ZN7rocprim17ROCPRIM_400000_NS6detail30init_device_scan_by_key_kernelINS1_19lookback_scan_stateINS0_5tupleIJibEEELb0ELb1EEENS1_16block_id_wrapperIjLb1EEEEEvT_jjPNS9_10value_typeET0_,"axG",@progbits,_ZN7rocprim17ROCPRIM_400000_NS6detail30init_device_scan_by_key_kernelINS1_19lookback_scan_stateINS0_5tupleIJibEEELb0ELb1EEENS1_16block_id_wrapperIjLb1EEEEEvT_jjPNS9_10value_typeET0_,comdat
.Lfunc_end42:
	.size	_ZN7rocprim17ROCPRIM_400000_NS6detail30init_device_scan_by_key_kernelINS1_19lookback_scan_stateINS0_5tupleIJibEEELb0ELb1EEENS1_16block_id_wrapperIjLb1EEEEEvT_jjPNS9_10value_typeET0_, .Lfunc_end42-_ZN7rocprim17ROCPRIM_400000_NS6detail30init_device_scan_by_key_kernelINS1_19lookback_scan_stateINS0_5tupleIJibEEELb0ELb1EEENS1_16block_id_wrapperIjLb1EEEEEvT_jjPNS9_10value_typeET0_
                                        ; -- End function
	.set _ZN7rocprim17ROCPRIM_400000_NS6detail30init_device_scan_by_key_kernelINS1_19lookback_scan_stateINS0_5tupleIJibEEELb0ELb1EEENS1_16block_id_wrapperIjLb1EEEEEvT_jjPNS9_10value_typeET0_.num_vgpr, 9
	.set _ZN7rocprim17ROCPRIM_400000_NS6detail30init_device_scan_by_key_kernelINS1_19lookback_scan_stateINS0_5tupleIJibEEELb0ELb1EEENS1_16block_id_wrapperIjLb1EEEEEvT_jjPNS9_10value_typeET0_.num_agpr, 0
	.set _ZN7rocprim17ROCPRIM_400000_NS6detail30init_device_scan_by_key_kernelINS1_19lookback_scan_stateINS0_5tupleIJibEEELb0ELb1EEENS1_16block_id_wrapperIjLb1EEEEEvT_jjPNS9_10value_typeET0_.numbered_sgpr, 13
	.set _ZN7rocprim17ROCPRIM_400000_NS6detail30init_device_scan_by_key_kernelINS1_19lookback_scan_stateINS0_5tupleIJibEEELb0ELb1EEENS1_16block_id_wrapperIjLb1EEEEEvT_jjPNS9_10value_typeET0_.num_named_barrier, 0
	.set _ZN7rocprim17ROCPRIM_400000_NS6detail30init_device_scan_by_key_kernelINS1_19lookback_scan_stateINS0_5tupleIJibEEELb0ELb1EEENS1_16block_id_wrapperIjLb1EEEEEvT_jjPNS9_10value_typeET0_.private_seg_size, 0
	.set _ZN7rocprim17ROCPRIM_400000_NS6detail30init_device_scan_by_key_kernelINS1_19lookback_scan_stateINS0_5tupleIJibEEELb0ELb1EEENS1_16block_id_wrapperIjLb1EEEEEvT_jjPNS9_10value_typeET0_.uses_vcc, 1
	.set _ZN7rocprim17ROCPRIM_400000_NS6detail30init_device_scan_by_key_kernelINS1_19lookback_scan_stateINS0_5tupleIJibEEELb0ELb1EEENS1_16block_id_wrapperIjLb1EEEEEvT_jjPNS9_10value_typeET0_.uses_flat_scratch, 0
	.set _ZN7rocprim17ROCPRIM_400000_NS6detail30init_device_scan_by_key_kernelINS1_19lookback_scan_stateINS0_5tupleIJibEEELb0ELb1EEENS1_16block_id_wrapperIjLb1EEEEEvT_jjPNS9_10value_typeET0_.has_dyn_sized_stack, 0
	.set _ZN7rocprim17ROCPRIM_400000_NS6detail30init_device_scan_by_key_kernelINS1_19lookback_scan_stateINS0_5tupleIJibEEELb0ELb1EEENS1_16block_id_wrapperIjLb1EEEEEvT_jjPNS9_10value_typeET0_.has_recursion, 0
	.set _ZN7rocprim17ROCPRIM_400000_NS6detail30init_device_scan_by_key_kernelINS1_19lookback_scan_stateINS0_5tupleIJibEEELb0ELb1EEENS1_16block_id_wrapperIjLb1EEEEEvT_jjPNS9_10value_typeET0_.has_indirect_call, 0
	.section	.AMDGPU.csdata,"",@progbits
; Kernel info:
; codeLenInByte = 416
; TotalNumSgprs: 15
; NumVgprs: 9
; ScratchSize: 0
; MemoryBound: 0
; FloatMode: 240
; IeeeMode: 1
; LDSByteSize: 0 bytes/workgroup (compile time only)
; SGPRBlocks: 0
; VGPRBlocks: 0
; NumSGPRsForWavesPerEU: 15
; NumVGPRsForWavesPerEU: 9
; NamedBarCnt: 0
; Occupancy: 16
; WaveLimiterHint : 0
; COMPUTE_PGM_RSRC2:SCRATCH_EN: 0
; COMPUTE_PGM_RSRC2:USER_SGPR: 2
; COMPUTE_PGM_RSRC2:TRAP_HANDLER: 0
; COMPUTE_PGM_RSRC2:TGID_X_EN: 1
; COMPUTE_PGM_RSRC2:TGID_Y_EN: 0
; COMPUTE_PGM_RSRC2:TGID_Z_EN: 0
; COMPUTE_PGM_RSRC2:TIDIG_COMP_CNT: 0
	.section	.text._ZN7rocprim17ROCPRIM_400000_NS6detail17trampoline_kernelINS0_14default_configENS1_27scan_by_key_config_selectorIiiEEZZNS1_16scan_by_key_implILNS1_25lookback_scan_determinismE0ELb0ES3_PKiN6hipcub16HIPCUB_304000_NS21ConstantInputIteratorIilEEPiiNSB_3SumENSB_8EqualityEiEE10hipError_tPvRmT2_T3_T4_T5_mT6_T7_P12ihipStream_tbENKUlT_T0_E_clISt17integral_constantIbLb0EESW_IbLb1EEEEDaSS_ST_EUlSS_E_NS1_11comp_targetILNS1_3genE0ELNS1_11target_archE4294967295ELNS1_3gpuE0ELNS1_3repE0EEENS1_30default_config_static_selectorELNS0_4arch9wavefront6targetE0EEEvT1_,"axG",@progbits,_ZN7rocprim17ROCPRIM_400000_NS6detail17trampoline_kernelINS0_14default_configENS1_27scan_by_key_config_selectorIiiEEZZNS1_16scan_by_key_implILNS1_25lookback_scan_determinismE0ELb0ES3_PKiN6hipcub16HIPCUB_304000_NS21ConstantInputIteratorIilEEPiiNSB_3SumENSB_8EqualityEiEE10hipError_tPvRmT2_T3_T4_T5_mT6_T7_P12ihipStream_tbENKUlT_T0_E_clISt17integral_constantIbLb0EESW_IbLb1EEEEDaSS_ST_EUlSS_E_NS1_11comp_targetILNS1_3genE0ELNS1_11target_archE4294967295ELNS1_3gpuE0ELNS1_3repE0EEENS1_30default_config_static_selectorELNS0_4arch9wavefront6targetE0EEEvT1_,comdat
	.protected	_ZN7rocprim17ROCPRIM_400000_NS6detail17trampoline_kernelINS0_14default_configENS1_27scan_by_key_config_selectorIiiEEZZNS1_16scan_by_key_implILNS1_25lookback_scan_determinismE0ELb0ES3_PKiN6hipcub16HIPCUB_304000_NS21ConstantInputIteratorIilEEPiiNSB_3SumENSB_8EqualityEiEE10hipError_tPvRmT2_T3_T4_T5_mT6_T7_P12ihipStream_tbENKUlT_T0_E_clISt17integral_constantIbLb0EESW_IbLb1EEEEDaSS_ST_EUlSS_E_NS1_11comp_targetILNS1_3genE0ELNS1_11target_archE4294967295ELNS1_3gpuE0ELNS1_3repE0EEENS1_30default_config_static_selectorELNS0_4arch9wavefront6targetE0EEEvT1_ ; -- Begin function _ZN7rocprim17ROCPRIM_400000_NS6detail17trampoline_kernelINS0_14default_configENS1_27scan_by_key_config_selectorIiiEEZZNS1_16scan_by_key_implILNS1_25lookback_scan_determinismE0ELb0ES3_PKiN6hipcub16HIPCUB_304000_NS21ConstantInputIteratorIilEEPiiNSB_3SumENSB_8EqualityEiEE10hipError_tPvRmT2_T3_T4_T5_mT6_T7_P12ihipStream_tbENKUlT_T0_E_clISt17integral_constantIbLb0EESW_IbLb1EEEEDaSS_ST_EUlSS_E_NS1_11comp_targetILNS1_3genE0ELNS1_11target_archE4294967295ELNS1_3gpuE0ELNS1_3repE0EEENS1_30default_config_static_selectorELNS0_4arch9wavefront6targetE0EEEvT1_
	.globl	_ZN7rocprim17ROCPRIM_400000_NS6detail17trampoline_kernelINS0_14default_configENS1_27scan_by_key_config_selectorIiiEEZZNS1_16scan_by_key_implILNS1_25lookback_scan_determinismE0ELb0ES3_PKiN6hipcub16HIPCUB_304000_NS21ConstantInputIteratorIilEEPiiNSB_3SumENSB_8EqualityEiEE10hipError_tPvRmT2_T3_T4_T5_mT6_T7_P12ihipStream_tbENKUlT_T0_E_clISt17integral_constantIbLb0EESW_IbLb1EEEEDaSS_ST_EUlSS_E_NS1_11comp_targetILNS1_3genE0ELNS1_11target_archE4294967295ELNS1_3gpuE0ELNS1_3repE0EEENS1_30default_config_static_selectorELNS0_4arch9wavefront6targetE0EEEvT1_
	.p2align	8
	.type	_ZN7rocprim17ROCPRIM_400000_NS6detail17trampoline_kernelINS0_14default_configENS1_27scan_by_key_config_selectorIiiEEZZNS1_16scan_by_key_implILNS1_25lookback_scan_determinismE0ELb0ES3_PKiN6hipcub16HIPCUB_304000_NS21ConstantInputIteratorIilEEPiiNSB_3SumENSB_8EqualityEiEE10hipError_tPvRmT2_T3_T4_T5_mT6_T7_P12ihipStream_tbENKUlT_T0_E_clISt17integral_constantIbLb0EESW_IbLb1EEEEDaSS_ST_EUlSS_E_NS1_11comp_targetILNS1_3genE0ELNS1_11target_archE4294967295ELNS1_3gpuE0ELNS1_3repE0EEENS1_30default_config_static_selectorELNS0_4arch9wavefront6targetE0EEEvT1_,@function
_ZN7rocprim17ROCPRIM_400000_NS6detail17trampoline_kernelINS0_14default_configENS1_27scan_by_key_config_selectorIiiEEZZNS1_16scan_by_key_implILNS1_25lookback_scan_determinismE0ELb0ES3_PKiN6hipcub16HIPCUB_304000_NS21ConstantInputIteratorIilEEPiiNSB_3SumENSB_8EqualityEiEE10hipError_tPvRmT2_T3_T4_T5_mT6_T7_P12ihipStream_tbENKUlT_T0_E_clISt17integral_constantIbLb0EESW_IbLb1EEEEDaSS_ST_EUlSS_E_NS1_11comp_targetILNS1_3genE0ELNS1_11target_archE4294967295ELNS1_3gpuE0ELNS1_3repE0EEENS1_30default_config_static_selectorELNS0_4arch9wavefront6targetE0EEEvT1_: ; @_ZN7rocprim17ROCPRIM_400000_NS6detail17trampoline_kernelINS0_14default_configENS1_27scan_by_key_config_selectorIiiEEZZNS1_16scan_by_key_implILNS1_25lookback_scan_determinismE0ELb0ES3_PKiN6hipcub16HIPCUB_304000_NS21ConstantInputIteratorIilEEPiiNSB_3SumENSB_8EqualityEiEE10hipError_tPvRmT2_T3_T4_T5_mT6_T7_P12ihipStream_tbENKUlT_T0_E_clISt17integral_constantIbLb0EESW_IbLb1EEEEDaSS_ST_EUlSS_E_NS1_11comp_targetILNS1_3genE0ELNS1_11target_archE4294967295ELNS1_3gpuE0ELNS1_3repE0EEENS1_30default_config_static_selectorELNS0_4arch9wavefront6targetE0EEEvT1_
; %bb.0:
	s_clause 0x2
	s_load_b32 s8, s[0:1], 0x10
	s_load_b128 s[24:27], s[0:1], 0x30
	s_load_b64 s[34:35], s[0:1], 0x40
	v_cmp_ne_u32_e64 s3, 0, v0
	v_cmp_eq_u32_e64 s2, 0, v0
	s_and_saveexec_b32 s4, s2
	s_cbranch_execz .LBB43_4
; %bb.1:
	s_mov_b32 s6, exec_lo
	s_mov_b32 s5, exec_lo
	v_mbcnt_lo_u32_b32 v1, s6, 0
                                        ; implicit-def: $vgpr2
	s_delay_alu instid0(VALU_DEP_1)
	v_cmpx_eq_u32_e32 0, v1
	s_cbranch_execz .LBB43_3
; %bb.2:
	s_load_b64 s[10:11], s[0:1], 0x70
	s_bcnt1_i32_b32 s6, s6
	s_delay_alu instid0(SALU_CYCLE_1)
	v_dual_mov_b32 v2, 0 :: v_dual_mov_b32 v3, s6
	s_wait_xcnt 0x0
	s_wait_kmcnt 0x0
	global_atomic_add_u32 v2, v2, v3, s[10:11] th:TH_ATOMIC_RETURN scope:SCOPE_DEV
.LBB43_3:
	s_wait_xcnt 0x0
	s_or_b32 exec_lo, exec_lo, s5
	s_wait_loadcnt 0x0
	v_readfirstlane_b32 s5, v2
	s_delay_alu instid0(VALU_DEP_1)
	v_dual_mov_b32 v2, 0 :: v_dual_add_nc_u32 v1, s5, v1
	ds_store_b32 v2, v1
.LBB43_4:
	s_or_b32 exec_lo, exec_lo, s4
	v_mov_b32_e32 v1, 0
	s_clause 0x3
	s_load_b128 s[4:7], s[0:1], 0x0
	s_load_b64 s[28:29], s[0:1], 0x20
	s_load_b32 s36, s[0:1], 0x48
	s_load_b256 s[16:23], s[0:1], 0x50
	s_wait_dscnt 0x0
	s_barrier_signal -1
	s_barrier_wait -1
	ds_load_b32 v2, v1
	s_mov_b32 s37, 0
	s_wait_dscnt 0x0
	s_mov_b32 s11, s37
	s_barrier_signal -1
	s_barrier_wait -1
	s_barrier_signal -1
	s_barrier_wait -1
	s_wait_kmcnt 0x0
	s_lshl_b64 s[30:31], s[6:7], 2
	s_mul_u64 s[0:1], s[34:35], s[36:37]
	s_cmp_lg_u64 s[20:21], 0
	s_add_nc_u64 s[4:5], s[4:5], s[30:31]
	s_cselect_b32 s9, -1, 0
	v_readfirstlane_b32 s36, v2
	s_add_nc_u64 s[6:7], s[0:1], s[36:37]
	s_add_nc_u64 s[0:1], s[16:17], -1
	s_mul_i32 s10, s36, 0xc00
	v_cmp_ge_u64_e64 s27, s[6:7], s[0:1]
	s_lshl_b64 s[16:17], s[10:11], 2
	s_mul_i32 s33, s0, 0xfffff400
	s_add_nc_u64 s[4:5], s[4:5], s[16:17]
	s_and_b32 vcc_lo, exec_lo, s27
	s_cbranch_vccz .LBB43_32
; %bb.5:
	global_load_b32 v1, v1, s[4:5]
	s_add_co_i32 s12, s33, s26
	s_mov_b32 s0, exec_lo
	s_wait_loadcnt 0x0
	v_mov_b32_e32 v2, v1
	v_cmpx_gt_u32_e64 s12, v0
	s_cbranch_execz .LBB43_7
; %bb.6:
	global_load_b32 v2, v0, s[4:5] scale_offset
.LBB43_7:
	s_wait_xcnt 0x0
	s_or_b32 exec_lo, exec_lo, s0
	v_or_b32_e32 v3, 0x100, v0
	s_delay_alu instid0(VALU_DEP_1)
	v_cmp_gt_u32_e32 vcc_lo, s12, v3
	v_mov_b32_e32 v3, v1
	s_and_saveexec_b32 s0, vcc_lo
	s_cbranch_execz .LBB43_9
; %bb.8:
	global_load_b32 v3, v0, s[4:5] offset:1024 scale_offset
.LBB43_9:
	s_wait_xcnt 0x0
	s_or_b32 exec_lo, exec_lo, s0
	v_or_b32_e32 v4, 0x200, v0
	s_delay_alu instid0(VALU_DEP_1)
	v_cmp_gt_u32_e32 vcc_lo, s12, v4
	v_mov_b32_e32 v4, v1
	s_and_saveexec_b32 s0, vcc_lo
	s_cbranch_execz .LBB43_11
; %bb.10:
	global_load_b32 v4, v0, s[4:5] offset:2048 scale_offset
.LBB43_11:
	;; [unrolled: 11-line block ×10, first 2 shown]
	s_wait_xcnt 0x0
	s_or_b32 exec_lo, exec_lo, s0
	v_or_b32_e32 v13, 0xb00, v0
	s_mov_b32 s0, exec_lo
	s_delay_alu instid0(VALU_DEP_1)
	v_cmpx_gt_u32_e64 s12, v13
	s_cbranch_execz .LBB43_29
; %bb.28:
	global_load_b32 v1, v0, s[4:5] offset:11264 scale_offset
.LBB43_29:
	s_wait_xcnt 0x0
	s_or_b32 exec_lo, exec_lo, s0
	v_lshlrev_b32_e32 v18, 2, v0
	s_cmp_eq_u64 s[6:7], 0
	s_mov_b64 s[0:1], s[4:5]
	s_wait_loadcnt 0x0
	ds_store_2addr_stride64_b32 v18, v2, v3 offset1:4
	ds_store_2addr_stride64_b32 v18, v4, v5 offset0:8 offset1:12
	ds_store_2addr_stride64_b32 v18, v6, v7 offset0:16 offset1:20
	;; [unrolled: 1-line block ×5, first 2 shown]
	v_mad_u32_u24 v2, v0, 44, v18
	s_wait_dscnt 0x0
	s_barrier_signal -1
	s_barrier_wait -1
	ds_load_b128 v[14:17], v2
	ds_load_b128 v[10:13], v2 offset:16
	ds_load_b128 v[6:9], v2 offset:32
	s_cbranch_scc1 .LBB43_35
; %bb.30:
	s_and_not1_b32 vcc_lo, exec_lo, s9
	s_cbranch_vccnz .LBB43_33
; %bb.31:
	s_lshl_b64 s[0:1], s[6:7], 2
	s_mov_b32 s10, 0
	s_add_nc_u64 s[0:1], s[22:23], s[0:1]
	s_delay_alu instid0(SALU_CYCLE_1)
	s_add_nc_u64 s[0:1], s[0:1], -4
	s_branch .LBB43_34
.LBB43_32:
                                        ; implicit-def: $sgpr10
                                        ; implicit-def: $vgpr5
                                        ; implicit-def: $vgpr18_vgpr19
                                        ; implicit-def: $vgpr42_vgpr43
                                        ; implicit-def: $vgpr46_vgpr47
                                        ; implicit-def: $vgpr44_vgpr45
                                        ; implicit-def: $vgpr48_vgpr49
                                        ; implicit-def: $vgpr50_vgpr51
                                        ; implicit-def: $vgpr52_vgpr53
                                        ; implicit-def: $vgpr54_vgpr55
                                        ; implicit-def: $vgpr56_vgpr57
                                        ; implicit-def: $vgpr58_vgpr59
                                        ; implicit-def: $vgpr40_vgpr41
                                        ; implicit-def: $vgpr38_vgpr39
                                        ; implicit-def: $vgpr36_vgpr37
                                        ; implicit-def: $vgpr34_vgpr35
                                        ; implicit-def: $vgpr32_vgpr33
                                        ; implicit-def: $vgpr30_vgpr31
                                        ; implicit-def: $vgpr28_vgpr29
                                        ; implicit-def: $vgpr26_vgpr27
                                        ; implicit-def: $vgpr24_vgpr25
                                        ; implicit-def: $vgpr22_vgpr23
	v_lshlrev_b32_e32 v20, 2, v0
	s_cbranch_execnz .LBB43_60
	s_branch .LBB43_68
.LBB43_33:
	s_add_nc_u64 s[0:1], s[4:5], -4
	s_mov_b32 s10, -1
.LBB43_34:
	s_delay_alu instid0(SALU_CYCLE_1)
	s_and_not1_b32 vcc_lo, exec_lo, s10
.LBB43_35:
	v_mov_b32_e32 v1, 0
	v_mad_i32_i24 v3, 0xffffffd4, v0, v2
	global_load_b32 v1, v1, s[0:1]
	s_wait_dscnt 0x0
	ds_store_b32 v3, v9 offset:12288
	s_wait_loadcnt_dscnt 0x0
	s_barrier_signal -1
	s_barrier_wait -1
	s_and_saveexec_b32 s0, s3
; %bb.36:
	v_mul_i32_i24_e32 v1, 0xffffffd4, v0
	s_delay_alu instid0(VALU_DEP_1)
	v_add_nc_u32_e32 v1, v2, v1
	ds_load_b32 v1, v1 offset:12284
; %bb.37:
	s_or_b32 exec_lo, exec_lo, s0
	v_mov_b32_e32 v4, s8
	s_wait_dscnt 0x0
	s_barrier_signal -1
	s_barrier_wait -1
	ds_store_2addr_stride64_b32 v18, v4, v4 offset1:4
	ds_store_2addr_stride64_b32 v18, v4, v4 offset0:8 offset1:12
	ds_store_2addr_stride64_b32 v18, v4, v4 offset0:16 offset1:20
	;; [unrolled: 1-line block ×5, first 2 shown]
	v_mov_b64_e32 v[18:19], 0
	v_mov_b64_e32 v[42:43], 0
	;; [unrolled: 1-line block ×20, first 2 shown]
	v_mul_u32_u24_e32 v3, 12, v0
	s_mov_b32 s1, 0
	s_mov_b32 s11, exec_lo
	s_wait_dscnt 0x0
	s_barrier_signal -1
	s_barrier_wait -1
                                        ; implicit-def: $sgpr10
                                        ; implicit-def: $vgpr5
	v_cmpx_gt_u32_e64 s12, v3
	s_cbranch_execz .LBB43_59
; %bb.38:
	ds_load_b32 v18, v2
	v_cmp_ne_u32_e32 vcc_lo, v1, v14
	v_mov_b64_e32 v[42:43], 0
	v_mov_b64_e32 v[46:47], 0
	v_mov_b64_e32 v[44:45], 0
	v_mov_b64_e32 v[48:49], 0
	v_mov_b64_e32 v[50:51], 0
	v_mov_b64_e32 v[52:53], 0
	v_mov_b64_e32 v[54:55], 0
	v_mov_b64_e32 v[56:57], 0
	v_mov_b64_e32 v[58:59], 0
	v_mov_b64_e32 v[38:39], 0
	v_mov_b64_e32 v[36:37], 0
	v_mov_b64_e32 v[34:35], 0
	v_mov_b64_e32 v[32:33], 0
	v_mov_b64_e32 v[30:31], 0
	v_mov_b64_e32 v[28:29], 0
	v_mov_b64_e32 v[26:27], 0
	v_mov_b64_e32 v[24:25], 0
	v_mov_b64_e32 v[22:23], 0
	v_or_b32_e32 v4, 1, v3
	v_cndmask_b32_e64 v19, 0, 1, vcc_lo
	s_mov_b32 s0, 0
	s_mov_b32 s13, exec_lo
                                        ; implicit-def: $sgpr10
                                        ; implicit-def: $vgpr5
	s_delay_alu instid0(VALU_DEP_2)
	v_cmpx_gt_u32_e64 s12, v4
	s_cbranch_execz .LBB43_58
; %bb.39:
	ds_load_2addr_b32 v[42:43], v2 offset0:1 offset1:2
	v_cmp_ne_u32_e32 vcc_lo, v14, v15
	v_mov_b64_e32 v[46:47], 0
	v_mov_b64_e32 v[44:45], 0
	;; [unrolled: 1-line block ×16, first 2 shown]
	v_or_b32_e32 v4, 2, v3
	v_cndmask_b32_e64 v1, 0, 1, vcc_lo
	s_mov_b32 s14, exec_lo
                                        ; implicit-def: $sgpr10
                                        ; implicit-def: $vgpr5
	s_delay_alu instid0(VALU_DEP_2)
	v_cmpx_gt_u32_e64 s12, v4
	s_cbranch_execz .LBB43_57
; %bb.40:
	v_cmp_ne_u32_e32 vcc_lo, v15, v16
	v_mov_b64_e32 v[44:45], 0
	v_mov_b64_e32 v[48:49], 0
	;; [unrolled: 1-line block ×14, first 2 shown]
	v_or_b32_e32 v4, 3, v3
	v_cndmask_b32_e64 v47, 0, 1, vcc_lo
	s_mov_b32 s15, exec_lo
                                        ; implicit-def: $sgpr10
                                        ; implicit-def: $vgpr5
	s_delay_alu instid0(VALU_DEP_2)
	v_cmpx_gt_u32_e64 s12, v4
	s_cbranch_execz .LBB43_56
; %bb.41:
	ds_load_2addr_b32 v[44:45], v2 offset0:3 offset1:4
	v_add_nc_u32_e32 v5, 4, v3
	v_cmp_ne_u32_e32 vcc_lo, v16, v17
	v_mov_b64_e32 v[48:49], 0
	v_mov_b64_e32 v[50:51], 0
	v_mov_b64_e32 v[52:53], 0
	v_mov_b64_e32 v[54:55], 0
	v_mov_b64_e32 v[56:57], 0
	v_mov_b64_e32 v[58:59], 0
	v_mov_b64_e32 v[32:33], 0
	v_mov_b64_e32 v[30:31], 0
	v_mov_b64_e32 v[28:29], 0
	v_mov_b64_e32 v[26:27], 0
	v_mov_b64_e32 v[24:25], 0
	v_mov_b64_e32 v[22:23], 0
	v_cndmask_b32_e64 v4, 0, 1, vcc_lo
	v_cmp_gt_u32_e32 vcc_lo, s12, v5
                                        ; implicit-def: $sgpr10
                                        ; implicit-def: $vgpr5
	s_and_saveexec_b32 s20, vcc_lo
	s_cbranch_execz .LBB43_55
; %bb.42:
	v_add_nc_u32_e32 v5, 5, v3
	v_cmp_ne_u32_e32 vcc_lo, v17, v10
	v_mov_b64_e32 v[50:51], 0
	v_mov_b64_e32 v[52:53], 0
	v_mov_b64_e32 v[54:55], 0
	v_mov_b64_e32 v[56:57], 0
	v_mov_b64_e32 v[58:59], 0
	v_mov_b64_e32 v[30:31], 0
	v_mov_b64_e32 v[28:29], 0
	v_mov_b64_e32 v[26:27], 0
	v_mov_b64_e32 v[24:25], 0
	v_mov_b64_e32 v[22:23], 0
	v_cndmask_b32_e64 v49, 0, 1, vcc_lo
	v_cmp_gt_u32_e32 vcc_lo, s12, v5
                                        ; implicit-def: $sgpr10
                                        ; implicit-def: $vgpr5
	s_and_saveexec_b32 s21, vcc_lo
	s_cbranch_execz .LBB43_54
; %bb.43:
	ds_load_2addr_b32 v[50:51], v2 offset0:5 offset1:6
	v_add_nc_u32_e32 v5, 6, v3
	v_cmp_ne_u32_e32 vcc_lo, v10, v11
	v_mov_b64_e32 v[52:53], 0
	v_mov_b64_e32 v[54:55], 0
	;; [unrolled: 1-line block ×8, first 2 shown]
	v_cndmask_b32_e64 v10, 0, 1, vcc_lo
	v_cmp_gt_u32_e32 vcc_lo, s12, v5
                                        ; implicit-def: $sgpr10
                                        ; implicit-def: $vgpr5
	s_and_saveexec_b32 s37, vcc_lo
	s_cbranch_execz .LBB43_53
; %bb.44:
	v_add_nc_u32_e32 v5, 7, v3
	v_cmp_ne_u32_e32 vcc_lo, v11, v12
	v_mov_b64_e32 v[54:55], 0
	v_mov_b64_e32 v[56:57], 0
	;; [unrolled: 1-line block ×6, first 2 shown]
	v_cndmask_b32_e64 v53, 0, 1, vcc_lo
	v_cmp_gt_u32_e32 vcc_lo, s12, v5
                                        ; implicit-def: $sgpr10
                                        ; implicit-def: $vgpr5
	s_and_saveexec_b32 s38, vcc_lo
	s_cbranch_execz .LBB43_52
; %bb.45:
	ds_load_2addr_b32 v[54:55], v2 offset0:7 offset1:8
	v_add_nc_u32_e32 v5, 8, v3
	v_cmp_ne_u32_e32 vcc_lo, v12, v13
	v_mov_b64_e32 v[56:57], 0
	v_mov_b64_e32 v[58:59], 0
	;; [unrolled: 1-line block ×4, first 2 shown]
	v_cndmask_b32_e64 v11, 0, 1, vcc_lo
	v_cmp_gt_u32_e32 vcc_lo, s12, v5
                                        ; implicit-def: $sgpr10
                                        ; implicit-def: $vgpr5
	s_and_saveexec_b32 s39, vcc_lo
	s_cbranch_execz .LBB43_51
; %bb.46:
	v_add_nc_u32_e32 v5, 9, v3
	v_cmp_ne_u32_e32 vcc_lo, v13, v6
	v_mov_b64_e32 v[58:59], 0
	v_mov_b64_e32 v[22:23], 0
                                        ; implicit-def: $sgpr10
	v_cndmask_b32_e64 v57, 0, 1, vcc_lo
	v_cmp_gt_u32_e32 vcc_lo, s12, v5
                                        ; implicit-def: $vgpr5
	s_and_saveexec_b32 s40, vcc_lo
	s_cbranch_execz .LBB43_50
; %bb.47:
	ds_load_2addr_b32 v[58:59], v2 offset0:9 offset1:10
	v_add_nc_u32_e32 v5, 10, v3
	v_cmp_ne_u32_e32 vcc_lo, v6, v7
	v_mov_b64_e32 v[22:23], 0
                                        ; implicit-def: $sgpr10
	v_cndmask_b32_e64 v6, 0, 1, vcc_lo
	s_delay_alu instid0(VALU_DEP_4) | instskip(SKIP_1) | instid1(SALU_CYCLE_1)
	v_cmp_gt_u32_e32 vcc_lo, s12, v5
                                        ; implicit-def: $vgpr5
	s_and_saveexec_b32 s41, vcc_lo
	s_xor_b32 s41, exec_lo, s41
	s_cbranch_execz .LBB43_49
; %bb.48:
	ds_load_b32 v5, v2 offset:44
	s_wait_dscnt 0x1
	v_dual_add_nc_u32 v2, 11, v3 :: v_dual_mov_b32 v22, v59
	v_cmp_ne_u32_e64 s0, v7, v8
	v_cmp_ne_u32_e64 s10, v8, v9
	s_delay_alu instid0(VALU_DEP_3) | instskip(NEXT) | instid1(VALU_DEP_3)
	v_cmp_gt_u32_e32 vcc_lo, s12, v2
	v_cndmask_b32_e64 v23, 0, 1, s0
	s_and_b32 s0, vcc_lo, exec_lo
.LBB43_49:
	s_or_b32 exec_lo, exec_lo, s41
	s_wait_dscnt 0x0
	v_mov_b32_e32 v59, v6
	s_and_b32 s0, s0, exec_lo
.LBB43_50:
	s_or_b32 exec_lo, exec_lo, s40
	s_delay_alu instid0(VALU_DEP_1)
	v_mov_b64_e32 v[24:25], v[58:59]
	s_wait_dscnt 0x0
	v_mov_b32_e32 v56, v55
	s_and_b32 s0, s0, exec_lo
.LBB43_51:
	s_or_b32 exec_lo, exec_lo, s39
	s_delay_alu instid0(VALU_DEP_1)
	v_mov_b64_e32 v[26:27], v[56:57]
	s_wait_dscnt 0x0
	v_mov_b32_e32 v55, v11
	s_and_b32 s0, s0, exec_lo
.LBB43_52:
	s_or_b32 exec_lo, exec_lo, s38
	s_delay_alu instid0(VALU_DEP_1)
	v_mov_b64_e32 v[28:29], v[54:55]
	s_wait_dscnt 0x0
	v_mov_b32_e32 v52, v51
	s_and_b32 s0, s0, exec_lo
.LBB43_53:
	s_or_b32 exec_lo, exec_lo, s37
	s_delay_alu instid0(VALU_DEP_1)
	v_mov_b64_e32 v[30:31], v[52:53]
	s_wait_dscnt 0x0
	v_mov_b32_e32 v51, v10
	s_and_b32 s0, s0, exec_lo
.LBB43_54:
	s_or_b32 exec_lo, exec_lo, s21
	s_delay_alu instid0(VALU_DEP_1)
	v_mov_b64_e32 v[32:33], v[50:51]
	s_wait_dscnt 0x0
	v_mov_b32_e32 v48, v45
	s_and_b32 s0, s0, exec_lo
.LBB43_55:
	s_or_b32 exec_lo, exec_lo, s20
	s_delay_alu instid0(VALU_DEP_1)
	v_mov_b64_e32 v[34:35], v[48:49]
	s_wait_dscnt 0x0
	v_mov_b32_e32 v45, v4
	s_and_b32 s0, s0, exec_lo
.LBB43_56:
	s_or_b32 exec_lo, exec_lo, s15
	s_delay_alu instid0(VALU_DEP_1)
	v_mov_b64_e32 v[36:37], v[44:45]
	s_wait_dscnt 0x0
	v_mov_b32_e32 v46, v43
	s_and_b32 s0, s0, exec_lo
.LBB43_57:
	s_or_b32 exec_lo, exec_lo, s14
	s_delay_alu instid0(VALU_DEP_1)
	v_mov_b64_e32 v[38:39], v[46:47]
	s_wait_dscnt 0x0
	v_mov_b32_e32 v43, v1
	s_and_b32 s0, s0, exec_lo
.LBB43_58:
	s_or_b32 exec_lo, exec_lo, s13
	s_delay_alu instid0(VALU_DEP_1)
	v_mov_b64_e32 v[40:41], v[42:43]
	s_and_b32 s37, s0, exec_lo
.LBB43_59:
	s_or_b32 exec_lo, exec_lo, s11
	v_lshlrev_b32_e32 v20, 2, v0
	s_and_b32 vcc_lo, exec_lo, s1
	s_cbranch_vccz .LBB43_68
.LBB43_60:
	s_clause 0xb
	global_load_b32 v2, v0, s[4:5] scale_offset
	global_load_b32 v3, v0, s[4:5] offset:1024 scale_offset
	global_load_b32 v4, v0, s[4:5] offset:2048 scale_offset
	;; [unrolled: 1-line block ×11, first 2 shown]
	v_mad_u32_u24 v1, v0, 44, v20
	s_cmp_eq_u64 s[6:7], 0
	s_wait_loadcnt 0xa
	ds_store_2addr_stride64_b32 v20, v2, v3 offset1:4
	s_wait_loadcnt 0x8
	ds_store_2addr_stride64_b32 v20, v4, v5 offset0:8 offset1:12
	s_wait_loadcnt 0x6
	ds_store_2addr_stride64_b32 v20, v6, v7 offset0:16 offset1:20
	;; [unrolled: 2-line block ×5, first 2 shown]
	s_wait_dscnt 0x0
	s_barrier_signal -1
	s_barrier_wait -1
	ds_load_b128 v[14:17], v1
	ds_load_b128 v[10:13], v1 offset:16
	ds_load_b128 v[6:9], v1 offset:32
	s_cbranch_scc1 .LBB43_65
; %bb.61:
	s_and_not1_b32 vcc_lo, exec_lo, s9
	s_cbranch_vccnz .LBB43_63
; %bb.62:
	s_lshl_b64 s[0:1], s[6:7], 2
	s_delay_alu instid0(SALU_CYCLE_1) | instskip(NEXT) | instid1(SALU_CYCLE_1)
	s_add_nc_u64 s[0:1], s[22:23], s[0:1]
	s_add_nc_u64 s[4:5], s[0:1], -4
	s_mov_b32 s0, 0
	s_branch .LBB43_64
.LBB43_63:
	s_add_nc_u64 s[4:5], s[4:5], -4
	s_mov_b32 s0, -1
.LBB43_64:
	s_delay_alu instid0(SALU_CYCLE_1)
	s_and_not1_b32 vcc_lo, exec_lo, s0
.LBB43_65:
	v_mov_b32_e32 v2, 0
	v_mad_i32_i24 v3, 0xffffffd4, v0, v1
	global_load_b32 v2, v2, s[4:5]
	s_wait_dscnt 0x0
	ds_store_b32 v3, v9 offset:12288
	s_wait_loadcnt_dscnt 0x0
	s_barrier_signal -1
	s_barrier_wait -1
	s_and_saveexec_b32 s0, s3
; %bb.66:
	v_mul_i32_i24_e32 v2, 0xffffffd4, v0
	s_delay_alu instid0(VALU_DEP_1)
	v_add_nc_u32_e32 v2, v1, v2
	ds_load_b32 v2, v2 offset:12284
; %bb.67:
	s_or_b32 exec_lo, exec_lo, s0
	s_wait_dscnt 0x0
	v_cmp_ne_u32_e32 vcc_lo, v2, v14
	v_mov_b32_e32 v3, s8
	s_barrier_signal -1
	s_barrier_wait -1
	v_cndmask_b32_e64 v19, 0, 1, vcc_lo
	v_cmp_ne_u32_e32 vcc_lo, v14, v15
	ds_store_2addr_stride64_b32 v20, v3, v3 offset1:4
	ds_store_2addr_stride64_b32 v20, v3, v3 offset0:8 offset1:12
	ds_store_2addr_stride64_b32 v20, v3, v3 offset0:16 offset1:20
	;; [unrolled: 1-line block ×5, first 2 shown]
	s_wait_dscnt 0x0
	s_barrier_signal -1
	v_cndmask_b32_e64 v43, 0, 1, vcc_lo
	v_cmp_ne_u32_e32 vcc_lo, v15, v16
	s_barrier_wait -1
	ds_load_b128 v[22:25], v1
	ds_load_b128 v[26:29], v1 offset:16
	ds_load_b128 v[2:5], v1 offset:32
	v_cndmask_b32_e64 v47, 0, 1, vcc_lo
	v_cmp_ne_u32_e32 vcc_lo, v16, v17
	v_cmp_ne_u32_e64 s10, v8, v9
	s_mov_b32 s37, -1
	v_cndmask_b32_e64 v45, 0, 1, vcc_lo
	v_cmp_ne_u32_e32 vcc_lo, v17, v10
	v_cndmask_b32_e64 v49, 0, 1, vcc_lo
	v_cmp_ne_u32_e32 vcc_lo, v10, v11
	s_wait_dscnt 0x2
	v_dual_mov_b32 v42, v23 :: v_dual_mov_b32 v46, v24
	v_cndmask_b32_e64 v51, 0, 1, vcc_lo
	v_cmp_ne_u32_e32 vcc_lo, v11, v12
	s_wait_dscnt 0x1
	v_dual_mov_b32 v44, v25 :: v_dual_mov_b32 v48, v26
	v_dual_mov_b32 v50, v27 :: v_dual_mov_b32 v52, v28
	v_cndmask_b32_e64 v53, 0, 1, vcc_lo
	v_cmp_ne_u32_e32 vcc_lo, v12, v13
	s_wait_dscnt 0x0
	v_dual_mov_b32 v54, v29 :: v_dual_mov_b32 v56, v2
	v_dual_mov_b32 v58, v3 :: v_dual_mov_b32 v18, v22
	v_cndmask_b32_e64 v55, 0, 1, vcc_lo
	v_cmp_ne_u32_e32 vcc_lo, v13, v6
	v_mov_b32_e32 v22, v4
	v_mov_b64_e32 v[40:41], v[42:43]
	v_mov_b64_e32 v[38:39], v[46:47]
	;; [unrolled: 1-line block ×3, first 2 shown]
	v_cndmask_b32_e64 v57, 0, 1, vcc_lo
	v_cmp_ne_u32_e32 vcc_lo, v6, v7
	v_mov_b64_e32 v[34:35], v[48:49]
	v_mov_b64_e32 v[32:33], v[50:51]
	;; [unrolled: 1-line block ×4, first 2 shown]
	v_cndmask_b32_e64 v59, 0, 1, vcc_lo
	v_cmp_ne_u32_e32 vcc_lo, v7, v8
	v_mov_b64_e32 v[26:27], v[56:57]
	s_delay_alu instid0(VALU_DEP_3)
	v_mov_b64_e32 v[24:25], v[58:59]
	v_cndmask_b32_e64 v23, 0, 1, vcc_lo
.LBB43_68:
	v_mov_b64_e32 v[16:17], 0
	s_and_saveexec_b32 s0, s37
	s_cbranch_execz .LBB43_70
; %bb.69:
	v_mov_b64_e32 v[24:25], v[58:59]
	v_mov_b64_e32 v[26:27], v[56:57]
	;; [unrolled: 1-line block ×9, first 2 shown]
	v_cndmask_b32_e64 v17, 0, 1, s10
	v_mov_b32_e32 v16, v5
.LBB43_70:
	s_or_b32 exec_lo, exec_lo, s0
	v_dual_lshrrev_b32 v1, 2, v0 :: v_dual_bitop2_b32 v42, v29, v27 bitop3:0x54
	v_or_b32_e32 v21, v25, v23
	s_cmp_lg_u32 s36, 0
	s_wait_dscnt 0x0
	v_cmp_gt_u32_e32 vcc_lo, 32, v0
	s_barrier_signal -1
	s_barrier_wait -1
	s_cbranch_scc0 .LBB43_98
; %bb.71:
	s_mov_b64 s[12:13], 0x100000000
	v_or3_b32 v3, v42, v31, v33
	v_cmp_gt_u64_e64 s0, s[12:13], v[40:41]
	v_cmp_gt_u64_e64 s1, s[12:13], v[38:39]
	;; [unrolled: 1-line block ×7, first 2 shown]
	v_dual_cndmask_b32 v2, 0, v18, s0 :: v_dual_bitop2_b32 v5, 56, v1 bitop3:0x40
	v_cmp_gt_u64_e64 s9, s[12:13], v[26:27]
	v_cmp_gt_u64_e64 s10, s[12:13], v[24:25]
	;; [unrolled: 1-line block ×3, first 2 shown]
	s_delay_alu instid0(VALU_DEP_4) | instskip(SKIP_3) | instid1(VALU_DEP_4)
	v_add_nc_u32_e32 v2, v2, v40
	v_cmp_gt_u64_e64 s12, s[12:13], v[16:17]
	v_or3_b32 v3, v3, v35, v37
	v_lshl_add_u32 v5, v0, 3, v5
	v_cndmask_b32_e64 v2, 0, v2, s1
	s_delay_alu instid0(VALU_DEP_3) | instskip(NEXT) | instid1(VALU_DEP_2)
	v_or3_b32 v3, v3, v39, v41
	v_add_nc_u32_e32 v2, v2, v38
	s_delay_alu instid0(VALU_DEP_2) | instskip(NEXT) | instid1(VALU_DEP_2)
	v_or3_b32 v3, v17, v21, v3
	v_cndmask_b32_e64 v2, 0, v2, s4
	s_delay_alu instid0(VALU_DEP_2) | instskip(NEXT) | instid1(VALU_DEP_2)
	v_and_b32_e32 v3, 0xff, v3
	v_add_nc_u32_e32 v2, v2, v36
	s_delay_alu instid0(VALU_DEP_1) | instskip(NEXT) | instid1(VALU_DEP_1)
	v_cndmask_b32_e64 v2, 0, v2, s5
	v_add_nc_u32_e32 v2, v2, v34
	s_delay_alu instid0(VALU_DEP_1) | instskip(NEXT) | instid1(VALU_DEP_1)
	v_cndmask_b32_e64 v2, 0, v2, s6
	;; [unrolled: 3-line block ×7, first 2 shown]
	v_dual_add_nc_u32 v4, v2, v22 :: v_dual_mov_b32 v2, 0
	s_delay_alu instid0(VALU_DEP_1) | instskip(NEXT) | instid1(VALU_DEP_2)
	v_cndmask_b32_e64 v4, 0, v4, s12
	v_cmp_eq_u64_e64 s13, 0, v[2:3]
	s_delay_alu instid0(VALU_DEP_1)
	v_dual_add_nc_u32 v12, v4, v16 :: v_dual_cndmask_b32 v13, 1, v19, s13
	ds_store_b32 v5, v12
	ds_store_b8 v5, v13 offset:4
	s_wait_dscnt 0x0
	s_barrier_signal -1
	s_barrier_wait -1
	s_and_saveexec_b32 s14, vcc_lo
	s_cbranch_execz .LBB43_81
; %bb.72:
	v_dual_lshlrev_b32 v2, 1, v0 :: v_dual_lshlrev_b32 v3, 6, v0
	s_mov_b32 s15, exec_lo
	s_delay_alu instid0(VALU_DEP_1) | instskip(NEXT) | instid1(VALU_DEP_1)
	v_and_b32_e32 v2, 0x1f8, v2
	v_add_nc_u32_e32 v4, v2, v3
	ds_load_u8 v5, v4 offset:12
	ds_load_b64 v[2:3], v4
	ds_load_2addr_b32 v[6:7], v4 offset0:2 offset1:4
	ds_load_u8 v10, v4 offset:20
	ds_load_u8 v11, v4 offset:28
	;; [unrolled: 1-line block ×5, first 2 shown]
	ds_load_b32 v44, v4 offset:56
	s_wait_dscnt 0x8
	v_cmp_eq_u16_e64 s13, 0, v5
	s_wait_dscnt 0x5
	s_delay_alu instid0(VALU_DEP_1)
	v_dual_cndmask_b32 v45, 0, v2, s13 :: v_dual_bitop2_b32 v5, v10, v5 bitop3:0x54
	ds_load_2addr_b32 v[8:9], v4 offset0:6 offset1:8
	v_cmp_eq_u16_e64 s13, 0, v10
	s_wait_dscnt 0x4
	v_bitop3_b16 v5, v5, v14, v11 bitop3:0xfe
	v_add_nc_u32_e32 v6, v45, v6
	s_delay_alu instid0(VALU_DEP_1) | instskip(SKIP_1) | instid1(VALU_DEP_2)
	v_cndmask_b32_e64 v6, 0, v6, s13
	v_cmp_eq_u16_e64 s13, 0, v11
	v_add_nc_u32_e32 v6, v6, v7
	s_delay_alu instid0(VALU_DEP_1)
	v_cndmask_b32_e64 v45, 0, v6, s13
	ds_load_2addr_b32 v[6:7], v4 offset0:10 offset1:12
	v_cmp_eq_u16_e64 s13, 0, v14
	s_wait_dscnt 0x1
	v_add_nc_u32_e32 v8, v45, v8
	ds_load_u8 v45, v4 offset:60
	v_cndmask_b32_e64 v8, 0, v8, s13
	v_cmp_eq_u16_e64 s13, 0, v15
	s_delay_alu instid0(VALU_DEP_2) | instskip(SKIP_1) | instid1(VALU_DEP_2)
	v_add_nc_u32_e32 v8, v8, v9
	v_bitop3_b16 v9, v5, v43, v15 bitop3:0xfe
	v_dual_cndmask_b32 v8, 0, v8, s13 :: v_dual_bitop2_b32 v5, 1, v3 bitop3:0x40
	s_delay_alu instid0(VALU_DEP_2) | instskip(SKIP_1) | instid1(VALU_DEP_2)
	v_cmp_eq_u16_e64 s13, 0, v9
	s_wait_dscnt 0x0
	v_dual_add_nc_u32 v6, v8, v6 :: v_dual_bitop2_b32 v8, 1, v45 bitop3:0x40
	s_delay_alu instid0(VALU_DEP_2) | instskip(SKIP_1) | instid1(VALU_DEP_1)
	v_cndmask_b32_e64 v9, 1, v5, s13
	v_cmp_eq_u16_e64 s13, 0, v43
	v_cndmask_b32_e64 v6, 0, v6, s13
	s_delay_alu instid0(VALU_DEP_4) | instskip(SKIP_1) | instid1(VALU_DEP_2)
	v_cmp_eq_u32_e64 s13, 1, v8
	v_mbcnt_lo_u32_b32 v8, -1, 0
	v_cndmask_b32_e64 v9, v9, 1, s13
	v_cmp_eq_u16_e64 s13, 0, v45
	s_delay_alu instid0(VALU_DEP_2) | instskip(SKIP_2) | instid1(VALU_DEP_1)
	v_and_b32_e32 v10, 0xffff, v9
	v_add_nc_u32_e32 v7, v6, v7
	v_and_b32_e32 v6, 0xffffff00, v3
	v_dual_cndmask_b32 v7, 0, v7, s13 :: v_dual_bitop2_b32 v11, v6, v10 bitop3:0x54
	v_and_b32_e32 v10, 15, v8
	s_delay_alu instid0(VALU_DEP_2) | instskip(NEXT) | instid1(VALU_DEP_3)
	v_mov_b32_dpp v15, v11 row_shr:1 row_mask:0xf bank_mask:0xf
	v_add_nc_u32_e32 v7, v7, v44
	s_delay_alu instid0(VALU_DEP_1) | instskip(NEXT) | instid1(VALU_DEP_4)
	v_mov_b32_dpp v14, v7 row_shr:1 row_mask:0xf bank_mask:0xf
	v_cmpx_ne_u32_e32 0, v10
	s_cbranch_execz .LBB43_74
; %bb.73:
	v_and_b32_e32 v11, 1, v9
	v_and_b32_e32 v15, 1, v15
	s_delay_alu instid0(VALU_DEP_2) | instskip(NEXT) | instid1(VALU_DEP_1)
	v_cmp_eq_u32_e64 s13, 1, v11
	v_cndmask_b32_e64 v15, v15, 1, s13
	v_cmp_eq_u16_e64 s13, 0, v9
	s_delay_alu instid0(VALU_DEP_2) | instskip(NEXT) | instid1(VALU_DEP_1)
	v_and_b32_e32 v11, 0xffff, v15
	v_dual_cndmask_b32 v9, 0, v14, s13 :: v_dual_bitop2_b32 v11, v6, v11 bitop3:0x54
	s_delay_alu instid0(VALU_DEP_1)
	v_dual_add_nc_u32 v7, v9, v7 :: v_dual_mov_b32 v9, v15
.LBB43_74:
	s_or_b32 exec_lo, exec_lo, s15
	s_delay_alu instid0(VALU_DEP_1) | instskip(NEXT) | instid1(VALU_DEP_3)
	v_mov_b32_dpp v14, v7 row_shr:2 row_mask:0xf bank_mask:0xf
	v_mov_b32_dpp v15, v11 row_shr:2 row_mask:0xf bank_mask:0xf
	s_mov_b32 s15, exec_lo
	v_cmpx_lt_u32_e32 1, v10
	s_cbranch_execz .LBB43_76
; %bb.75:
	v_and_b32_e32 v11, 1, v9
	v_and_b32_e32 v15, 1, v15
	s_delay_alu instid0(VALU_DEP_2) | instskip(NEXT) | instid1(VALU_DEP_1)
	v_cmp_eq_u32_e64 s13, 1, v11
	v_cndmask_b32_e64 v15, v15, 1, s13
	v_cmp_eq_u16_e64 s13, 0, v9
	s_delay_alu instid0(VALU_DEP_2) | instskip(NEXT) | instid1(VALU_DEP_1)
	v_and_b32_e32 v11, 0xffff, v15
	v_dual_cndmask_b32 v9, 0, v14, s13 :: v_dual_bitop2_b32 v11, v6, v11 bitop3:0x54
	s_delay_alu instid0(VALU_DEP_1)
	v_dual_add_nc_u32 v7, v9, v7 :: v_dual_mov_b32 v9, v15
.LBB43_76:
	s_or_b32 exec_lo, exec_lo, s15
	s_delay_alu instid0(VALU_DEP_1) | instskip(NEXT) | instid1(VALU_DEP_3)
	v_mov_b32_dpp v14, v7 row_shr:4 row_mask:0xf bank_mask:0xf
	v_mov_b32_dpp v15, v11 row_shr:4 row_mask:0xf bank_mask:0xf
	s_mov_b32 s15, exec_lo
	v_cmpx_lt_u32_e32 3, v10
	;; [unrolled: 20-line block ×3, first 2 shown]
	s_cbranch_execz .LBB43_80
; %bb.79:
	v_and_b32_e32 v10, 1, v9
	v_and_b32_e32 v11, 1, v15
	s_delay_alu instid0(VALU_DEP_2) | instskip(NEXT) | instid1(VALU_DEP_1)
	v_cmp_eq_u32_e64 s13, 1, v10
	v_cndmask_b32_e64 v10, v11, 1, s13
	v_cmp_eq_u16_e64 s13, 0, v9
	s_delay_alu instid0(VALU_DEP_2) | instskip(NEXT) | instid1(VALU_DEP_1)
	v_and_b32_e32 v11, 0xffff, v10
	v_dual_cndmask_b32 v9, 0, v14, s13 :: v_dual_bitop2_b32 v11, v6, v11 bitop3:0x54
	s_delay_alu instid0(VALU_DEP_1)
	v_dual_add_nc_u32 v7, v9, v7 :: v_dual_mov_b32 v9, v10
.LBB43_80:
	s_or_b32 exec_lo, exec_lo, s15
	ds_swizzle_b32 v10, v11 offset:swizzle(BROADCAST,32,15)
	ds_swizzle_b32 v11, v7 offset:swizzle(BROADCAST,32,15)
	v_and_b32_e32 v14, 1, v9
	v_bfe_i32 v43, v8, 4, 1
	v_and_b32_e32 v3, 0xff, v3
	; wave barrier
	s_delay_alu instid0(VALU_DEP_3) | instskip(SKIP_2) | instid1(VALU_DEP_1)
	v_cmp_eq_u32_e64 s13, 1, v14
	s_wait_dscnt 0x1
	v_dual_add_nc_u32 v14, -1, v8 :: v_dual_bitop2_b32 v10, 1, v10 bitop3:0x40
	v_cndmask_b32_e64 v10, v10, 1, s13
	v_and_b32_e32 v15, 16, v8
	v_cmp_eq_u16_e64 s13, 0, v9
	s_wait_dscnt 0x0
	s_delay_alu instid0(VALU_DEP_1) | instskip(NEXT) | instid1(VALU_DEP_3)
	v_cndmask_b32_e64 v11, 0, v11, s13
	v_cmp_eq_u32_e64 s13, 0, v15
	s_delay_alu instid0(VALU_DEP_1) | instskip(SKIP_1) | instid1(VALU_DEP_4)
	v_cndmask_b32_e64 v9, v10, v9, s13
	v_cmp_gt_i32_e64 s13, 0, v14
	v_and_b32_e32 v10, v43, v11
	s_delay_alu instid0(VALU_DEP_3) | instskip(NEXT) | instid1(VALU_DEP_3)
	v_and_b32_e32 v9, 0xffff, v9
	v_cndmask_b32_e64 v8, v14, v8, s13
	s_delay_alu instid0(VALU_DEP_3) | instskip(SKIP_1) | instid1(VALU_DEP_3)
	v_add_nc_u32_e32 v7, v10, v7
	v_cmp_eq_u16_e64 s13, 0, v3
	v_lshlrev_b32_e32 v8, 2, v8
	ds_bpermute_b32 v7, v8, v7
	s_wait_dscnt 0x0
	v_dual_cndmask_b32 v3, 0, v7, s13 :: v_dual_bitop2_b32 v6, v6, v9 bitop3:0x54
	ds_bpermute_b32 v6, v8, v6
	v_cmp_eq_u32_e64 s13, 1, v5
	v_add_nc_u32_e32 v2, v3, v2
	s_wait_dscnt 0x0
	s_delay_alu instid0(VALU_DEP_1) | instskip(NEXT) | instid1(VALU_DEP_1)
	v_dual_cndmask_b32 v5, v2, v12, s2 :: v_dual_bitop2_b32 v6, 1, v6 bitop3:0x40
	v_cndmask_b32_e64 v3, v6, 1, s13
	s_delay_alu instid0(VALU_DEP_1)
	v_cndmask_b32_e64 v8, v3, v13, s2
	ds_store_b32 v4, v5
	ds_store_b8 v4, v8 offset:4
	; wave barrier
	ds_load_u8 v9, v4 offset:12
	ds_load_2addr_b32 v[2:3], v4 offset0:2 offset1:4
	ds_load_u8 v10, v4 offset:20
	ds_load_u8 v11, v4 offset:28
	ds_load_u8 v14, v4 offset:36
	ds_load_u8 v15, v4 offset:44
	ds_load_u8 v43, v4 offset:52
	ds_load_b32 v44, v4 offset:56
	ds_load_u8 v45, v4 offset:60
	ds_load_2addr_b32 v[6:7], v4 offset0:6 offset1:8
	s_wait_dscnt 0x9
	v_cmp_eq_u16_e64 s13, 0, v9
	v_and_b32_e32 v9, 1, v9
	s_delay_alu instid0(VALU_DEP_2) | instskip(SKIP_2) | instid1(VALU_DEP_2)
	v_cndmask_b32_e64 v5, 0, v5, s13
	s_wait_dscnt 0x7
	v_cmp_eq_u16_e64 s13, 0, v10
	v_add_nc_u32_e32 v5, v5, v2
	s_delay_alu instid0(VALU_DEP_1) | instskip(SKIP_2) | instid1(VALU_DEP_2)
	v_cndmask_b32_e64 v2, 0, v5, s13
	s_wait_dscnt 0x6
	v_cmp_eq_u16_e64 s13, 0, v11
	v_add_nc_u32_e32 v46, v2, v3
	ds_load_2addr_b32 v[2:3], v4 offset0:10 offset1:12
	v_cndmask_b32_e64 v47, 0, v46, s13
	s_wait_dscnt 0x6
	v_cmp_eq_u16_e64 s13, 0, v14
	ds_store_2addr_b32 v4, v5, v46 offset0:2 offset1:4
	s_wait_dscnt 0x2
	v_add_nc_u32_e32 v6, v47, v6
	s_delay_alu instid0(VALU_DEP_1) | instskip(SKIP_3) | instid1(VALU_DEP_4)
	v_cndmask_b32_e64 v47, 0, v6, s13
	v_and_b32_e32 v10, 1, v10
	v_cmp_eq_u32_e64 s13, 1, v9
	v_and_b32_e32 v9, 1, v11
	v_dual_add_nc_u32 v7, v47, v7 :: v_dual_bitop2_b32 v11, 1, v14 bitop3:0x40
	s_delay_alu instid0(VALU_DEP_3) | instskip(SKIP_1) | instid1(VALU_DEP_1)
	v_cndmask_b32_e64 v8, v8, 1, s13
	v_cmp_eq_u32_e64 s13, 1, v10
	v_cndmask_b32_e64 v10, v8, 1, s13
	v_cmp_eq_u16_e64 s13, 0, v15
	s_delay_alu instid0(VALU_DEP_1) | instskip(SKIP_2) | instid1(VALU_DEP_2)
	v_cndmask_b32_e64 v14, 0, v7, s13
	v_cmp_eq_u32_e64 s13, 1, v9
	s_wait_dscnt 0x1
	v_dual_add_nc_u32 v2, v14, v2 :: v_dual_bitop2_b32 v15, 1, v15 bitop3:0x40
	s_delay_alu instid0(VALU_DEP_2) | instskip(SKIP_1) | instid1(VALU_DEP_1)
	v_cndmask_b32_e64 v9, v10, 1, s13
	v_cmp_eq_u32_e64 s13, 1, v11
	v_cndmask_b32_e64 v11, v9, 1, s13
	v_cmp_eq_u16_e64 s13, 0, v43
	s_delay_alu instid0(VALU_DEP_1) | instskip(SKIP_1) | instid1(VALU_DEP_2)
	v_dual_cndmask_b32 v43, 0, v2, s13 :: v_dual_bitop2_b32 v14, 1, v43 bitop3:0x40
	v_cmp_eq_u32_e64 s13, 1, v15
	v_add_nc_u32_e32 v3, v43, v3
	s_delay_alu instid0(VALU_DEP_2) | instskip(NEXT) | instid1(VALU_DEP_4)
	v_cndmask_b32_e64 v15, v11, 1, s13
	v_cmp_eq_u32_e64 s13, 1, v14
	ds_store_2addr_b32 v4, v6, v7 offset0:6 offset1:8
	ds_store_2addr_b32 v4, v2, v3 offset0:10 offset1:12
	v_cndmask_b32_e64 v14, v15, 1, s13
	v_cmp_eq_u16_e64 s13, 0, v45
	s_delay_alu instid0(VALU_DEP_1) | instskip(NEXT) | instid1(VALU_DEP_1)
	v_dual_cndmask_b32 v5, 0, v3, s13 :: v_dual_bitop2_b32 v47, 1, v45 bitop3:0x40
	v_cmp_eq_u32_e64 s13, 1, v47
	s_delay_alu instid0(VALU_DEP_2) | instskip(NEXT) | instid1(VALU_DEP_2)
	v_add_nc_u32_e32 v2, v5, v44
	v_cndmask_b32_e64 v43, v14, 1, s13
	ds_store_b8 v4, v8 offset:12
	ds_store_b8 v4, v10 offset:20
	;; [unrolled: 1-line block ×6, first 2 shown]
	ds_store_b32 v4, v2 offset:56
	ds_store_b8 v4, v43 offset:60
.LBB43_81:
	s_or_b32 exec_lo, exec_lo, s14
	s_wait_dscnt 0x0
	s_barrier_signal -1
	s_barrier_wait -1
	s_and_saveexec_b32 s13, s3
	s_cbranch_execz .LBB43_83
; %bb.82:
	v_add_nc_u32_e32 v2, -1, v0
	s_delay_alu instid0(VALU_DEP_1) | instskip(NEXT) | instid1(VALU_DEP_1)
	v_lshrrev_b32_e32 v3, 2, v2
	v_and_b32_e32 v3, 0x3ffffff8, v3
	s_delay_alu instid0(VALU_DEP_1)
	v_lshl_add_u32 v2, v2, 3, v3
	ds_load_b32 v12, v2
	ds_load_u8 v13, v2 offset:4
.LBB43_83:
	s_or_b32 exec_lo, exec_lo, s13
	s_and_saveexec_b32 s22, vcc_lo
	s_cbranch_execz .LBB43_143
; %bb.84:
	v_mov_b32_e32 v5, 0
	v_mbcnt_lo_u32_b32 v14, -1, 0
	s_mov_b32 s15, 0
	ds_load_b64 v[2:3], v5 offset:2096
	v_cmp_eq_u32_e64 s13, 0, v14
	s_and_saveexec_b32 s20, s13
	s_cbranch_execz .LBB43_86
; %bb.85:
	s_add_co_i32 s14, s36, 32
	v_mov_b32_e32 v4, 1
	s_lshl_b64 s[14:15], s[14:15], 4
	s_delay_alu instid0(SALU_CYCLE_1) | instskip(NEXT) | instid1(SALU_CYCLE_1)
	s_add_nc_u64 s[14:15], s[24:25], s[14:15]
	v_mov_b64_e32 v[6:7], s[14:15]
	s_wait_dscnt 0x0
	;;#ASMSTART
	global_store_b128 v[6:7], v[2:5] off scope:SCOPE_DEV	
s_wait_storecnt 0x0
	;;#ASMEND
.LBB43_86:
	s_or_b32 exec_lo, exec_lo, s20
	v_xad_u32 v8, v14, -1, s36
	s_mov_b32 s14, exec_lo
	s_delay_alu instid0(VALU_DEP_1) | instskip(NEXT) | instid1(VALU_DEP_1)
	v_add_nc_u32_e32 v4, 32, v8
	v_lshl_add_u64 v[10:11], v[4:5], 4, s[24:25]
	;;#ASMSTART
	global_load_b128 v[4:7], v[10:11] off scope:SCOPE_DEV	
s_wait_loadcnt 0x0
	;;#ASMEND
	v_and_b32_e32 v7, 0xff, v6
	v_and_b32_e32 v5, 0xff, v5
	s_delay_alu instid0(VALU_DEP_2)
	v_cmpx_eq_u16_e32 0, v7
	s_cbranch_execz .LBB43_90
; %bb.87:
	s_mov_b32 s15, 0
.LBB43_88:                              ; =>This Inner Loop Header: Depth=1
	;;#ASMSTART
	global_load_b128 v[4:7], v[10:11] off scope:SCOPE_DEV	
s_wait_loadcnt 0x0
	;;#ASMEND
	v_and_b32_e32 v7, 0xff, v6
	s_delay_alu instid0(VALU_DEP_1) | instskip(SKIP_1) | instid1(SALU_CYCLE_1)
	v_cmp_ne_u16_e32 vcc_lo, 0, v7
	s_or_b32 s15, vcc_lo, s15
	s_and_not1_b32 exec_lo, exec_lo, s15
	s_cbranch_execnz .LBB43_88
; %bb.89:
	s_or_b32 exec_lo, exec_lo, s15
	v_and_b32_e32 v5, 0xff, v5
.LBB43_90:
	s_or_b32 exec_lo, exec_lo, s14
	v_cmp_ne_u32_e32 vcc_lo, 31, v14
	v_and_b32_e32 v9, 0xff, v6
	v_lshlrev_b32_e64 v43, v14, -1
	s_mov_b64 s[20:21], 0x100000000
	v_lshl_or_b32 v52, v14, 2, 64
	v_add_co_ci_u32_e64 v7, null, 0, v14, vcc_lo
	v_cmp_eq_u16_e32 vcc_lo, 2, v9
	v_cmp_gt_u64_e64 s14, s[20:21], v[4:5]
	s_delay_alu instid0(VALU_DEP_3) | instskip(SKIP_1) | instid1(VALU_DEP_2)
	v_dual_lshlrev_b32 v15, 2, v7 :: v_dual_bitop2_b32 v10, 1, v5 bitop3:0x40
	v_and_or_b32 v9, vcc_lo, v43, 0x80000000
	v_cmp_eq_u32_e32 vcc_lo, 1, v10
	ds_bpermute_b32 v7, v15, v5
	ds_bpermute_b32 v10, v15, v4
	v_ctz_i32_b32_e32 v9, v9
	s_wait_dscnt 0x1
	v_and_b32_e32 v7, 1, v7
	s_delay_alu instid0(VALU_DEP_1) | instskip(SKIP_1) | instid1(VALU_DEP_2)
	v_cndmask_b32_e64 v7, v7, 1, vcc_lo
	v_cmp_gt_u32_e32 vcc_lo, 30, v14
	v_and_b32_e32 v45, 0xffff, v7
	v_cndmask_b32_e64 v11, 0, 2, vcc_lo
	v_cmp_lt_u32_e32 vcc_lo, v14, v9
	s_delay_alu instid0(VALU_DEP_2) | instskip(NEXT) | instid1(VALU_DEP_4)
	v_add_lshl_u32 v44, v11, v14, 2
	v_dual_cndmask_b32 v11, v5, v45, vcc_lo :: v_dual_cndmask_b32 v7, v5, v7, vcc_lo
	s_and_b32 vcc_lo, vcc_lo, s14
	v_add_nc_u32_e32 v45, 2, v14
	s_wait_dscnt 0x0
	v_cndmask_b32_e32 v10, 0, v10, vcc_lo
	ds_bpermute_b32 v5, v44, v11
	v_and_b32_e32 v46, 1, v7
	v_and_b32_e32 v48, 0xff, v7
	v_add_nc_u32_e32 v4, v10, v4
	s_delay_alu instid0(VALU_DEP_3) | instskip(NEXT) | instid1(VALU_DEP_3)
	v_cmp_eq_u32_e32 vcc_lo, 1, v46
	v_cmp_eq_u16_e64 s14, 0, v48
	ds_bpermute_b32 v10, v44, v4
	s_wait_dscnt 0x1
	v_and_b32_e32 v5, 1, v5
	s_delay_alu instid0(VALU_DEP_1) | instskip(SKIP_3) | instid1(VALU_DEP_3)
	v_cndmask_b32_e64 v5, v5, 1, vcc_lo
	v_cmp_gt_u32_e32 vcc_lo, 28, v14
	s_wait_dscnt 0x0
	v_cndmask_b32_e64 v10, 0, v10, s14
	v_and_b32_e32 v47, 0xffff, v5
	v_cndmask_b32_e64 v46, 0, 4, vcc_lo
	v_cmp_gt_u32_e32 vcc_lo, v45, v9
	s_delay_alu instid0(VALU_DEP_2) | instskip(SKIP_3) | instid1(VALU_DEP_2)
	v_add_lshl_u32 v46, v46, v14, 2
	v_cndmask_b32_e32 v5, v5, v7, vcc_lo
	v_cndmask_b32_e64 v10, v10, 0, vcc_lo
	v_dual_cndmask_b32 v7, v47, v11, vcc_lo :: v_dual_add_nc_u32 v47, 4, v14
	v_dual_add_nc_u32 v4, v10, v4 :: v_dual_bitop2_b32 v48, 1, v5 bitop3:0x40
	ds_bpermute_b32 v11, v46, v7
	v_cmp_eq_u32_e32 vcc_lo, 1, v48
	ds_bpermute_b32 v10, v46, v4
	v_and_b32_e32 v48, 0xff, v5
	s_delay_alu instid0(VALU_DEP_1) | instskip(SKIP_1) | instid1(VALU_DEP_1)
	v_cmp_eq_u16_e64 s14, 0, v48
	s_wait_dscnt 0x0
	v_dual_cndmask_b32 v10, 0, v10, s14 :: v_dual_bitop2_b32 v11, 1, v11 bitop3:0x40
	s_delay_alu instid0(VALU_DEP_1) | instskip(SKIP_1) | instid1(VALU_DEP_2)
	v_cndmask_b32_e64 v11, v11, 1, vcc_lo
	v_cmp_gt_u32_e32 vcc_lo, 24, v14
	v_and_b32_e32 v50, 0xffff, v11
	v_cndmask_b32_e64 v49, 0, 8, vcc_lo
	v_cmp_gt_u32_e32 vcc_lo, v47, v9
	s_delay_alu instid0(VALU_DEP_2) | instskip(NEXT) | instid1(VALU_DEP_4)
	v_add_lshl_u32 v48, v49, v14, 2
	v_dual_cndmask_b32 v5, v11, v5, vcc_lo :: v_dual_cndmask_b32 v7, v50, v7, vcc_lo
	v_cndmask_b32_e64 v10, v10, 0, vcc_lo
	s_delay_alu instid0(VALU_DEP_2)
	v_dual_add_nc_u32 v49, 8, v14 :: v_dual_bitop2_b32 v50, 1, v5 bitop3:0x40
	ds_bpermute_b32 v11, v48, v7
	v_add_nc_u32_e32 v4, v10, v4
	v_and_b32_e32 v51, 0xff, v5
	v_cmp_eq_u32_e32 vcc_lo, 1, v50
	ds_bpermute_b32 v10, v48, v4
	s_wait_dscnt 0x1
	v_and_b32_e32 v11, 1, v11
	s_delay_alu instid0(VALU_DEP_1) | instskip(SKIP_1) | instid1(VALU_DEP_2)
	v_cndmask_b32_e64 v11, v11, 1, vcc_lo
	v_cmp_eq_u16_e32 vcc_lo, 0, v51
	v_and_b32_e32 v50, 0xffff, v11
	s_wait_dscnt 0x0
	v_cndmask_b32_e32 v10, 0, v10, vcc_lo
	v_cmp_gt_u32_e32 vcc_lo, v49, v9
	s_delay_alu instid0(VALU_DEP_3) | instskip(NEXT) | instid1(VALU_DEP_3)
	v_dual_cndmask_b32 v5, v11, v5, vcc_lo :: v_dual_cndmask_b32 v7, v50, v7, vcc_lo
	v_cndmask_b32_e64 v10, v10, 0, vcc_lo
	s_delay_alu instid0(VALU_DEP_2) | instskip(SKIP_3) | instid1(VALU_DEP_1)
	v_and_b32_e32 v50, 1, v5
	ds_bpermute_b32 v7, v52, v7
	v_add_nc_u32_e32 v4, v10, v4
	v_and_b32_e32 v11, 0xff, v5
	v_cmp_eq_u16_e32 vcc_lo, 0, v11
	s_wait_dscnt 0x0
	v_and_b32_e32 v7, 1, v7
	ds_bpermute_b32 v10, v52, v4
	s_wait_dscnt 0x0
	v_cndmask_b32_e32 v10, 0, v10, vcc_lo
	v_cmp_eq_u32_e32 vcc_lo, 1, v50
	v_cndmask_b32_e64 v7, v7, 1, vcc_lo
	v_add_nc_u32_e32 v53, 16, v14
	s_delay_alu instid0(VALU_DEP_1) | instskip(NEXT) | instid1(VALU_DEP_3)
	v_cmp_gt_u32_e32 vcc_lo, v53, v9
	v_dual_mov_b32 v9, 0 :: v_dual_cndmask_b32 v5, v7, v5, vcc_lo
	v_cndmask_b32_e64 v7, v10, 0, vcc_lo
	s_delay_alu instid0(VALU_DEP_1)
	v_add_nc_u32_e32 v4, v7, v4
	s_branch .LBB43_94
.LBB43_91:                              ;   in Loop: Header=BB43_94 Depth=1
	s_or_b32 exec_lo, exec_lo, s15
	v_and_b32_e32 v5, 0xff, v5
.LBB43_92:                              ;   in Loop: Header=BB43_94 Depth=1
	s_or_b32 exec_lo, exec_lo, s14
	ds_bpermute_b32 v7, v15, v5
	v_and_b32_e32 v10, 0xff, v6
	v_cmp_gt_u64_e64 s14, s[20:21], v[4:5]
	v_subrev_nc_u32_e32 v8, 32, v8
	s_delay_alu instid0(VALU_DEP_3) | instskip(SKIP_2) | instid1(VALU_DEP_2)
	v_cmp_eq_u16_e32 vcc_lo, 2, v10
	v_and_b32_e32 v10, 1, v5
	v_and_or_b32 v11, vcc_lo, v43, 0x80000000
	v_cmp_eq_u32_e32 vcc_lo, 1, v10
	s_delay_alu instid0(VALU_DEP_2) | instskip(SKIP_3) | instid1(VALU_DEP_1)
	v_ctz_i32_b32_e32 v10, v11
	ds_bpermute_b32 v11, v15, v4
	s_wait_dscnt 0x1
	v_and_b32_e32 v7, 1, v7
	v_cndmask_b32_e64 v7, v7, 1, vcc_lo
	v_cmp_lt_u32_e32 vcc_lo, v14, v10
	s_delay_alu instid0(VALU_DEP_2) | instskip(NEXT) | instid1(VALU_DEP_1)
	v_and_b32_e32 v54, 0xffff, v7
	v_dual_cndmask_b32 v7, v5, v7 :: v_dual_cndmask_b32 v54, v5, v54
	s_and_b32 vcc_lo, vcc_lo, s14
	s_delay_alu instid0(VALU_DEP_1)
	v_and_b32_e32 v56, 0xff, v7
	v_and_b32_e32 v55, 1, v7
	ds_bpermute_b32 v5, v44, v54
	s_wait_dscnt 0x1
	v_cndmask_b32_e32 v11, 0, v11, vcc_lo
	v_cmp_eq_u16_e64 s14, 0, v56
	v_cmp_eq_u32_e32 vcc_lo, 1, v55
	s_wait_dscnt 0x0
	s_delay_alu instid0(VALU_DEP_3) | instskip(NEXT) | instid1(VALU_DEP_1)
	v_dual_add_nc_u32 v4, v11, v4 :: v_dual_bitop2_b32 v5, 1, v5 bitop3:0x40
	v_cndmask_b32_e64 v5, v5, 1, vcc_lo
	ds_bpermute_b32 v11, v44, v4
	v_cmp_gt_u32_e32 vcc_lo, v45, v10
	v_and_b32_e32 v55, 0xffff, v5
	s_delay_alu instid0(VALU_DEP_1) | instskip(NEXT) | instid1(VALU_DEP_1)
	v_dual_cndmask_b32 v5, v5, v7, vcc_lo :: v_dual_cndmask_b32 v7, v55, v54, vcc_lo
	v_and_b32_e32 v55, 1, v5
	ds_bpermute_b32 v54, v46, v7
	s_wait_dscnt 0x1
	v_cndmask_b32_e64 v11, 0, v11, s14
	s_delay_alu instid0(VALU_DEP_1) | instskip(SKIP_2) | instid1(VALU_DEP_3)
	v_cndmask_b32_e64 v11, v11, 0, vcc_lo
	v_cmp_eq_u32_e32 vcc_lo, 1, v55
	v_and_b32_e32 v55, 0xff, v5
	v_add_nc_u32_e32 v4, v11, v4
	s_delay_alu instid0(VALU_DEP_2)
	v_cmp_eq_u16_e64 s14, 0, v55
	s_wait_dscnt 0x0
	v_and_b32_e32 v54, 1, v54
	ds_bpermute_b32 v11, v46, v4
	v_cndmask_b32_e64 v54, v54, 1, vcc_lo
	v_cmp_gt_u32_e32 vcc_lo, v47, v10
	s_delay_alu instid0(VALU_DEP_2) | instskip(SKIP_3) | instid1(VALU_DEP_1)
	v_and_b32_e32 v56, 0xffff, v54
	s_wait_dscnt 0x0
	v_dual_cndmask_b32 v5, v54, v5, vcc_lo :: v_dual_cndmask_b32 v11, 0, v11, s14
	s_mov_b32 s14, 0
	v_cndmask_b32_e64 v11, v11, 0, vcc_lo
	v_cndmask_b32_e32 v7, v56, v7, vcc_lo
	s_delay_alu instid0(VALU_DEP_3) | instskip(NEXT) | instid1(VALU_DEP_3)
	v_and_b32_e32 v56, 0xff, v5
	v_add_nc_u32_e32 v4, v11, v4
	ds_bpermute_b32 v54, v48, v7
	ds_bpermute_b32 v11, v48, v4
	v_and_b32_e32 v55, 1, v5
	s_delay_alu instid0(VALU_DEP_1) | instskip(SKIP_2) | instid1(VALU_DEP_1)
	v_cmp_eq_u32_e32 vcc_lo, 1, v55
	s_wait_dscnt 0x1
	v_and_b32_e32 v54, 1, v54
	v_cndmask_b32_e64 v54, v54, 1, vcc_lo
	v_cmp_eq_u16_e32 vcc_lo, 0, v56
	s_delay_alu instid0(VALU_DEP_2) | instskip(SKIP_3) | instid1(VALU_DEP_2)
	v_and_b32_e32 v55, 0xffff, v54
	s_wait_dscnt 0x0
	v_cndmask_b32_e32 v11, 0, v11, vcc_lo
	v_cmp_gt_u32_e32 vcc_lo, v49, v10
	v_cndmask_b32_e64 v11, v11, 0, vcc_lo
	v_dual_cndmask_b32 v7, v55, v7, vcc_lo :: v_dual_cndmask_b32 v5, v54, v5, vcc_lo
	s_delay_alu instid0(VALU_DEP_2) | instskip(SKIP_4) | instid1(VALU_DEP_1)
	v_add_nc_u32_e32 v4, v11, v4
	ds_bpermute_b32 v7, v52, v7
	v_and_b32_e32 v55, 0xff, v5
	ds_bpermute_b32 v11, v52, v4
	v_and_b32_e32 v54, 1, v5
	v_cmp_eq_u32_e32 vcc_lo, 1, v54
	s_wait_dscnt 0x1
	v_cndmask_b32_e64 v7, v7, 1, vcc_lo
	v_cmp_eq_u16_e32 vcc_lo, 0, v55
	s_wait_dscnt 0x0
	v_cndmask_b32_e32 v11, 0, v11, vcc_lo
	v_cmp_gt_u32_e32 vcc_lo, v53, v10
	v_and_b32_e32 v10, 0xff, v50
	v_cndmask_b32_e32 v5, v7, v5, vcc_lo
	s_delay_alu instid0(VALU_DEP_4) | instskip(NEXT) | instid1(VALU_DEP_3)
	v_cndmask_b32_e64 v7, v11, 0, vcc_lo
	v_cmp_eq_u16_e32 vcc_lo, 0, v10
	s_delay_alu instid0(VALU_DEP_2) | instskip(NEXT) | instid1(VALU_DEP_1)
	v_dual_add_nc_u32 v4, v7, v4 :: v_dual_bitop2_b32 v7, 1, v50 bitop3:0x40
	v_dual_cndmask_b32 v4, 0, v4, vcc_lo :: v_dual_bitop2_b32 v5, 1, v5 bitop3:0x40
	s_delay_alu instid0(VALU_DEP_2) | instskip(NEXT) | instid1(VALU_DEP_2)
	v_cmp_eq_u32_e32 vcc_lo, 1, v7
	v_add_nc_u32_e32 v4, v4, v51
	s_delay_alu instid0(VALU_DEP_3)
	v_cndmask_b32_e64 v5, v5, 1, vcc_lo
.LBB43_93:                              ;   in Loop: Header=BB43_94 Depth=1
	s_and_b32 vcc_lo, exec_lo, s14
	s_cbranch_vccnz .LBB43_139
.LBB43_94:                              ; =>This Loop Header: Depth=1
                                        ;     Child Loop BB43_97 Depth 2
	v_and_b32_e32 v6, 0xff, v6
	s_delay_alu instid0(VALU_DEP_2) | instskip(SKIP_1) | instid1(VALU_DEP_2)
	v_dual_mov_b32 v50, v5 :: v_dual_mov_b32 v51, v4
	s_mov_b32 s14, -1
                                        ; implicit-def: $vgpr5
                                        ; implicit-def: $vgpr4
	v_cmp_ne_u16_e32 vcc_lo, 2, v6
                                        ; implicit-def: $vgpr6
	s_cmp_lg_u32 vcc_lo, exec_lo
	s_cbranch_scc1 .LBB43_93
; %bb.95:                               ;   in Loop: Header=BB43_94 Depth=1
	v_lshl_add_u64 v[10:11], v[8:9], 4, s[24:25]
	;;#ASMSTART
	global_load_b128 v[4:7], v[10:11] off scope:SCOPE_DEV	
s_wait_loadcnt 0x0
	;;#ASMEND
	v_and_b32_e32 v7, 0xff, v6
	v_and_b32_e32 v5, 0xff, v5
	s_mov_b32 s14, exec_lo
	s_delay_alu instid0(VALU_DEP_2)
	v_cmpx_eq_u16_e32 0, v7
	s_cbranch_execz .LBB43_92
; %bb.96:                               ;   in Loop: Header=BB43_94 Depth=1
	s_mov_b32 s15, 0
.LBB43_97:                              ;   Parent Loop BB43_94 Depth=1
                                        ; =>  This Inner Loop Header: Depth=2
	;;#ASMSTART
	global_load_b128 v[4:7], v[10:11] off scope:SCOPE_DEV	
s_wait_loadcnt 0x0
	;;#ASMEND
	v_and_b32_e32 v7, 0xff, v6
	s_delay_alu instid0(VALU_DEP_1) | instskip(SKIP_1) | instid1(SALU_CYCLE_1)
	v_cmp_ne_u16_e32 vcc_lo, 0, v7
	s_or_b32 s15, vcc_lo, s15
	s_and_not1_b32 exec_lo, exec_lo, s15
	s_cbranch_execnz .LBB43_97
	s_branch .LBB43_91
.LBB43_98:
                                        ; implicit-def: $vgpr13
                                        ; implicit-def: $vgpr5
                                        ; implicit-def: $vgpr9
                                        ; implicit-def: $vgpr14_vgpr15
	s_cbranch_execnz .LBB43_144
.LBB43_99:
	s_add_nc_u64 s[0:1], s[28:29], s[30:31]
	s_and_b32 vcc_lo, exec_lo, s27
	s_add_nc_u64 s[0:1], s[0:1], s[16:17]
	s_cbranch_vccz .LBB43_161
.LBB43_100:
	v_mul_u32_u24_e32 v1, 12, v0
	s_add_co_i32 s33, s33, s26
	s_mov_b32 s2, exec_lo
	s_delay_alu instid0(VALU_DEP_1)
	v_cmpx_gt_u32_e64 s33, v1
	s_cbranch_execz .LBB43_116
; %bb.101:
	v_or_b32_e32 v16, 1, v1
	s_mov_b32 s3, exec_lo
	s_delay_alu instid0(VALU_DEP_1)
	v_cmpx_gt_u32_e64 s33, v16
	s_cbranch_execz .LBB43_115
; %bb.102:
	v_or_b32_e32 v16, 2, v1
	;; [unrolled: 6-line block ×3, first 2 shown]
	s_mov_b32 s5, exec_lo
	s_delay_alu instid0(VALU_DEP_1)
	v_cmpx_gt_u32_e64 s33, v16
	s_cbranch_execz .LBB43_113
; %bb.104:
	v_add_nc_u32_e32 v16, 4, v1
	s_mov_b32 s6, exec_lo
	s_delay_alu instid0(VALU_DEP_1)
	v_cmpx_gt_u32_e64 s33, v16
	s_cbranch_execz .LBB43_112
; %bb.105:
	v_add_nc_u32_e32 v16, 5, v1
	;; [unrolled: 6-line block ×4, first 2 shown]
	s_mov_b32 s9, exec_lo
	s_delay_alu instid0(VALU_DEP_1)
	v_cmpx_gt_u32_e64 s33, v16
; %bb.108:
	v_add_nc_u32_e32 v16, 8, v1
	s_mov_b32 s10, exec_lo
	s_delay_alu instid0(VALU_DEP_1)
	v_cmpx_gt_u32_e64 s33, v16
	s_or_b32 exec_lo, exec_lo, s10
; %bb.109:
	s_delay_alu instid0(SALU_CYCLE_1)
	s_or_b32 exec_lo, exec_lo, s9
.LBB43_110:
	s_delay_alu instid0(SALU_CYCLE_1)
	s_or_b32 exec_lo, exec_lo, s8
.LBB43_111:
	s_delay_alu instid0(SALU_CYCLE_1)
	s_or_b32 exec_lo, exec_lo, s7
.LBB43_112:
	s_delay_alu instid0(SALU_CYCLE_1)
	s_or_b32 exec_lo, exec_lo, s6
.LBB43_113:
	s_delay_alu instid0(SALU_CYCLE_1)
	s_or_b32 exec_lo, exec_lo, s5
.LBB43_114:
	s_delay_alu instid0(SALU_CYCLE_1)
	s_or_b32 exec_lo, exec_lo, s4
.LBB43_115:
	s_delay_alu instid0(SALU_CYCLE_1)
	s_or_b32 exec_lo, exec_lo, s3
.LBB43_116:
	s_delay_alu instid0(SALU_CYCLE_1)
	s_or_b32 exec_lo, exec_lo, s2
	v_dual_lshlrev_b32 v1, 2, v1 :: v_dual_mov_b32 v21, 0
	s_barrier_signal -1
	s_barrier_wait -1
	ds_store_b128 v1, v[6:9]
	ds_store_b128 v1, v[2:5] offset:16
	ds_store_b128 v1, v[10:13] offset:32
	v_mad_i32_i24 v6, 0xffffffd4, v0, v1
	s_wait_dscnt 0x0
	s_barrier_signal -1
	s_barrier_wait -1
	ds_load_2addr_stride64_b32 v[28:29], v6 offset0:4 offset1:8
	ds_load_2addr_stride64_b32 v[26:27], v6 offset0:12 offset1:16
	;; [unrolled: 1-line block ×5, first 2 shown]
	ds_load_b32 v7, v6 offset:11264
	v_add_nc_u64_e32 v[18:19], s[0:1], v[20:21]
	s_mov_b32 s2, exec_lo
	v_cmpx_gt_u32_e64 s33, v0
	s_cbranch_execz .LBB43_118
; %bb.117:
	v_mul_i32_i24_e32 v6, 0xffffffd4, v0
	s_delay_alu instid0(VALU_DEP_1)
	v_add_nc_u32_e32 v1, v1, v6
	ds_load_b32 v1, v1
	s_wait_dscnt 0x0
	global_store_b32 v[18:19], v1, off
.LBB43_118:
	s_wait_xcnt 0x0
	s_or_b32 exec_lo, exec_lo, s2
	v_or_b32_e32 v1, 0x100, v0
	s_mov_b32 s2, exec_lo
	s_delay_alu instid0(VALU_DEP_1)
	v_cmpx_gt_u32_e64 s33, v1
	s_cbranch_execz .LBB43_120
; %bb.119:
	s_wait_dscnt 0x5
	global_store_b32 v[18:19], v28, off offset:1024
.LBB43_120:
	s_wait_xcnt 0x0
	s_or_b32 exec_lo, exec_lo, s2
	v_or_b32_e32 v1, 0x200, v0
	s_mov_b32 s2, exec_lo
	s_delay_alu instid0(VALU_DEP_1)
	v_cmpx_gt_u32_e64 s33, v1
	s_cbranch_execz .LBB43_122
; %bb.121:
	s_wait_dscnt 0x5
	global_store_b32 v[18:19], v29, off offset:2048
.LBB43_122:
	;; [unrolled: 11-line block ×10, first 2 shown]
	s_wait_xcnt 0x0
	s_or_b32 exec_lo, exec_lo, s2
	v_or_b32_e32 v1, 0xb00, v0
	s_delay_alu instid0(VALU_DEP_1)
	v_cmp_gt_u32_e64 s2, s33, v1
	s_branch .LBB43_163
.LBB43_139:
	s_and_saveexec_b32 s14, s13
	s_cbranch_execz .LBB43_141
; %bb.140:
	v_and_b32_e32 v4, 0xff, v3
	s_mov_b32 s21, 0
	s_add_co_i32 s20, s36, 32
	v_and_b32_e32 v5, 1, v50
	s_lshl_b64 s[20:21], s[20:21], 4
	v_cmp_eq_u32_e32 vcc_lo, 0, v4
	s_add_nc_u64 s[20:21], s[24:25], s[20:21]
	s_delay_alu instid0(SALU_CYCLE_1) | instskip(SKIP_1) | instid1(VALU_DEP_1)
	v_mov_b64_e32 v[6:7], s[20:21]
	v_cndmask_b32_e32 v4, 0, v51, vcc_lo
	v_dual_add_nc_u32 v2, v4, v2 :: v_dual_bitop2_b32 v3, 1, v3 bitop3:0x40
	s_delay_alu instid0(VALU_DEP_1)
	v_cmp_eq_u32_e32 vcc_lo, 1, v3
	v_mov_b32_e32 v4, 2
	v_cndmask_b32_e64 v3, v5, 1, vcc_lo
	v_mov_b32_e32 v5, 0
	;;#ASMSTART
	global_store_b128 v[6:7], v[2:5] off scope:SCOPE_DEV	
s_wait_storecnt 0x0
	;;#ASMEND
.LBB43_141:
	s_or_b32 exec_lo, exec_lo, s14
	s_delay_alu instid0(SALU_CYCLE_1)
	s_and_b32 exec_lo, exec_lo, s2
	s_cbranch_execz .LBB43_143
; %bb.142:
	v_mov_b32_e32 v2, 0
	ds_store_b32 v2, v51
	ds_store_b8 v2, v50 offset:4
.LBB43_143:
	s_or_b32 exec_lo, exec_lo, s22
	v_dual_mov_b32 v2, 0 :: v_dual_bitop2_b32 v3, 1, v19 bitop3:0x40
	s_wait_dscnt 0x0
	s_barrier_signal -1
	s_barrier_wait -1
	s_delay_alu instid0(VALU_DEP_1) | instskip(SKIP_4) | instid1(VALU_DEP_2)
	v_cmp_eq_u32_e32 vcc_lo, 1, v3
	ds_load_b32 v2, v2
	s_mov_b64 s[14:15], 0x100000000
	v_cndmask_b32_e64 v3, v13, 1, vcc_lo
	v_cmp_gt_u64_e32 vcc_lo, s[14:15], v[18:19]
	v_dual_cndmask_b32 v3, v3, v19, s2 :: v_dual_cndmask_b32 v4, 0, v12, vcc_lo
	s_delay_alu instid0(VALU_DEP_1) | instskip(NEXT) | instid1(VALU_DEP_2)
	v_and_b32_e32 v3, 0xff, v3
	v_cndmask_b32_e64 v4, v4, 0, s2
	s_delay_alu instid0(VALU_DEP_2) | instskip(SKIP_2) | instid1(VALU_DEP_1)
	v_cmp_eq_u16_e32 vcc_lo, 0, v3
	s_wait_dscnt 0x0
	v_cndmask_b32_e32 v2, 0, v2, vcc_lo
	v_add3_u32 v6, v4, v18, v2
	s_delay_alu instid0(VALU_DEP_1) | instskip(NEXT) | instid1(VALU_DEP_1)
	v_cndmask_b32_e64 v2, 0, v6, s0
	v_add_nc_u32_e32 v7, v2, v40
	s_delay_alu instid0(VALU_DEP_1) | instskip(NEXT) | instid1(VALU_DEP_1)
	v_cndmask_b32_e64 v2, 0, v7, s1
	v_add_nc_u32_e32 v8, v2, v38
	v_mov_b64_e32 v[14:15], v[6:7]
	s_delay_alu instid0(VALU_DEP_2) | instskip(NEXT) | instid1(VALU_DEP_1)
	v_cndmask_b32_e64 v2, 0, v8, s4
	v_add_nc_u32_e32 v9, v2, v36
	s_delay_alu instid0(VALU_DEP_1) | instskip(NEXT) | instid1(VALU_DEP_1)
	v_cndmask_b32_e64 v2, 0, v9, s5
	v_add_nc_u32_e32 v2, v2, v34
	s_delay_alu instid0(VALU_DEP_1) | instskip(NEXT) | instid1(VALU_DEP_1)
	;; [unrolled: 3-line block ×8, first 2 shown]
	v_cndmask_b32_e64 v13, 0, v12, s12
	v_add_nc_u32_e32 v13, v13, v16
	s_branch .LBB43_99
.LBB43_144:
	s_cmp_lg_u64 s[34:35], 0
	s_cselect_b32 s0, -1, 0
	s_cmp_lg_u64 s[18:19], 0
	s_cselect_b32 s1, -1, 0
	s_delay_alu instid0(SALU_CYCLE_1) | instskip(NEXT) | instid1(SALU_CYCLE_1)
	s_and_b32 s0, s0, s1
	s_and_b32 s1, s2, s0
	s_delay_alu instid0(SALU_CYCLE_1)
	s_and_saveexec_b32 s0, s1
	s_cbranch_execz .LBB43_146
; %bb.145:
	s_mov_b64 s[4:5], 0x100000000
	s_delay_alu instid0(SALU_CYCLE_1)
	v_cmp_gt_u64_e32 vcc_lo, s[4:5], v[18:19]
	v_mov_b32_e32 v2, 0
	s_clause 0x1
	global_load_b32 v3, v2, s[18:19]
	global_load_u8 v4, v2, s[18:19] offset:4
	s_wait_loadcnt 0x1
	v_cndmask_b32_e32 v5, 0, v3, vcc_lo
	v_and_b32_e32 v3, 1, v19
	s_wait_loadcnt 0x0
	s_delay_alu instid0(VALU_DEP_2) | instskip(NEXT) | instid1(VALU_DEP_2)
	v_dual_add_nc_u32 v18, v5, v18 :: v_dual_bitop2_b32 v4, 1, v4 bitop3:0x40
	v_cmp_eq_u64_e32 vcc_lo, 0, v[2:3]
	s_delay_alu instid0(VALU_DEP_2)
	v_cndmask_b32_e32 v19, 1, v4, vcc_lo
.LBB43_146:
	s_or_b32 exec_lo, exec_lo, s0
	s_mov_b64 s[12:13], 0x100000000
	v_or3_b32 v12, v42, v31, v33
	v_cmp_gt_u64_e32 vcc_lo, s[12:13], v[40:41]
	v_cmp_gt_u64_e64 s0, s[12:13], v[38:39]
	v_cmp_gt_u64_e64 s1, s[12:13], v[36:37]
	;; [unrolled: 1-line block ×6, first 2 shown]
	v_cndmask_b32_e32 v2, 0, v18, vcc_lo
	v_cmp_gt_u64_e64 s8, s[12:13], v[26:27]
	v_cmp_gt_u64_e64 s10, s[12:13], v[22:23]
	;; [unrolled: 1-line block ×4, first 2 shown]
	v_add_nc_u32_e32 v7, v2, v40
	s_mov_b32 s13, exec_lo
	v_dual_mov_b32 v14, 0 :: v_dual_bitop2_b32 v1, 56, v1 bitop3:0x40
	s_delay_alu instid0(VALU_DEP_2) | instskip(NEXT) | instid1(VALU_DEP_2)
	v_cndmask_b32_e64 v2, 0, v7, s0
	v_lshl_add_u32 v1, v0, 3, v1
	s_delay_alu instid0(VALU_DEP_2) | instskip(NEXT) | instid1(VALU_DEP_1)
	v_add_nc_u32_e32 v8, v2, v38
	v_cndmask_b32_e64 v2, 0, v8, s1
	s_delay_alu instid0(VALU_DEP_1) | instskip(NEXT) | instid1(VALU_DEP_1)
	v_add_nc_u32_e32 v9, v2, v36
	v_cndmask_b32_e64 v2, 0, v9, s4
	s_delay_alu instid0(VALU_DEP_1) | instskip(NEXT) | instid1(VALU_DEP_1)
	;; [unrolled: 3-line block ×6, first 2 shown]
	v_add_nc_u32_e32 v10, v6, v26
	v_cndmask_b32_e64 v6, 0, v10, s9
	s_delay_alu instid0(VALU_DEP_1) | instskip(SKIP_1) | instid1(VALU_DEP_2)
	v_add_nc_u32_e32 v11, v6, v24
	v_or3_b32 v6, v12, v35, v37
	v_cndmask_b32_e64 v12, 0, v11, s10
	s_delay_alu instid0(VALU_DEP_2) | instskip(NEXT) | instid1(VALU_DEP_2)
	v_or3_b32 v6, v6, v39, v41
	v_add_nc_u32_e32 v12, v12, v22
	s_delay_alu instid0(VALU_DEP_2) | instskip(NEXT) | instid1(VALU_DEP_1)
	v_or3_b32 v6, v17, v21, v6
	v_and_b32_e32 v15, 0xff, v6
	s_delay_alu instid0(VALU_DEP_1) | instskip(NEXT) | instid1(VALU_DEP_1)
	v_cmp_eq_u64_e64 s12, 0, v[14:15]
	v_dual_cndmask_b32 v13, 0, v12, s11 :: v_dual_cndmask_b32 v6, 1, v19, s12
	s_delay_alu instid0(VALU_DEP_1)
	v_add_nc_u32_e32 v13, v13, v16
	ds_store_b32 v1, v13
	ds_store_b8 v1, v6 offset:4
	s_wait_dscnt 0x0
	s_barrier_signal -1
	s_barrier_wait -1
	v_cmpx_gt_u32_e32 32, v0
	s_cbranch_execz .LBB43_156
; %bb.147:
	v_dual_lshlrev_b32 v1, 1, v0 :: v_dual_lshlrev_b32 v14, 6, v0
	s_mov_b32 s14, exec_lo
	s_delay_alu instid0(VALU_DEP_1) | instskip(NEXT) | instid1(VALU_DEP_1)
	v_and_b32_e32 v1, 0x1f8, v1
	v_add_nc_u32_e32 v1, v1, v14
	ds_load_u8 v17, v1 offset:12
	ds_load_b64 v[14:15], v1
	ds_load_2addr_b32 v[42:43], v1 offset0:2 offset1:4
	ds_load_u8 v21, v1 offset:20
	ds_load_u8 v23, v1 offset:28
	;; [unrolled: 1-line block ×5, first 2 shown]
	ds_load_b32 v33, v1 offset:56
	s_wait_dscnt 0x8
	v_cmp_eq_u16_e64 s12, 0, v17
	s_wait_dscnt 0x5
	s_delay_alu instid0(VALU_DEP_1)
	v_dual_cndmask_b32 v31, 0, v14, s12 :: v_dual_bitop2_b32 v17, v21, v17 bitop3:0x54
	ds_load_2addr_b32 v[44:45], v1 offset0:6 offset1:8
	v_cmp_eq_u16_e64 s12, 0, v21
	ds_load_u8 v35, v1 offset:60
	s_wait_dscnt 0x5
	v_bitop3_b16 v17, v17, v25, v23 bitop3:0xfe
	v_add_nc_u32_e32 v31, v31, v42
	s_delay_alu instid0(VALU_DEP_1)
	v_cndmask_b32_e64 v31, 0, v31, s12
	v_cmp_eq_u16_e64 s12, 0, v23
	s_wait_dscnt 0x3
	v_bitop3_b16 v23, v17, v29, v27 bitop3:0xfe
	v_and_b32_e32 v17, 1, v15
	v_add_nc_u32_e32 v31, v31, v43
	ds_load_2addr_b32 v[42:43], v1 offset0:10 offset1:12
	v_cndmask_b32_e64 v31, 0, v31, s12
	v_cmp_eq_u16_e64 s12, 0, v25
	s_wait_dscnt 0x1
	s_delay_alu instid0(VALU_DEP_2) | instskip(NEXT) | instid1(VALU_DEP_1)
	v_dual_add_nc_u32 v31, v31, v44 :: v_dual_bitop2_b32 v25, 1, v35 bitop3:0x40
	v_cndmask_b32_e64 v31, 0, v31, s12
	v_cmp_eq_u16_e64 s12, 0, v27
	s_delay_alu instid0(VALU_DEP_2) | instskip(NEXT) | instid1(VALU_DEP_1)
	v_add_nc_u32_e32 v21, v31, v45
	v_cndmask_b32_e64 v21, 0, v21, s12
	v_cmp_eq_u16_e64 s12, 0, v23
	s_wait_dscnt 0x0
	s_delay_alu instid0(VALU_DEP_1) | instskip(SKIP_1) | instid1(VALU_DEP_1)
	v_dual_add_nc_u32 v21, v21, v42 :: v_dual_cndmask_b32 v23, 1, v17, s12
	v_cmp_eq_u16_e64 s12, 0, v29
	v_cndmask_b32_e64 v21, 0, v21, s12
	v_cmp_eq_u32_e64 s12, 1, v25
	v_mbcnt_lo_u32_b32 v25, -1, 0
	s_delay_alu instid0(VALU_DEP_2) | instskip(SKIP_1) | instid1(VALU_DEP_2)
	v_cndmask_b32_e64 v27, v23, 1, s12
	v_cmp_eq_u16_e64 s12, 0, v35
	v_and_b32_e32 v29, 0xffff, v27
	v_add_nc_u32_e32 v23, v21, v43
	v_and_b32_e32 v21, 0xffffff00, v15
	s_delay_alu instid0(VALU_DEP_1) | instskip(SKIP_1) | instid1(VALU_DEP_2)
	v_dual_cndmask_b32 v23, 0, v23, s12 :: v_dual_bitop2_b32 v31, v21, v29 bitop3:0x54
	v_and_b32_e32 v29, 15, v25
	v_mov_b32_dpp v35, v31 row_shr:1 row_mask:0xf bank_mask:0xf
	s_delay_alu instid0(VALU_DEP_3) | instskip(NEXT) | instid1(VALU_DEP_1)
	v_add_nc_u32_e32 v23, v23, v33
	v_mov_b32_dpp v33, v23 row_shr:1 row_mask:0xf bank_mask:0xf
	s_delay_alu instid0(VALU_DEP_4)
	v_cmpx_ne_u32_e32 0, v29
	s_cbranch_execz .LBB43_149
; %bb.148:
	v_and_b32_e32 v31, 1, v27
	v_and_b32_e32 v35, 1, v35
	s_delay_alu instid0(VALU_DEP_2) | instskip(NEXT) | instid1(VALU_DEP_1)
	v_cmp_eq_u32_e64 s12, 1, v31
	v_cndmask_b32_e64 v35, v35, 1, s12
	v_cmp_eq_u16_e64 s12, 0, v27
	s_delay_alu instid0(VALU_DEP_2) | instskip(NEXT) | instid1(VALU_DEP_1)
	v_and_b32_e32 v31, 0xffff, v35
	v_dual_cndmask_b32 v27, 0, v33, s12 :: v_dual_bitop2_b32 v31, v21, v31 bitop3:0x54
	s_delay_alu instid0(VALU_DEP_1)
	v_add_nc_u32_e32 v23, v27, v23
	v_mov_b32_e32 v27, v35
.LBB43_149:
	s_or_b32 exec_lo, exec_lo, s14
	s_delay_alu instid0(VALU_DEP_2)
	v_mov_b32_dpp v33, v23 row_shr:2 row_mask:0xf bank_mask:0xf
	v_mov_b32_dpp v35, v31 row_shr:2 row_mask:0xf bank_mask:0xf
	s_mov_b32 s14, exec_lo
	v_cmpx_lt_u32_e32 1, v29
	s_cbranch_execz .LBB43_151
; %bb.150:
	v_and_b32_e32 v31, 1, v27
	v_and_b32_e32 v35, 1, v35
	s_delay_alu instid0(VALU_DEP_2) | instskip(NEXT) | instid1(VALU_DEP_1)
	v_cmp_eq_u32_e64 s12, 1, v31
	v_cndmask_b32_e64 v35, v35, 1, s12
	v_cmp_eq_u16_e64 s12, 0, v27
	s_delay_alu instid0(VALU_DEP_2) | instskip(NEXT) | instid1(VALU_DEP_1)
	v_and_b32_e32 v31, 0xffff, v35
	v_dual_cndmask_b32 v27, 0, v33, s12 :: v_dual_bitop2_b32 v31, v21, v31 bitop3:0x54
	s_delay_alu instid0(VALU_DEP_1)
	v_add_nc_u32_e32 v23, v27, v23
	v_mov_b32_e32 v27, v35
.LBB43_151:
	s_or_b32 exec_lo, exec_lo, s14
	s_delay_alu instid0(VALU_DEP_2)
	v_mov_b32_dpp v33, v23 row_shr:4 row_mask:0xf bank_mask:0xf
	v_mov_b32_dpp v35, v31 row_shr:4 row_mask:0xf bank_mask:0xf
	s_mov_b32 s14, exec_lo
	v_cmpx_lt_u32_e32 3, v29
	s_cbranch_execz .LBB43_153
; %bb.152:
	v_and_b32_e32 v31, 1, v27
	v_and_b32_e32 v35, 1, v35
	s_delay_alu instid0(VALU_DEP_2) | instskip(NEXT) | instid1(VALU_DEP_1)
	v_cmp_eq_u32_e64 s12, 1, v31
	v_cndmask_b32_e64 v35, v35, 1, s12
	v_cmp_eq_u16_e64 s12, 0, v27
	s_delay_alu instid0(VALU_DEP_2) | instskip(NEXT) | instid1(VALU_DEP_1)
	v_and_b32_e32 v31, 0xffff, v35
	v_dual_cndmask_b32 v27, 0, v33, s12 :: v_dual_bitop2_b32 v31, v21, v31 bitop3:0x54
	s_delay_alu instid0(VALU_DEP_1)
	v_add_nc_u32_e32 v23, v27, v23
	v_mov_b32_e32 v27, v35
.LBB43_153:
	s_or_b32 exec_lo, exec_lo, s14
	s_delay_alu instid0(VALU_DEP_2)
	v_mov_b32_dpp v33, v23 row_shr:8 row_mask:0xf bank_mask:0xf
	v_mov_b32_dpp v35, v31 row_shr:8 row_mask:0xf bank_mask:0xf
	s_mov_b32 s14, exec_lo
	v_cmpx_lt_u32_e32 7, v29
	s_cbranch_execz .LBB43_155
; %bb.154:
	v_and_b32_e32 v29, 1, v27
	v_and_b32_e32 v31, 1, v35
	s_delay_alu instid0(VALU_DEP_2) | instskip(NEXT) | instid1(VALU_DEP_1)
	v_cmp_eq_u32_e64 s12, 1, v29
	v_cndmask_b32_e64 v29, v31, 1, s12
	v_cmp_eq_u16_e64 s12, 0, v27
	s_delay_alu instid0(VALU_DEP_2) | instskip(NEXT) | instid1(VALU_DEP_1)
	v_and_b32_e32 v31, 0xffff, v29
	v_dual_cndmask_b32 v27, 0, v33, s12 :: v_dual_bitop2_b32 v31, v21, v31 bitop3:0x54
	s_delay_alu instid0(VALU_DEP_1)
	v_dual_add_nc_u32 v23, v27, v23 :: v_dual_mov_b32 v27, v29
.LBB43_155:
	s_or_b32 exec_lo, exec_lo, s14
	ds_swizzle_b32 v29, v31 offset:swizzle(BROADCAST,32,15)
	ds_swizzle_b32 v31, v23 offset:swizzle(BROADCAST,32,15)
	v_and_b32_e32 v33, 1, v27
	v_and_b32_e32 v35, 16, v25
	v_bfe_i32 v37, v25, 4, 1
	v_and_b32_e32 v15, 0xff, v15
	s_delay_alu instid0(VALU_DEP_4) | instskip(SKIP_3) | instid1(VALU_DEP_1)
	v_cmp_eq_u32_e64 s12, 1, v33
	v_add_nc_u32_e32 v33, -1, v25
	; wave barrier
	s_wait_dscnt 0x1
	v_and_b32_e32 v29, 1, v29
	v_cndmask_b32_e64 v29, v29, 1, s12
	v_cmp_eq_u16_e64 s12, 0, v27
	s_wait_dscnt 0x0
	s_delay_alu instid0(VALU_DEP_1) | instskip(SKIP_1) | instid1(VALU_DEP_1)
	v_cndmask_b32_e64 v31, 0, v31, s12
	v_cmp_eq_u32_e64 s12, 0, v35
	v_cndmask_b32_e64 v27, v29, v27, s12
	v_cmp_gt_i32_e64 s12, 0, v33
	s_delay_alu instid0(VALU_DEP_2) | instskip(NEXT) | instid1(VALU_DEP_2)
	v_and_b32_e32 v27, 0xffff, v27
	v_cndmask_b32_e64 v25, v33, v25, s12
	v_and_b32_e32 v29, v37, v31
	v_cmp_eq_u16_e64 s12, 0, v15
	s_delay_alu instid0(VALU_DEP_3)
	v_dual_lshlrev_b32 v25, 2, v25 :: v_dual_bitop2_b32 v21, v21, v27 bitop3:0x54
	ds_bpermute_b32 v21, v25, v21
	s_wait_dscnt 0x0
	v_dual_add_nc_u32 v23, v29, v23 :: v_dual_bitop2_b32 v21, 1, v21 bitop3:0x40
	ds_bpermute_b32 v23, v25, v23
	s_wait_dscnt 0x0
	v_cndmask_b32_e64 v15, 0, v23, s12
	v_cmp_eq_u32_e64 s12, 1, v17
	s_delay_alu instid0(VALU_DEP_2) | instskip(NEXT) | instid1(VALU_DEP_2)
	v_add_nc_u32_e32 v14, v15, v14
	v_cndmask_b32_e64 v15, v21, 1, s12
	s_delay_alu instid0(VALU_DEP_1)
	v_dual_cndmask_b32 v17, v14, v13, s2 :: v_dual_cndmask_b32 v6, v15, v6, s2
	ds_store_b32 v1, v17
	ds_store_b8 v1, v6 offset:4
	; wave barrier
	ds_load_u8 v21, v1 offset:12
	ds_load_2addr_b32 v[14:15], v1 offset0:2 offset1:4
	ds_load_u8 v23, v1 offset:20
	ds_load_u8 v25, v1 offset:28
	;; [unrolled: 1-line block ×5, first 2 shown]
	ds_load_b32 v33, v1 offset:56
	ds_load_u8 v35, v1 offset:60
	ds_load_2addr_b32 v[42:43], v1 offset0:6 offset1:8
	s_wait_dscnt 0x9
	v_cmp_eq_u16_e64 s12, 0, v21
	s_delay_alu instid0(VALU_DEP_1) | instskip(SKIP_2) | instid1(VALU_DEP_2)
	v_cndmask_b32_e64 v17, 0, v17, s12
	s_wait_dscnt 0x7
	v_cmp_eq_u16_e64 s12, 0, v23
	v_add_nc_u32_e32 v17, v17, v14
	s_delay_alu instid0(VALU_DEP_1) | instskip(SKIP_2) | instid1(VALU_DEP_2)
	v_cndmask_b32_e64 v14, 0, v17, s12
	s_wait_dscnt 0x6
	v_cmp_eq_u16_e64 s12, 0, v25
	v_add_nc_u32_e32 v37, v14, v15
	ds_load_2addr_b32 v[14:15], v1 offset0:10 offset1:12
	v_cndmask_b32_e64 v39, 0, v37, s12
	s_wait_dscnt 0x6
	v_cmp_eq_u16_e64 s12, 0, v27
	ds_store_2addr_b32 v1, v17, v37 offset0:2 offset1:4
	s_wait_dscnt 0x2
	v_dual_add_nc_u32 v39, v39, v42 :: v_dual_bitop2_b32 v21, 1, v21 bitop3:0x40
	v_and_b32_e32 v42, 1, v35
	s_delay_alu instid0(VALU_DEP_2) | instskip(NEXT) | instid1(VALU_DEP_3)
	v_cndmask_b32_e64 v41, 0, v39, s12
	v_cmp_eq_u32_e64 s12, 1, v21
	s_delay_alu instid0(VALU_DEP_2) | instskip(SKIP_1) | instid1(VALU_DEP_3)
	v_dual_add_nc_u32 v25, v41, v43 :: v_dual_bitop2_b32 v21, 1, v25 bitop3:0x40
	v_and_b32_e32 v23, 1, v23
	v_cndmask_b32_e64 v6, v6, 1, s12
	s_delay_alu instid0(VALU_DEP_2) | instskip(NEXT) | instid1(VALU_DEP_1)
	v_cmp_eq_u32_e64 s12, 1, v23
	v_cndmask_b32_e64 v23, v6, 1, s12
	v_cmp_eq_u16_e64 s12, 0, v29
	s_delay_alu instid0(VALU_DEP_1) | instskip(SKIP_2) | instid1(VALU_DEP_2)
	v_dual_cndmask_b32 v41, 0, v25, s12 :: v_dual_bitop2_b32 v27, 1, v27 bitop3:0x40
	v_cmp_eq_u32_e64 s12, 1, v21
	s_wait_dscnt 0x1
	v_dual_add_nc_u32 v14, v41, v14 :: v_dual_bitop2_b32 v41, 1, v31 bitop3:0x40
	s_delay_alu instid0(VALU_DEP_2) | instskip(SKIP_1) | instid1(VALU_DEP_1)
	v_cndmask_b32_e64 v21, v23, 1, s12
	v_cmp_eq_u32_e64 s12, 1, v27
	v_cndmask_b32_e64 v27, v21, 1, s12
	v_cmp_eq_u16_e64 s12, 0, v31
	s_delay_alu instid0(VALU_DEP_1) | instskip(NEXT) | instid1(VALU_DEP_1)
	v_dual_cndmask_b32 v31, 0, v14, s12 :: v_dual_bitop2_b32 v29, 1, v29 bitop3:0x40
	v_cmp_eq_u32_e64 s12, 1, v29
	s_delay_alu instid0(VALU_DEP_2) | instskip(NEXT) | instid1(VALU_DEP_2)
	v_add_nc_u32_e32 v15, v31, v15
	v_cndmask_b32_e64 v29, v27, 1, s12
	v_cmp_eq_u32_e64 s12, 1, v41
	ds_store_2addr_b32 v1, v39, v25 offset0:6 offset1:8
	ds_store_2addr_b32 v1, v14, v15 offset0:10 offset1:12
	v_cndmask_b32_e64 v31, v29, 1, s12
	v_cmp_eq_u16_e64 s12, 0, v35
	s_delay_alu instid0(VALU_DEP_1) | instskip(SKIP_1) | instid1(VALU_DEP_2)
	v_cndmask_b32_e64 v17, 0, v15, s12
	v_cmp_eq_u32_e64 s12, 1, v42
	v_add_nc_u32_e32 v14, v17, v33
	s_delay_alu instid0(VALU_DEP_2)
	v_cndmask_b32_e64 v35, v31, 1, s12
	ds_store_b8 v1, v6 offset:12
	ds_store_b8 v1, v23 offset:20
	;; [unrolled: 1-line block ×6, first 2 shown]
	ds_store_b32 v1, v14 offset:56
	ds_store_b8 v1, v35 offset:60
.LBB43_156:
	s_or_b32 exec_lo, exec_lo, s13
	v_mov_b32_e32 v6, v18
	s_wait_dscnt 0x0
	s_barrier_signal -1
	s_barrier_wait -1
	s_delay_alu instid0(VALU_DEP_1)
	v_mov_b64_e32 v[14:15], v[6:7]
	s_and_saveexec_b32 s12, s3
	s_cbranch_execz .LBB43_158
; %bb.157:
	v_add_nc_u32_e32 v1, -1, v0
	v_and_b32_e32 v3, 0xff, v19
	s_delay_alu instid0(VALU_DEP_2) | instskip(NEXT) | instid1(VALU_DEP_1)
	v_lshrrev_b32_e32 v2, 2, v1
	v_and_b32_e32 v2, 0x3ffffff8, v2
	s_delay_alu instid0(VALU_DEP_1)
	v_lshl_add_u32 v1, v1, 3, v2
	v_mov_b32_e32 v2, 0
	ds_load_b32 v1, v1
	v_cmp_eq_u64_e64 s3, 0, v[2:3]
	;;#ASMSTART
	;;#ASMEND
	s_wait_dscnt 0x0
	s_delay_alu instid0(VALU_DEP_1) | instskip(NEXT) | instid1(VALU_DEP_1)
	v_cndmask_b32_e64 v1, 0, v1, s3
	v_add_nc_u32_e32 v14, v1, v18
	s_delay_alu instid0(VALU_DEP_1) | instskip(NEXT) | instid1(VALU_DEP_1)
	v_cndmask_b32_e32 v1, 0, v14, vcc_lo
	v_dual_mov_b32 v18, v14 :: v_dual_add_nc_u32 v15, v1, v40
	s_delay_alu instid0(VALU_DEP_1) | instskip(NEXT) | instid1(VALU_DEP_1)
	v_dual_cndmask_b32 v1, 0, v15, s0 :: v_dual_mov_b32 v7, v15
	v_add_nc_u32_e32 v8, v1, v38
	s_delay_alu instid0(VALU_DEP_1) | instskip(NEXT) | instid1(VALU_DEP_1)
	v_cndmask_b32_e64 v1, 0, v8, s1
	v_add_nc_u32_e32 v9, v1, v36
	s_delay_alu instid0(VALU_DEP_1) | instskip(NEXT) | instid1(VALU_DEP_1)
	v_cndmask_b32_e64 v1, 0, v9, s4
	v_add_nc_u32_e32 v2, v1, v34
	s_delay_alu instid0(VALU_DEP_1) | instskip(NEXT) | instid1(VALU_DEP_1)
	v_cndmask_b32_e64 v1, 0, v2, s5
	v_add_nc_u32_e32 v3, v1, v32
	s_delay_alu instid0(VALU_DEP_1) | instskip(NEXT) | instid1(VALU_DEP_1)
	v_cndmask_b32_e64 v1, 0, v3, s6
	v_add_nc_u32_e32 v4, v1, v30
	s_delay_alu instid0(VALU_DEP_1) | instskip(NEXT) | instid1(VALU_DEP_1)
	v_cndmask_b32_e64 v1, 0, v4, s7
	v_add_nc_u32_e32 v5, v1, v28
	s_delay_alu instid0(VALU_DEP_1) | instskip(NEXT) | instid1(VALU_DEP_1)
	v_cndmask_b32_e64 v1, 0, v5, s8
	v_add_nc_u32_e32 v10, v1, v26
	s_delay_alu instid0(VALU_DEP_1) | instskip(NEXT) | instid1(VALU_DEP_1)
	v_cndmask_b32_e64 v1, 0, v10, s9
	v_add_nc_u32_e32 v11, v1, v24
	s_delay_alu instid0(VALU_DEP_1) | instskip(NEXT) | instid1(VALU_DEP_1)
	v_cndmask_b32_e64 v1, 0, v11, s10
	v_add_nc_u32_e32 v12, v1, v22
	s_delay_alu instid0(VALU_DEP_1) | instskip(NEXT) | instid1(VALU_DEP_1)
	v_cndmask_b32_e64 v1, 0, v12, s11
	v_add_nc_u32_e32 v13, v1, v16
.LBB43_158:
	s_or_b32 exec_lo, exec_lo, s12
	s_and_saveexec_b32 s0, s2
	s_cbranch_execz .LBB43_160
; %bb.159:
	v_dual_mov_b32 v25, 0 :: v_dual_mov_b32 v24, 2
	s_add_nc_u64 s[2:3], s[24:25], 0x200
	ds_load_b32 v22, v25 offset:2096
	ds_load_u8 v23, v25 offset:2100
	v_mov_b64_e32 v[16:17], s[2:3]
	s_wait_dscnt 0x0
	;;#ASMSTART
	global_store_b128 v[16:17], v[22:25] off scope:SCOPE_DEV	
s_wait_storecnt 0x0
	;;#ASMEND
.LBB43_160:
	s_or_b32 exec_lo, exec_lo, s0
	v_mov_b32_e32 v6, v18
	s_add_nc_u64 s[0:1], s[28:29], s[30:31]
	s_and_b32 vcc_lo, exec_lo, s27
	s_add_nc_u64 s[0:1], s[0:1], s[16:17]
	s_cbranch_vccnz .LBB43_100
.LBB43_161:
	s_mov_b32 s2, 0
                                        ; implicit-def: $vgpr7
	s_cbranch_execz .LBB43_163
; %bb.162:
	v_mul_u32_u24_e32 v1, 48, v0
	s_wait_dscnt 0x1
	v_dual_mov_b32 v16, v8 :: v_dual_mov_b32 v17, v9
	v_mul_i32_i24_e32 v6, 0xffffffd4, v0
	s_wait_storecnt_dscnt 0x0
	s_barrier_signal -1
	s_barrier_wait -1
	ds_store_b128 v1, v[14:17]
	ds_store_b128 v1, v[2:5] offset:16
	ds_store_b128 v1, v[10:13] offset:32
	v_mad_u32_u24 v1, v0, 48, v6
	s_wait_dscnt 0x0
	s_barrier_signal -1
	s_barrier_wait -1
	ds_load_2addr_stride64_b32 v[2:3], v1 offset1:4
	ds_load_2addr_stride64_b32 v[4:5], v1 offset0:8 offset1:12
	ds_load_2addr_stride64_b32 v[8:9], v1 offset0:16 offset1:20
	;; [unrolled: 1-line block ×5, first 2 shown]
	s_or_b32 s2, s2, exec_lo
	s_wait_dscnt 0x5
	s_clause 0x1
	global_store_b32 v0, v2, s[0:1] scale_offset
	global_store_b32 v0, v3, s[0:1] offset:1024 scale_offset
	s_wait_dscnt 0x4
	s_clause 0x1
	global_store_b32 v0, v4, s[0:1] offset:2048 scale_offset
	global_store_b32 v0, v5, s[0:1] offset:3072 scale_offset
	s_wait_dscnt 0x3
	s_clause 0x1
	global_store_b32 v0, v8, s[0:1] offset:4096 scale_offset
	;; [unrolled: 4-line block ×4, first 2 shown]
	global_store_b32 v0, v13, s[0:1] offset:9216 scale_offset
	s_wait_dscnt 0x0
	global_store_b32 v0, v6, s[0:1] offset:10240 scale_offset
.LBB43_163:
	s_wait_xcnt 0x0
	s_delay_alu instid0(VALU_DEP_1)
	s_and_saveexec_b32 s3, s2
	s_cbranch_execnz .LBB43_165
; %bb.164:
	s_endpgm
.LBB43_165:
	s_wait_dscnt 0x0
	global_store_b32 v0, v7, s[0:1] offset:11264 scale_offset
	s_endpgm
	.section	.rodata,"a",@progbits
	.p2align	6, 0x0
	.amdhsa_kernel _ZN7rocprim17ROCPRIM_400000_NS6detail17trampoline_kernelINS0_14default_configENS1_27scan_by_key_config_selectorIiiEEZZNS1_16scan_by_key_implILNS1_25lookback_scan_determinismE0ELb0ES3_PKiN6hipcub16HIPCUB_304000_NS21ConstantInputIteratorIilEEPiiNSB_3SumENSB_8EqualityEiEE10hipError_tPvRmT2_T3_T4_T5_mT6_T7_P12ihipStream_tbENKUlT_T0_E_clISt17integral_constantIbLb0EESW_IbLb1EEEEDaSS_ST_EUlSS_E_NS1_11comp_targetILNS1_3genE0ELNS1_11target_archE4294967295ELNS1_3gpuE0ELNS1_3repE0EEENS1_30default_config_static_selectorELNS0_4arch9wavefront6targetE0EEEvT1_
		.amdhsa_group_segment_fixed_size 14336
		.amdhsa_private_segment_fixed_size 0
		.amdhsa_kernarg_size 120
		.amdhsa_user_sgpr_count 2
		.amdhsa_user_sgpr_dispatch_ptr 0
		.amdhsa_user_sgpr_queue_ptr 0
		.amdhsa_user_sgpr_kernarg_segment_ptr 1
		.amdhsa_user_sgpr_dispatch_id 0
		.amdhsa_user_sgpr_kernarg_preload_length 0
		.amdhsa_user_sgpr_kernarg_preload_offset 0
		.amdhsa_user_sgpr_private_segment_size 0
		.amdhsa_wavefront_size32 1
		.amdhsa_uses_dynamic_stack 0
		.amdhsa_enable_private_segment 0
		.amdhsa_system_sgpr_workgroup_id_x 1
		.amdhsa_system_sgpr_workgroup_id_y 0
		.amdhsa_system_sgpr_workgroup_id_z 0
		.amdhsa_system_sgpr_workgroup_info 0
		.amdhsa_system_vgpr_workitem_id 0
		.amdhsa_next_free_vgpr 60
		.amdhsa_next_free_sgpr 42
		.amdhsa_named_barrier_count 0
		.amdhsa_reserve_vcc 1
		.amdhsa_float_round_mode_32 0
		.amdhsa_float_round_mode_16_64 0
		.amdhsa_float_denorm_mode_32 3
		.amdhsa_float_denorm_mode_16_64 3
		.amdhsa_fp16_overflow 0
		.amdhsa_memory_ordered 1
		.amdhsa_forward_progress 1
		.amdhsa_inst_pref_size 89
		.amdhsa_round_robin_scheduling 0
		.amdhsa_exception_fp_ieee_invalid_op 0
		.amdhsa_exception_fp_denorm_src 0
		.amdhsa_exception_fp_ieee_div_zero 0
		.amdhsa_exception_fp_ieee_overflow 0
		.amdhsa_exception_fp_ieee_underflow 0
		.amdhsa_exception_fp_ieee_inexact 0
		.amdhsa_exception_int_div_zero 0
	.end_amdhsa_kernel
	.section	.text._ZN7rocprim17ROCPRIM_400000_NS6detail17trampoline_kernelINS0_14default_configENS1_27scan_by_key_config_selectorIiiEEZZNS1_16scan_by_key_implILNS1_25lookback_scan_determinismE0ELb0ES3_PKiN6hipcub16HIPCUB_304000_NS21ConstantInputIteratorIilEEPiiNSB_3SumENSB_8EqualityEiEE10hipError_tPvRmT2_T3_T4_T5_mT6_T7_P12ihipStream_tbENKUlT_T0_E_clISt17integral_constantIbLb0EESW_IbLb1EEEEDaSS_ST_EUlSS_E_NS1_11comp_targetILNS1_3genE0ELNS1_11target_archE4294967295ELNS1_3gpuE0ELNS1_3repE0EEENS1_30default_config_static_selectorELNS0_4arch9wavefront6targetE0EEEvT1_,"axG",@progbits,_ZN7rocprim17ROCPRIM_400000_NS6detail17trampoline_kernelINS0_14default_configENS1_27scan_by_key_config_selectorIiiEEZZNS1_16scan_by_key_implILNS1_25lookback_scan_determinismE0ELb0ES3_PKiN6hipcub16HIPCUB_304000_NS21ConstantInputIteratorIilEEPiiNSB_3SumENSB_8EqualityEiEE10hipError_tPvRmT2_T3_T4_T5_mT6_T7_P12ihipStream_tbENKUlT_T0_E_clISt17integral_constantIbLb0EESW_IbLb1EEEEDaSS_ST_EUlSS_E_NS1_11comp_targetILNS1_3genE0ELNS1_11target_archE4294967295ELNS1_3gpuE0ELNS1_3repE0EEENS1_30default_config_static_selectorELNS0_4arch9wavefront6targetE0EEEvT1_,comdat
.Lfunc_end43:
	.size	_ZN7rocprim17ROCPRIM_400000_NS6detail17trampoline_kernelINS0_14default_configENS1_27scan_by_key_config_selectorIiiEEZZNS1_16scan_by_key_implILNS1_25lookback_scan_determinismE0ELb0ES3_PKiN6hipcub16HIPCUB_304000_NS21ConstantInputIteratorIilEEPiiNSB_3SumENSB_8EqualityEiEE10hipError_tPvRmT2_T3_T4_T5_mT6_T7_P12ihipStream_tbENKUlT_T0_E_clISt17integral_constantIbLb0EESW_IbLb1EEEEDaSS_ST_EUlSS_E_NS1_11comp_targetILNS1_3genE0ELNS1_11target_archE4294967295ELNS1_3gpuE0ELNS1_3repE0EEENS1_30default_config_static_selectorELNS0_4arch9wavefront6targetE0EEEvT1_, .Lfunc_end43-_ZN7rocprim17ROCPRIM_400000_NS6detail17trampoline_kernelINS0_14default_configENS1_27scan_by_key_config_selectorIiiEEZZNS1_16scan_by_key_implILNS1_25lookback_scan_determinismE0ELb0ES3_PKiN6hipcub16HIPCUB_304000_NS21ConstantInputIteratorIilEEPiiNSB_3SumENSB_8EqualityEiEE10hipError_tPvRmT2_T3_T4_T5_mT6_T7_P12ihipStream_tbENKUlT_T0_E_clISt17integral_constantIbLb0EESW_IbLb1EEEEDaSS_ST_EUlSS_E_NS1_11comp_targetILNS1_3genE0ELNS1_11target_archE4294967295ELNS1_3gpuE0ELNS1_3repE0EEENS1_30default_config_static_selectorELNS0_4arch9wavefront6targetE0EEEvT1_
                                        ; -- End function
	.set _ZN7rocprim17ROCPRIM_400000_NS6detail17trampoline_kernelINS0_14default_configENS1_27scan_by_key_config_selectorIiiEEZZNS1_16scan_by_key_implILNS1_25lookback_scan_determinismE0ELb0ES3_PKiN6hipcub16HIPCUB_304000_NS21ConstantInputIteratorIilEEPiiNSB_3SumENSB_8EqualityEiEE10hipError_tPvRmT2_T3_T4_T5_mT6_T7_P12ihipStream_tbENKUlT_T0_E_clISt17integral_constantIbLb0EESW_IbLb1EEEEDaSS_ST_EUlSS_E_NS1_11comp_targetILNS1_3genE0ELNS1_11target_archE4294967295ELNS1_3gpuE0ELNS1_3repE0EEENS1_30default_config_static_selectorELNS0_4arch9wavefront6targetE0EEEvT1_.num_vgpr, 60
	.set _ZN7rocprim17ROCPRIM_400000_NS6detail17trampoline_kernelINS0_14default_configENS1_27scan_by_key_config_selectorIiiEEZZNS1_16scan_by_key_implILNS1_25lookback_scan_determinismE0ELb0ES3_PKiN6hipcub16HIPCUB_304000_NS21ConstantInputIteratorIilEEPiiNSB_3SumENSB_8EqualityEiEE10hipError_tPvRmT2_T3_T4_T5_mT6_T7_P12ihipStream_tbENKUlT_T0_E_clISt17integral_constantIbLb0EESW_IbLb1EEEEDaSS_ST_EUlSS_E_NS1_11comp_targetILNS1_3genE0ELNS1_11target_archE4294967295ELNS1_3gpuE0ELNS1_3repE0EEENS1_30default_config_static_selectorELNS0_4arch9wavefront6targetE0EEEvT1_.num_agpr, 0
	.set _ZN7rocprim17ROCPRIM_400000_NS6detail17trampoline_kernelINS0_14default_configENS1_27scan_by_key_config_selectorIiiEEZZNS1_16scan_by_key_implILNS1_25lookback_scan_determinismE0ELb0ES3_PKiN6hipcub16HIPCUB_304000_NS21ConstantInputIteratorIilEEPiiNSB_3SumENSB_8EqualityEiEE10hipError_tPvRmT2_T3_T4_T5_mT6_T7_P12ihipStream_tbENKUlT_T0_E_clISt17integral_constantIbLb0EESW_IbLb1EEEEDaSS_ST_EUlSS_E_NS1_11comp_targetILNS1_3genE0ELNS1_11target_archE4294967295ELNS1_3gpuE0ELNS1_3repE0EEENS1_30default_config_static_selectorELNS0_4arch9wavefront6targetE0EEEvT1_.numbered_sgpr, 42
	.set _ZN7rocprim17ROCPRIM_400000_NS6detail17trampoline_kernelINS0_14default_configENS1_27scan_by_key_config_selectorIiiEEZZNS1_16scan_by_key_implILNS1_25lookback_scan_determinismE0ELb0ES3_PKiN6hipcub16HIPCUB_304000_NS21ConstantInputIteratorIilEEPiiNSB_3SumENSB_8EqualityEiEE10hipError_tPvRmT2_T3_T4_T5_mT6_T7_P12ihipStream_tbENKUlT_T0_E_clISt17integral_constantIbLb0EESW_IbLb1EEEEDaSS_ST_EUlSS_E_NS1_11comp_targetILNS1_3genE0ELNS1_11target_archE4294967295ELNS1_3gpuE0ELNS1_3repE0EEENS1_30default_config_static_selectorELNS0_4arch9wavefront6targetE0EEEvT1_.num_named_barrier, 0
	.set _ZN7rocprim17ROCPRIM_400000_NS6detail17trampoline_kernelINS0_14default_configENS1_27scan_by_key_config_selectorIiiEEZZNS1_16scan_by_key_implILNS1_25lookback_scan_determinismE0ELb0ES3_PKiN6hipcub16HIPCUB_304000_NS21ConstantInputIteratorIilEEPiiNSB_3SumENSB_8EqualityEiEE10hipError_tPvRmT2_T3_T4_T5_mT6_T7_P12ihipStream_tbENKUlT_T0_E_clISt17integral_constantIbLb0EESW_IbLb1EEEEDaSS_ST_EUlSS_E_NS1_11comp_targetILNS1_3genE0ELNS1_11target_archE4294967295ELNS1_3gpuE0ELNS1_3repE0EEENS1_30default_config_static_selectorELNS0_4arch9wavefront6targetE0EEEvT1_.private_seg_size, 0
	.set _ZN7rocprim17ROCPRIM_400000_NS6detail17trampoline_kernelINS0_14default_configENS1_27scan_by_key_config_selectorIiiEEZZNS1_16scan_by_key_implILNS1_25lookback_scan_determinismE0ELb0ES3_PKiN6hipcub16HIPCUB_304000_NS21ConstantInputIteratorIilEEPiiNSB_3SumENSB_8EqualityEiEE10hipError_tPvRmT2_T3_T4_T5_mT6_T7_P12ihipStream_tbENKUlT_T0_E_clISt17integral_constantIbLb0EESW_IbLb1EEEEDaSS_ST_EUlSS_E_NS1_11comp_targetILNS1_3genE0ELNS1_11target_archE4294967295ELNS1_3gpuE0ELNS1_3repE0EEENS1_30default_config_static_selectorELNS0_4arch9wavefront6targetE0EEEvT1_.uses_vcc, 1
	.set _ZN7rocprim17ROCPRIM_400000_NS6detail17trampoline_kernelINS0_14default_configENS1_27scan_by_key_config_selectorIiiEEZZNS1_16scan_by_key_implILNS1_25lookback_scan_determinismE0ELb0ES3_PKiN6hipcub16HIPCUB_304000_NS21ConstantInputIteratorIilEEPiiNSB_3SumENSB_8EqualityEiEE10hipError_tPvRmT2_T3_T4_T5_mT6_T7_P12ihipStream_tbENKUlT_T0_E_clISt17integral_constantIbLb0EESW_IbLb1EEEEDaSS_ST_EUlSS_E_NS1_11comp_targetILNS1_3genE0ELNS1_11target_archE4294967295ELNS1_3gpuE0ELNS1_3repE0EEENS1_30default_config_static_selectorELNS0_4arch9wavefront6targetE0EEEvT1_.uses_flat_scratch, 0
	.set _ZN7rocprim17ROCPRIM_400000_NS6detail17trampoline_kernelINS0_14default_configENS1_27scan_by_key_config_selectorIiiEEZZNS1_16scan_by_key_implILNS1_25lookback_scan_determinismE0ELb0ES3_PKiN6hipcub16HIPCUB_304000_NS21ConstantInputIteratorIilEEPiiNSB_3SumENSB_8EqualityEiEE10hipError_tPvRmT2_T3_T4_T5_mT6_T7_P12ihipStream_tbENKUlT_T0_E_clISt17integral_constantIbLb0EESW_IbLb1EEEEDaSS_ST_EUlSS_E_NS1_11comp_targetILNS1_3genE0ELNS1_11target_archE4294967295ELNS1_3gpuE0ELNS1_3repE0EEENS1_30default_config_static_selectorELNS0_4arch9wavefront6targetE0EEEvT1_.has_dyn_sized_stack, 0
	.set _ZN7rocprim17ROCPRIM_400000_NS6detail17trampoline_kernelINS0_14default_configENS1_27scan_by_key_config_selectorIiiEEZZNS1_16scan_by_key_implILNS1_25lookback_scan_determinismE0ELb0ES3_PKiN6hipcub16HIPCUB_304000_NS21ConstantInputIteratorIilEEPiiNSB_3SumENSB_8EqualityEiEE10hipError_tPvRmT2_T3_T4_T5_mT6_T7_P12ihipStream_tbENKUlT_T0_E_clISt17integral_constantIbLb0EESW_IbLb1EEEEDaSS_ST_EUlSS_E_NS1_11comp_targetILNS1_3genE0ELNS1_11target_archE4294967295ELNS1_3gpuE0ELNS1_3repE0EEENS1_30default_config_static_selectorELNS0_4arch9wavefront6targetE0EEEvT1_.has_recursion, 0
	.set _ZN7rocprim17ROCPRIM_400000_NS6detail17trampoline_kernelINS0_14default_configENS1_27scan_by_key_config_selectorIiiEEZZNS1_16scan_by_key_implILNS1_25lookback_scan_determinismE0ELb0ES3_PKiN6hipcub16HIPCUB_304000_NS21ConstantInputIteratorIilEEPiiNSB_3SumENSB_8EqualityEiEE10hipError_tPvRmT2_T3_T4_T5_mT6_T7_P12ihipStream_tbENKUlT_T0_E_clISt17integral_constantIbLb0EESW_IbLb1EEEEDaSS_ST_EUlSS_E_NS1_11comp_targetILNS1_3genE0ELNS1_11target_archE4294967295ELNS1_3gpuE0ELNS1_3repE0EEENS1_30default_config_static_selectorELNS0_4arch9wavefront6targetE0EEEvT1_.has_indirect_call, 0
	.section	.AMDGPU.csdata,"",@progbits
; Kernel info:
; codeLenInByte = 11392
; TotalNumSgprs: 44
; NumVgprs: 60
; ScratchSize: 0
; MemoryBound: 0
; FloatMode: 240
; IeeeMode: 1
; LDSByteSize: 14336 bytes/workgroup (compile time only)
; SGPRBlocks: 0
; VGPRBlocks: 3
; NumSGPRsForWavesPerEU: 44
; NumVGPRsForWavesPerEU: 60
; NamedBarCnt: 0
; Occupancy: 16
; WaveLimiterHint : 1
; COMPUTE_PGM_RSRC2:SCRATCH_EN: 0
; COMPUTE_PGM_RSRC2:USER_SGPR: 2
; COMPUTE_PGM_RSRC2:TRAP_HANDLER: 0
; COMPUTE_PGM_RSRC2:TGID_X_EN: 1
; COMPUTE_PGM_RSRC2:TGID_Y_EN: 0
; COMPUTE_PGM_RSRC2:TGID_Z_EN: 0
; COMPUTE_PGM_RSRC2:TIDIG_COMP_CNT: 0
	.section	.text._ZN7rocprim17ROCPRIM_400000_NS6detail17trampoline_kernelINS0_14default_configENS1_27scan_by_key_config_selectorIiiEEZZNS1_16scan_by_key_implILNS1_25lookback_scan_determinismE0ELb0ES3_PKiN6hipcub16HIPCUB_304000_NS21ConstantInputIteratorIilEEPiiNSB_3SumENSB_8EqualityEiEE10hipError_tPvRmT2_T3_T4_T5_mT6_T7_P12ihipStream_tbENKUlT_T0_E_clISt17integral_constantIbLb0EESW_IbLb1EEEEDaSS_ST_EUlSS_E_NS1_11comp_targetILNS1_3genE10ELNS1_11target_archE1201ELNS1_3gpuE5ELNS1_3repE0EEENS1_30default_config_static_selectorELNS0_4arch9wavefront6targetE0EEEvT1_,"axG",@progbits,_ZN7rocprim17ROCPRIM_400000_NS6detail17trampoline_kernelINS0_14default_configENS1_27scan_by_key_config_selectorIiiEEZZNS1_16scan_by_key_implILNS1_25lookback_scan_determinismE0ELb0ES3_PKiN6hipcub16HIPCUB_304000_NS21ConstantInputIteratorIilEEPiiNSB_3SumENSB_8EqualityEiEE10hipError_tPvRmT2_T3_T4_T5_mT6_T7_P12ihipStream_tbENKUlT_T0_E_clISt17integral_constantIbLb0EESW_IbLb1EEEEDaSS_ST_EUlSS_E_NS1_11comp_targetILNS1_3genE10ELNS1_11target_archE1201ELNS1_3gpuE5ELNS1_3repE0EEENS1_30default_config_static_selectorELNS0_4arch9wavefront6targetE0EEEvT1_,comdat
	.protected	_ZN7rocprim17ROCPRIM_400000_NS6detail17trampoline_kernelINS0_14default_configENS1_27scan_by_key_config_selectorIiiEEZZNS1_16scan_by_key_implILNS1_25lookback_scan_determinismE0ELb0ES3_PKiN6hipcub16HIPCUB_304000_NS21ConstantInputIteratorIilEEPiiNSB_3SumENSB_8EqualityEiEE10hipError_tPvRmT2_T3_T4_T5_mT6_T7_P12ihipStream_tbENKUlT_T0_E_clISt17integral_constantIbLb0EESW_IbLb1EEEEDaSS_ST_EUlSS_E_NS1_11comp_targetILNS1_3genE10ELNS1_11target_archE1201ELNS1_3gpuE5ELNS1_3repE0EEENS1_30default_config_static_selectorELNS0_4arch9wavefront6targetE0EEEvT1_ ; -- Begin function _ZN7rocprim17ROCPRIM_400000_NS6detail17trampoline_kernelINS0_14default_configENS1_27scan_by_key_config_selectorIiiEEZZNS1_16scan_by_key_implILNS1_25lookback_scan_determinismE0ELb0ES3_PKiN6hipcub16HIPCUB_304000_NS21ConstantInputIteratorIilEEPiiNSB_3SumENSB_8EqualityEiEE10hipError_tPvRmT2_T3_T4_T5_mT6_T7_P12ihipStream_tbENKUlT_T0_E_clISt17integral_constantIbLb0EESW_IbLb1EEEEDaSS_ST_EUlSS_E_NS1_11comp_targetILNS1_3genE10ELNS1_11target_archE1201ELNS1_3gpuE5ELNS1_3repE0EEENS1_30default_config_static_selectorELNS0_4arch9wavefront6targetE0EEEvT1_
	.globl	_ZN7rocprim17ROCPRIM_400000_NS6detail17trampoline_kernelINS0_14default_configENS1_27scan_by_key_config_selectorIiiEEZZNS1_16scan_by_key_implILNS1_25lookback_scan_determinismE0ELb0ES3_PKiN6hipcub16HIPCUB_304000_NS21ConstantInputIteratorIilEEPiiNSB_3SumENSB_8EqualityEiEE10hipError_tPvRmT2_T3_T4_T5_mT6_T7_P12ihipStream_tbENKUlT_T0_E_clISt17integral_constantIbLb0EESW_IbLb1EEEEDaSS_ST_EUlSS_E_NS1_11comp_targetILNS1_3genE10ELNS1_11target_archE1201ELNS1_3gpuE5ELNS1_3repE0EEENS1_30default_config_static_selectorELNS0_4arch9wavefront6targetE0EEEvT1_
	.p2align	8
	.type	_ZN7rocprim17ROCPRIM_400000_NS6detail17trampoline_kernelINS0_14default_configENS1_27scan_by_key_config_selectorIiiEEZZNS1_16scan_by_key_implILNS1_25lookback_scan_determinismE0ELb0ES3_PKiN6hipcub16HIPCUB_304000_NS21ConstantInputIteratorIilEEPiiNSB_3SumENSB_8EqualityEiEE10hipError_tPvRmT2_T3_T4_T5_mT6_T7_P12ihipStream_tbENKUlT_T0_E_clISt17integral_constantIbLb0EESW_IbLb1EEEEDaSS_ST_EUlSS_E_NS1_11comp_targetILNS1_3genE10ELNS1_11target_archE1201ELNS1_3gpuE5ELNS1_3repE0EEENS1_30default_config_static_selectorELNS0_4arch9wavefront6targetE0EEEvT1_,@function
_ZN7rocprim17ROCPRIM_400000_NS6detail17trampoline_kernelINS0_14default_configENS1_27scan_by_key_config_selectorIiiEEZZNS1_16scan_by_key_implILNS1_25lookback_scan_determinismE0ELb0ES3_PKiN6hipcub16HIPCUB_304000_NS21ConstantInputIteratorIilEEPiiNSB_3SumENSB_8EqualityEiEE10hipError_tPvRmT2_T3_T4_T5_mT6_T7_P12ihipStream_tbENKUlT_T0_E_clISt17integral_constantIbLb0EESW_IbLb1EEEEDaSS_ST_EUlSS_E_NS1_11comp_targetILNS1_3genE10ELNS1_11target_archE1201ELNS1_3gpuE5ELNS1_3repE0EEENS1_30default_config_static_selectorELNS0_4arch9wavefront6targetE0EEEvT1_: ; @_ZN7rocprim17ROCPRIM_400000_NS6detail17trampoline_kernelINS0_14default_configENS1_27scan_by_key_config_selectorIiiEEZZNS1_16scan_by_key_implILNS1_25lookback_scan_determinismE0ELb0ES3_PKiN6hipcub16HIPCUB_304000_NS21ConstantInputIteratorIilEEPiiNSB_3SumENSB_8EqualityEiEE10hipError_tPvRmT2_T3_T4_T5_mT6_T7_P12ihipStream_tbENKUlT_T0_E_clISt17integral_constantIbLb0EESW_IbLb1EEEEDaSS_ST_EUlSS_E_NS1_11comp_targetILNS1_3genE10ELNS1_11target_archE1201ELNS1_3gpuE5ELNS1_3repE0EEENS1_30default_config_static_selectorELNS0_4arch9wavefront6targetE0EEEvT1_
; %bb.0:
	.section	.rodata,"a",@progbits
	.p2align	6, 0x0
	.amdhsa_kernel _ZN7rocprim17ROCPRIM_400000_NS6detail17trampoline_kernelINS0_14default_configENS1_27scan_by_key_config_selectorIiiEEZZNS1_16scan_by_key_implILNS1_25lookback_scan_determinismE0ELb0ES3_PKiN6hipcub16HIPCUB_304000_NS21ConstantInputIteratorIilEEPiiNSB_3SumENSB_8EqualityEiEE10hipError_tPvRmT2_T3_T4_T5_mT6_T7_P12ihipStream_tbENKUlT_T0_E_clISt17integral_constantIbLb0EESW_IbLb1EEEEDaSS_ST_EUlSS_E_NS1_11comp_targetILNS1_3genE10ELNS1_11target_archE1201ELNS1_3gpuE5ELNS1_3repE0EEENS1_30default_config_static_selectorELNS0_4arch9wavefront6targetE0EEEvT1_
		.amdhsa_group_segment_fixed_size 0
		.amdhsa_private_segment_fixed_size 0
		.amdhsa_kernarg_size 120
		.amdhsa_user_sgpr_count 2
		.amdhsa_user_sgpr_dispatch_ptr 0
		.amdhsa_user_sgpr_queue_ptr 0
		.amdhsa_user_sgpr_kernarg_segment_ptr 1
		.amdhsa_user_sgpr_dispatch_id 0
		.amdhsa_user_sgpr_kernarg_preload_length 0
		.amdhsa_user_sgpr_kernarg_preload_offset 0
		.amdhsa_user_sgpr_private_segment_size 0
		.amdhsa_wavefront_size32 1
		.amdhsa_uses_dynamic_stack 0
		.amdhsa_enable_private_segment 0
		.amdhsa_system_sgpr_workgroup_id_x 1
		.amdhsa_system_sgpr_workgroup_id_y 0
		.amdhsa_system_sgpr_workgroup_id_z 0
		.amdhsa_system_sgpr_workgroup_info 0
		.amdhsa_system_vgpr_workitem_id 0
		.amdhsa_next_free_vgpr 1
		.amdhsa_next_free_sgpr 1
		.amdhsa_named_barrier_count 0
		.amdhsa_reserve_vcc 0
		.amdhsa_float_round_mode_32 0
		.amdhsa_float_round_mode_16_64 0
		.amdhsa_float_denorm_mode_32 3
		.amdhsa_float_denorm_mode_16_64 3
		.amdhsa_fp16_overflow 0
		.amdhsa_memory_ordered 1
		.amdhsa_forward_progress 1
		.amdhsa_inst_pref_size 0
		.amdhsa_round_robin_scheduling 0
		.amdhsa_exception_fp_ieee_invalid_op 0
		.amdhsa_exception_fp_denorm_src 0
		.amdhsa_exception_fp_ieee_div_zero 0
		.amdhsa_exception_fp_ieee_overflow 0
		.amdhsa_exception_fp_ieee_underflow 0
		.amdhsa_exception_fp_ieee_inexact 0
		.amdhsa_exception_int_div_zero 0
	.end_amdhsa_kernel
	.section	.text._ZN7rocprim17ROCPRIM_400000_NS6detail17trampoline_kernelINS0_14default_configENS1_27scan_by_key_config_selectorIiiEEZZNS1_16scan_by_key_implILNS1_25lookback_scan_determinismE0ELb0ES3_PKiN6hipcub16HIPCUB_304000_NS21ConstantInputIteratorIilEEPiiNSB_3SumENSB_8EqualityEiEE10hipError_tPvRmT2_T3_T4_T5_mT6_T7_P12ihipStream_tbENKUlT_T0_E_clISt17integral_constantIbLb0EESW_IbLb1EEEEDaSS_ST_EUlSS_E_NS1_11comp_targetILNS1_3genE10ELNS1_11target_archE1201ELNS1_3gpuE5ELNS1_3repE0EEENS1_30default_config_static_selectorELNS0_4arch9wavefront6targetE0EEEvT1_,"axG",@progbits,_ZN7rocprim17ROCPRIM_400000_NS6detail17trampoline_kernelINS0_14default_configENS1_27scan_by_key_config_selectorIiiEEZZNS1_16scan_by_key_implILNS1_25lookback_scan_determinismE0ELb0ES3_PKiN6hipcub16HIPCUB_304000_NS21ConstantInputIteratorIilEEPiiNSB_3SumENSB_8EqualityEiEE10hipError_tPvRmT2_T3_T4_T5_mT6_T7_P12ihipStream_tbENKUlT_T0_E_clISt17integral_constantIbLb0EESW_IbLb1EEEEDaSS_ST_EUlSS_E_NS1_11comp_targetILNS1_3genE10ELNS1_11target_archE1201ELNS1_3gpuE5ELNS1_3repE0EEENS1_30default_config_static_selectorELNS0_4arch9wavefront6targetE0EEEvT1_,comdat
.Lfunc_end44:
	.size	_ZN7rocprim17ROCPRIM_400000_NS6detail17trampoline_kernelINS0_14default_configENS1_27scan_by_key_config_selectorIiiEEZZNS1_16scan_by_key_implILNS1_25lookback_scan_determinismE0ELb0ES3_PKiN6hipcub16HIPCUB_304000_NS21ConstantInputIteratorIilEEPiiNSB_3SumENSB_8EqualityEiEE10hipError_tPvRmT2_T3_T4_T5_mT6_T7_P12ihipStream_tbENKUlT_T0_E_clISt17integral_constantIbLb0EESW_IbLb1EEEEDaSS_ST_EUlSS_E_NS1_11comp_targetILNS1_3genE10ELNS1_11target_archE1201ELNS1_3gpuE5ELNS1_3repE0EEENS1_30default_config_static_selectorELNS0_4arch9wavefront6targetE0EEEvT1_, .Lfunc_end44-_ZN7rocprim17ROCPRIM_400000_NS6detail17trampoline_kernelINS0_14default_configENS1_27scan_by_key_config_selectorIiiEEZZNS1_16scan_by_key_implILNS1_25lookback_scan_determinismE0ELb0ES3_PKiN6hipcub16HIPCUB_304000_NS21ConstantInputIteratorIilEEPiiNSB_3SumENSB_8EqualityEiEE10hipError_tPvRmT2_T3_T4_T5_mT6_T7_P12ihipStream_tbENKUlT_T0_E_clISt17integral_constantIbLb0EESW_IbLb1EEEEDaSS_ST_EUlSS_E_NS1_11comp_targetILNS1_3genE10ELNS1_11target_archE1201ELNS1_3gpuE5ELNS1_3repE0EEENS1_30default_config_static_selectorELNS0_4arch9wavefront6targetE0EEEvT1_
                                        ; -- End function
	.set _ZN7rocprim17ROCPRIM_400000_NS6detail17trampoline_kernelINS0_14default_configENS1_27scan_by_key_config_selectorIiiEEZZNS1_16scan_by_key_implILNS1_25lookback_scan_determinismE0ELb0ES3_PKiN6hipcub16HIPCUB_304000_NS21ConstantInputIteratorIilEEPiiNSB_3SumENSB_8EqualityEiEE10hipError_tPvRmT2_T3_T4_T5_mT6_T7_P12ihipStream_tbENKUlT_T0_E_clISt17integral_constantIbLb0EESW_IbLb1EEEEDaSS_ST_EUlSS_E_NS1_11comp_targetILNS1_3genE10ELNS1_11target_archE1201ELNS1_3gpuE5ELNS1_3repE0EEENS1_30default_config_static_selectorELNS0_4arch9wavefront6targetE0EEEvT1_.num_vgpr, 0
	.set _ZN7rocprim17ROCPRIM_400000_NS6detail17trampoline_kernelINS0_14default_configENS1_27scan_by_key_config_selectorIiiEEZZNS1_16scan_by_key_implILNS1_25lookback_scan_determinismE0ELb0ES3_PKiN6hipcub16HIPCUB_304000_NS21ConstantInputIteratorIilEEPiiNSB_3SumENSB_8EqualityEiEE10hipError_tPvRmT2_T3_T4_T5_mT6_T7_P12ihipStream_tbENKUlT_T0_E_clISt17integral_constantIbLb0EESW_IbLb1EEEEDaSS_ST_EUlSS_E_NS1_11comp_targetILNS1_3genE10ELNS1_11target_archE1201ELNS1_3gpuE5ELNS1_3repE0EEENS1_30default_config_static_selectorELNS0_4arch9wavefront6targetE0EEEvT1_.num_agpr, 0
	.set _ZN7rocprim17ROCPRIM_400000_NS6detail17trampoline_kernelINS0_14default_configENS1_27scan_by_key_config_selectorIiiEEZZNS1_16scan_by_key_implILNS1_25lookback_scan_determinismE0ELb0ES3_PKiN6hipcub16HIPCUB_304000_NS21ConstantInputIteratorIilEEPiiNSB_3SumENSB_8EqualityEiEE10hipError_tPvRmT2_T3_T4_T5_mT6_T7_P12ihipStream_tbENKUlT_T0_E_clISt17integral_constantIbLb0EESW_IbLb1EEEEDaSS_ST_EUlSS_E_NS1_11comp_targetILNS1_3genE10ELNS1_11target_archE1201ELNS1_3gpuE5ELNS1_3repE0EEENS1_30default_config_static_selectorELNS0_4arch9wavefront6targetE0EEEvT1_.numbered_sgpr, 0
	.set _ZN7rocprim17ROCPRIM_400000_NS6detail17trampoline_kernelINS0_14default_configENS1_27scan_by_key_config_selectorIiiEEZZNS1_16scan_by_key_implILNS1_25lookback_scan_determinismE0ELb0ES3_PKiN6hipcub16HIPCUB_304000_NS21ConstantInputIteratorIilEEPiiNSB_3SumENSB_8EqualityEiEE10hipError_tPvRmT2_T3_T4_T5_mT6_T7_P12ihipStream_tbENKUlT_T0_E_clISt17integral_constantIbLb0EESW_IbLb1EEEEDaSS_ST_EUlSS_E_NS1_11comp_targetILNS1_3genE10ELNS1_11target_archE1201ELNS1_3gpuE5ELNS1_3repE0EEENS1_30default_config_static_selectorELNS0_4arch9wavefront6targetE0EEEvT1_.num_named_barrier, 0
	.set _ZN7rocprim17ROCPRIM_400000_NS6detail17trampoline_kernelINS0_14default_configENS1_27scan_by_key_config_selectorIiiEEZZNS1_16scan_by_key_implILNS1_25lookback_scan_determinismE0ELb0ES3_PKiN6hipcub16HIPCUB_304000_NS21ConstantInputIteratorIilEEPiiNSB_3SumENSB_8EqualityEiEE10hipError_tPvRmT2_T3_T4_T5_mT6_T7_P12ihipStream_tbENKUlT_T0_E_clISt17integral_constantIbLb0EESW_IbLb1EEEEDaSS_ST_EUlSS_E_NS1_11comp_targetILNS1_3genE10ELNS1_11target_archE1201ELNS1_3gpuE5ELNS1_3repE0EEENS1_30default_config_static_selectorELNS0_4arch9wavefront6targetE0EEEvT1_.private_seg_size, 0
	.set _ZN7rocprim17ROCPRIM_400000_NS6detail17trampoline_kernelINS0_14default_configENS1_27scan_by_key_config_selectorIiiEEZZNS1_16scan_by_key_implILNS1_25lookback_scan_determinismE0ELb0ES3_PKiN6hipcub16HIPCUB_304000_NS21ConstantInputIteratorIilEEPiiNSB_3SumENSB_8EqualityEiEE10hipError_tPvRmT2_T3_T4_T5_mT6_T7_P12ihipStream_tbENKUlT_T0_E_clISt17integral_constantIbLb0EESW_IbLb1EEEEDaSS_ST_EUlSS_E_NS1_11comp_targetILNS1_3genE10ELNS1_11target_archE1201ELNS1_3gpuE5ELNS1_3repE0EEENS1_30default_config_static_selectorELNS0_4arch9wavefront6targetE0EEEvT1_.uses_vcc, 0
	.set _ZN7rocprim17ROCPRIM_400000_NS6detail17trampoline_kernelINS0_14default_configENS1_27scan_by_key_config_selectorIiiEEZZNS1_16scan_by_key_implILNS1_25lookback_scan_determinismE0ELb0ES3_PKiN6hipcub16HIPCUB_304000_NS21ConstantInputIteratorIilEEPiiNSB_3SumENSB_8EqualityEiEE10hipError_tPvRmT2_T3_T4_T5_mT6_T7_P12ihipStream_tbENKUlT_T0_E_clISt17integral_constantIbLb0EESW_IbLb1EEEEDaSS_ST_EUlSS_E_NS1_11comp_targetILNS1_3genE10ELNS1_11target_archE1201ELNS1_3gpuE5ELNS1_3repE0EEENS1_30default_config_static_selectorELNS0_4arch9wavefront6targetE0EEEvT1_.uses_flat_scratch, 0
	.set _ZN7rocprim17ROCPRIM_400000_NS6detail17trampoline_kernelINS0_14default_configENS1_27scan_by_key_config_selectorIiiEEZZNS1_16scan_by_key_implILNS1_25lookback_scan_determinismE0ELb0ES3_PKiN6hipcub16HIPCUB_304000_NS21ConstantInputIteratorIilEEPiiNSB_3SumENSB_8EqualityEiEE10hipError_tPvRmT2_T3_T4_T5_mT6_T7_P12ihipStream_tbENKUlT_T0_E_clISt17integral_constantIbLb0EESW_IbLb1EEEEDaSS_ST_EUlSS_E_NS1_11comp_targetILNS1_3genE10ELNS1_11target_archE1201ELNS1_3gpuE5ELNS1_3repE0EEENS1_30default_config_static_selectorELNS0_4arch9wavefront6targetE0EEEvT1_.has_dyn_sized_stack, 0
	.set _ZN7rocprim17ROCPRIM_400000_NS6detail17trampoline_kernelINS0_14default_configENS1_27scan_by_key_config_selectorIiiEEZZNS1_16scan_by_key_implILNS1_25lookback_scan_determinismE0ELb0ES3_PKiN6hipcub16HIPCUB_304000_NS21ConstantInputIteratorIilEEPiiNSB_3SumENSB_8EqualityEiEE10hipError_tPvRmT2_T3_T4_T5_mT6_T7_P12ihipStream_tbENKUlT_T0_E_clISt17integral_constantIbLb0EESW_IbLb1EEEEDaSS_ST_EUlSS_E_NS1_11comp_targetILNS1_3genE10ELNS1_11target_archE1201ELNS1_3gpuE5ELNS1_3repE0EEENS1_30default_config_static_selectorELNS0_4arch9wavefront6targetE0EEEvT1_.has_recursion, 0
	.set _ZN7rocprim17ROCPRIM_400000_NS6detail17trampoline_kernelINS0_14default_configENS1_27scan_by_key_config_selectorIiiEEZZNS1_16scan_by_key_implILNS1_25lookback_scan_determinismE0ELb0ES3_PKiN6hipcub16HIPCUB_304000_NS21ConstantInputIteratorIilEEPiiNSB_3SumENSB_8EqualityEiEE10hipError_tPvRmT2_T3_T4_T5_mT6_T7_P12ihipStream_tbENKUlT_T0_E_clISt17integral_constantIbLb0EESW_IbLb1EEEEDaSS_ST_EUlSS_E_NS1_11comp_targetILNS1_3genE10ELNS1_11target_archE1201ELNS1_3gpuE5ELNS1_3repE0EEENS1_30default_config_static_selectorELNS0_4arch9wavefront6targetE0EEEvT1_.has_indirect_call, 0
	.section	.AMDGPU.csdata,"",@progbits
; Kernel info:
; codeLenInByte = 0
; TotalNumSgprs: 0
; NumVgprs: 0
; ScratchSize: 0
; MemoryBound: 0
; FloatMode: 240
; IeeeMode: 1
; LDSByteSize: 0 bytes/workgroup (compile time only)
; SGPRBlocks: 0
; VGPRBlocks: 0
; NumSGPRsForWavesPerEU: 1
; NumVGPRsForWavesPerEU: 1
; NamedBarCnt: 0
; Occupancy: 16
; WaveLimiterHint : 0
; COMPUTE_PGM_RSRC2:SCRATCH_EN: 0
; COMPUTE_PGM_RSRC2:USER_SGPR: 2
; COMPUTE_PGM_RSRC2:TRAP_HANDLER: 0
; COMPUTE_PGM_RSRC2:TGID_X_EN: 1
; COMPUTE_PGM_RSRC2:TGID_Y_EN: 0
; COMPUTE_PGM_RSRC2:TGID_Z_EN: 0
; COMPUTE_PGM_RSRC2:TIDIG_COMP_CNT: 0
	.section	.text._ZN7rocprim17ROCPRIM_400000_NS6detail17trampoline_kernelINS0_14default_configENS1_27scan_by_key_config_selectorIiiEEZZNS1_16scan_by_key_implILNS1_25lookback_scan_determinismE0ELb0ES3_PKiN6hipcub16HIPCUB_304000_NS21ConstantInputIteratorIilEEPiiNSB_3SumENSB_8EqualityEiEE10hipError_tPvRmT2_T3_T4_T5_mT6_T7_P12ihipStream_tbENKUlT_T0_E_clISt17integral_constantIbLb0EESW_IbLb1EEEEDaSS_ST_EUlSS_E_NS1_11comp_targetILNS1_3genE5ELNS1_11target_archE942ELNS1_3gpuE9ELNS1_3repE0EEENS1_30default_config_static_selectorELNS0_4arch9wavefront6targetE0EEEvT1_,"axG",@progbits,_ZN7rocprim17ROCPRIM_400000_NS6detail17trampoline_kernelINS0_14default_configENS1_27scan_by_key_config_selectorIiiEEZZNS1_16scan_by_key_implILNS1_25lookback_scan_determinismE0ELb0ES3_PKiN6hipcub16HIPCUB_304000_NS21ConstantInputIteratorIilEEPiiNSB_3SumENSB_8EqualityEiEE10hipError_tPvRmT2_T3_T4_T5_mT6_T7_P12ihipStream_tbENKUlT_T0_E_clISt17integral_constantIbLb0EESW_IbLb1EEEEDaSS_ST_EUlSS_E_NS1_11comp_targetILNS1_3genE5ELNS1_11target_archE942ELNS1_3gpuE9ELNS1_3repE0EEENS1_30default_config_static_selectorELNS0_4arch9wavefront6targetE0EEEvT1_,comdat
	.protected	_ZN7rocprim17ROCPRIM_400000_NS6detail17trampoline_kernelINS0_14default_configENS1_27scan_by_key_config_selectorIiiEEZZNS1_16scan_by_key_implILNS1_25lookback_scan_determinismE0ELb0ES3_PKiN6hipcub16HIPCUB_304000_NS21ConstantInputIteratorIilEEPiiNSB_3SumENSB_8EqualityEiEE10hipError_tPvRmT2_T3_T4_T5_mT6_T7_P12ihipStream_tbENKUlT_T0_E_clISt17integral_constantIbLb0EESW_IbLb1EEEEDaSS_ST_EUlSS_E_NS1_11comp_targetILNS1_3genE5ELNS1_11target_archE942ELNS1_3gpuE9ELNS1_3repE0EEENS1_30default_config_static_selectorELNS0_4arch9wavefront6targetE0EEEvT1_ ; -- Begin function _ZN7rocprim17ROCPRIM_400000_NS6detail17trampoline_kernelINS0_14default_configENS1_27scan_by_key_config_selectorIiiEEZZNS1_16scan_by_key_implILNS1_25lookback_scan_determinismE0ELb0ES3_PKiN6hipcub16HIPCUB_304000_NS21ConstantInputIteratorIilEEPiiNSB_3SumENSB_8EqualityEiEE10hipError_tPvRmT2_T3_T4_T5_mT6_T7_P12ihipStream_tbENKUlT_T0_E_clISt17integral_constantIbLb0EESW_IbLb1EEEEDaSS_ST_EUlSS_E_NS1_11comp_targetILNS1_3genE5ELNS1_11target_archE942ELNS1_3gpuE9ELNS1_3repE0EEENS1_30default_config_static_selectorELNS0_4arch9wavefront6targetE0EEEvT1_
	.globl	_ZN7rocprim17ROCPRIM_400000_NS6detail17trampoline_kernelINS0_14default_configENS1_27scan_by_key_config_selectorIiiEEZZNS1_16scan_by_key_implILNS1_25lookback_scan_determinismE0ELb0ES3_PKiN6hipcub16HIPCUB_304000_NS21ConstantInputIteratorIilEEPiiNSB_3SumENSB_8EqualityEiEE10hipError_tPvRmT2_T3_T4_T5_mT6_T7_P12ihipStream_tbENKUlT_T0_E_clISt17integral_constantIbLb0EESW_IbLb1EEEEDaSS_ST_EUlSS_E_NS1_11comp_targetILNS1_3genE5ELNS1_11target_archE942ELNS1_3gpuE9ELNS1_3repE0EEENS1_30default_config_static_selectorELNS0_4arch9wavefront6targetE0EEEvT1_
	.p2align	8
	.type	_ZN7rocprim17ROCPRIM_400000_NS6detail17trampoline_kernelINS0_14default_configENS1_27scan_by_key_config_selectorIiiEEZZNS1_16scan_by_key_implILNS1_25lookback_scan_determinismE0ELb0ES3_PKiN6hipcub16HIPCUB_304000_NS21ConstantInputIteratorIilEEPiiNSB_3SumENSB_8EqualityEiEE10hipError_tPvRmT2_T3_T4_T5_mT6_T7_P12ihipStream_tbENKUlT_T0_E_clISt17integral_constantIbLb0EESW_IbLb1EEEEDaSS_ST_EUlSS_E_NS1_11comp_targetILNS1_3genE5ELNS1_11target_archE942ELNS1_3gpuE9ELNS1_3repE0EEENS1_30default_config_static_selectorELNS0_4arch9wavefront6targetE0EEEvT1_,@function
_ZN7rocprim17ROCPRIM_400000_NS6detail17trampoline_kernelINS0_14default_configENS1_27scan_by_key_config_selectorIiiEEZZNS1_16scan_by_key_implILNS1_25lookback_scan_determinismE0ELb0ES3_PKiN6hipcub16HIPCUB_304000_NS21ConstantInputIteratorIilEEPiiNSB_3SumENSB_8EqualityEiEE10hipError_tPvRmT2_T3_T4_T5_mT6_T7_P12ihipStream_tbENKUlT_T0_E_clISt17integral_constantIbLb0EESW_IbLb1EEEEDaSS_ST_EUlSS_E_NS1_11comp_targetILNS1_3genE5ELNS1_11target_archE942ELNS1_3gpuE9ELNS1_3repE0EEENS1_30default_config_static_selectorELNS0_4arch9wavefront6targetE0EEEvT1_: ; @_ZN7rocprim17ROCPRIM_400000_NS6detail17trampoline_kernelINS0_14default_configENS1_27scan_by_key_config_selectorIiiEEZZNS1_16scan_by_key_implILNS1_25lookback_scan_determinismE0ELb0ES3_PKiN6hipcub16HIPCUB_304000_NS21ConstantInputIteratorIilEEPiiNSB_3SumENSB_8EqualityEiEE10hipError_tPvRmT2_T3_T4_T5_mT6_T7_P12ihipStream_tbENKUlT_T0_E_clISt17integral_constantIbLb0EESW_IbLb1EEEEDaSS_ST_EUlSS_E_NS1_11comp_targetILNS1_3genE5ELNS1_11target_archE942ELNS1_3gpuE9ELNS1_3repE0EEENS1_30default_config_static_selectorELNS0_4arch9wavefront6targetE0EEEvT1_
; %bb.0:
	.section	.rodata,"a",@progbits
	.p2align	6, 0x0
	.amdhsa_kernel _ZN7rocprim17ROCPRIM_400000_NS6detail17trampoline_kernelINS0_14default_configENS1_27scan_by_key_config_selectorIiiEEZZNS1_16scan_by_key_implILNS1_25lookback_scan_determinismE0ELb0ES3_PKiN6hipcub16HIPCUB_304000_NS21ConstantInputIteratorIilEEPiiNSB_3SumENSB_8EqualityEiEE10hipError_tPvRmT2_T3_T4_T5_mT6_T7_P12ihipStream_tbENKUlT_T0_E_clISt17integral_constantIbLb0EESW_IbLb1EEEEDaSS_ST_EUlSS_E_NS1_11comp_targetILNS1_3genE5ELNS1_11target_archE942ELNS1_3gpuE9ELNS1_3repE0EEENS1_30default_config_static_selectorELNS0_4arch9wavefront6targetE0EEEvT1_
		.amdhsa_group_segment_fixed_size 0
		.amdhsa_private_segment_fixed_size 0
		.amdhsa_kernarg_size 120
		.amdhsa_user_sgpr_count 2
		.amdhsa_user_sgpr_dispatch_ptr 0
		.amdhsa_user_sgpr_queue_ptr 0
		.amdhsa_user_sgpr_kernarg_segment_ptr 1
		.amdhsa_user_sgpr_dispatch_id 0
		.amdhsa_user_sgpr_kernarg_preload_length 0
		.amdhsa_user_sgpr_kernarg_preload_offset 0
		.amdhsa_user_sgpr_private_segment_size 0
		.amdhsa_wavefront_size32 1
		.amdhsa_uses_dynamic_stack 0
		.amdhsa_enable_private_segment 0
		.amdhsa_system_sgpr_workgroup_id_x 1
		.amdhsa_system_sgpr_workgroup_id_y 0
		.amdhsa_system_sgpr_workgroup_id_z 0
		.amdhsa_system_sgpr_workgroup_info 0
		.amdhsa_system_vgpr_workitem_id 0
		.amdhsa_next_free_vgpr 1
		.amdhsa_next_free_sgpr 1
		.amdhsa_named_barrier_count 0
		.amdhsa_reserve_vcc 0
		.amdhsa_float_round_mode_32 0
		.amdhsa_float_round_mode_16_64 0
		.amdhsa_float_denorm_mode_32 3
		.amdhsa_float_denorm_mode_16_64 3
		.amdhsa_fp16_overflow 0
		.amdhsa_memory_ordered 1
		.amdhsa_forward_progress 1
		.amdhsa_inst_pref_size 0
		.amdhsa_round_robin_scheduling 0
		.amdhsa_exception_fp_ieee_invalid_op 0
		.amdhsa_exception_fp_denorm_src 0
		.amdhsa_exception_fp_ieee_div_zero 0
		.amdhsa_exception_fp_ieee_overflow 0
		.amdhsa_exception_fp_ieee_underflow 0
		.amdhsa_exception_fp_ieee_inexact 0
		.amdhsa_exception_int_div_zero 0
	.end_amdhsa_kernel
	.section	.text._ZN7rocprim17ROCPRIM_400000_NS6detail17trampoline_kernelINS0_14default_configENS1_27scan_by_key_config_selectorIiiEEZZNS1_16scan_by_key_implILNS1_25lookback_scan_determinismE0ELb0ES3_PKiN6hipcub16HIPCUB_304000_NS21ConstantInputIteratorIilEEPiiNSB_3SumENSB_8EqualityEiEE10hipError_tPvRmT2_T3_T4_T5_mT6_T7_P12ihipStream_tbENKUlT_T0_E_clISt17integral_constantIbLb0EESW_IbLb1EEEEDaSS_ST_EUlSS_E_NS1_11comp_targetILNS1_3genE5ELNS1_11target_archE942ELNS1_3gpuE9ELNS1_3repE0EEENS1_30default_config_static_selectorELNS0_4arch9wavefront6targetE0EEEvT1_,"axG",@progbits,_ZN7rocprim17ROCPRIM_400000_NS6detail17trampoline_kernelINS0_14default_configENS1_27scan_by_key_config_selectorIiiEEZZNS1_16scan_by_key_implILNS1_25lookback_scan_determinismE0ELb0ES3_PKiN6hipcub16HIPCUB_304000_NS21ConstantInputIteratorIilEEPiiNSB_3SumENSB_8EqualityEiEE10hipError_tPvRmT2_T3_T4_T5_mT6_T7_P12ihipStream_tbENKUlT_T0_E_clISt17integral_constantIbLb0EESW_IbLb1EEEEDaSS_ST_EUlSS_E_NS1_11comp_targetILNS1_3genE5ELNS1_11target_archE942ELNS1_3gpuE9ELNS1_3repE0EEENS1_30default_config_static_selectorELNS0_4arch9wavefront6targetE0EEEvT1_,comdat
.Lfunc_end45:
	.size	_ZN7rocprim17ROCPRIM_400000_NS6detail17trampoline_kernelINS0_14default_configENS1_27scan_by_key_config_selectorIiiEEZZNS1_16scan_by_key_implILNS1_25lookback_scan_determinismE0ELb0ES3_PKiN6hipcub16HIPCUB_304000_NS21ConstantInputIteratorIilEEPiiNSB_3SumENSB_8EqualityEiEE10hipError_tPvRmT2_T3_T4_T5_mT6_T7_P12ihipStream_tbENKUlT_T0_E_clISt17integral_constantIbLb0EESW_IbLb1EEEEDaSS_ST_EUlSS_E_NS1_11comp_targetILNS1_3genE5ELNS1_11target_archE942ELNS1_3gpuE9ELNS1_3repE0EEENS1_30default_config_static_selectorELNS0_4arch9wavefront6targetE0EEEvT1_, .Lfunc_end45-_ZN7rocprim17ROCPRIM_400000_NS6detail17trampoline_kernelINS0_14default_configENS1_27scan_by_key_config_selectorIiiEEZZNS1_16scan_by_key_implILNS1_25lookback_scan_determinismE0ELb0ES3_PKiN6hipcub16HIPCUB_304000_NS21ConstantInputIteratorIilEEPiiNSB_3SumENSB_8EqualityEiEE10hipError_tPvRmT2_T3_T4_T5_mT6_T7_P12ihipStream_tbENKUlT_T0_E_clISt17integral_constantIbLb0EESW_IbLb1EEEEDaSS_ST_EUlSS_E_NS1_11comp_targetILNS1_3genE5ELNS1_11target_archE942ELNS1_3gpuE9ELNS1_3repE0EEENS1_30default_config_static_selectorELNS0_4arch9wavefront6targetE0EEEvT1_
                                        ; -- End function
	.set _ZN7rocprim17ROCPRIM_400000_NS6detail17trampoline_kernelINS0_14default_configENS1_27scan_by_key_config_selectorIiiEEZZNS1_16scan_by_key_implILNS1_25lookback_scan_determinismE0ELb0ES3_PKiN6hipcub16HIPCUB_304000_NS21ConstantInputIteratorIilEEPiiNSB_3SumENSB_8EqualityEiEE10hipError_tPvRmT2_T3_T4_T5_mT6_T7_P12ihipStream_tbENKUlT_T0_E_clISt17integral_constantIbLb0EESW_IbLb1EEEEDaSS_ST_EUlSS_E_NS1_11comp_targetILNS1_3genE5ELNS1_11target_archE942ELNS1_3gpuE9ELNS1_3repE0EEENS1_30default_config_static_selectorELNS0_4arch9wavefront6targetE0EEEvT1_.num_vgpr, 0
	.set _ZN7rocprim17ROCPRIM_400000_NS6detail17trampoline_kernelINS0_14default_configENS1_27scan_by_key_config_selectorIiiEEZZNS1_16scan_by_key_implILNS1_25lookback_scan_determinismE0ELb0ES3_PKiN6hipcub16HIPCUB_304000_NS21ConstantInputIteratorIilEEPiiNSB_3SumENSB_8EqualityEiEE10hipError_tPvRmT2_T3_T4_T5_mT6_T7_P12ihipStream_tbENKUlT_T0_E_clISt17integral_constantIbLb0EESW_IbLb1EEEEDaSS_ST_EUlSS_E_NS1_11comp_targetILNS1_3genE5ELNS1_11target_archE942ELNS1_3gpuE9ELNS1_3repE0EEENS1_30default_config_static_selectorELNS0_4arch9wavefront6targetE0EEEvT1_.num_agpr, 0
	.set _ZN7rocprim17ROCPRIM_400000_NS6detail17trampoline_kernelINS0_14default_configENS1_27scan_by_key_config_selectorIiiEEZZNS1_16scan_by_key_implILNS1_25lookback_scan_determinismE0ELb0ES3_PKiN6hipcub16HIPCUB_304000_NS21ConstantInputIteratorIilEEPiiNSB_3SumENSB_8EqualityEiEE10hipError_tPvRmT2_T3_T4_T5_mT6_T7_P12ihipStream_tbENKUlT_T0_E_clISt17integral_constantIbLb0EESW_IbLb1EEEEDaSS_ST_EUlSS_E_NS1_11comp_targetILNS1_3genE5ELNS1_11target_archE942ELNS1_3gpuE9ELNS1_3repE0EEENS1_30default_config_static_selectorELNS0_4arch9wavefront6targetE0EEEvT1_.numbered_sgpr, 0
	.set _ZN7rocprim17ROCPRIM_400000_NS6detail17trampoline_kernelINS0_14default_configENS1_27scan_by_key_config_selectorIiiEEZZNS1_16scan_by_key_implILNS1_25lookback_scan_determinismE0ELb0ES3_PKiN6hipcub16HIPCUB_304000_NS21ConstantInputIteratorIilEEPiiNSB_3SumENSB_8EqualityEiEE10hipError_tPvRmT2_T3_T4_T5_mT6_T7_P12ihipStream_tbENKUlT_T0_E_clISt17integral_constantIbLb0EESW_IbLb1EEEEDaSS_ST_EUlSS_E_NS1_11comp_targetILNS1_3genE5ELNS1_11target_archE942ELNS1_3gpuE9ELNS1_3repE0EEENS1_30default_config_static_selectorELNS0_4arch9wavefront6targetE0EEEvT1_.num_named_barrier, 0
	.set _ZN7rocprim17ROCPRIM_400000_NS6detail17trampoline_kernelINS0_14default_configENS1_27scan_by_key_config_selectorIiiEEZZNS1_16scan_by_key_implILNS1_25lookback_scan_determinismE0ELb0ES3_PKiN6hipcub16HIPCUB_304000_NS21ConstantInputIteratorIilEEPiiNSB_3SumENSB_8EqualityEiEE10hipError_tPvRmT2_T3_T4_T5_mT6_T7_P12ihipStream_tbENKUlT_T0_E_clISt17integral_constantIbLb0EESW_IbLb1EEEEDaSS_ST_EUlSS_E_NS1_11comp_targetILNS1_3genE5ELNS1_11target_archE942ELNS1_3gpuE9ELNS1_3repE0EEENS1_30default_config_static_selectorELNS0_4arch9wavefront6targetE0EEEvT1_.private_seg_size, 0
	.set _ZN7rocprim17ROCPRIM_400000_NS6detail17trampoline_kernelINS0_14default_configENS1_27scan_by_key_config_selectorIiiEEZZNS1_16scan_by_key_implILNS1_25lookback_scan_determinismE0ELb0ES3_PKiN6hipcub16HIPCUB_304000_NS21ConstantInputIteratorIilEEPiiNSB_3SumENSB_8EqualityEiEE10hipError_tPvRmT2_T3_T4_T5_mT6_T7_P12ihipStream_tbENKUlT_T0_E_clISt17integral_constantIbLb0EESW_IbLb1EEEEDaSS_ST_EUlSS_E_NS1_11comp_targetILNS1_3genE5ELNS1_11target_archE942ELNS1_3gpuE9ELNS1_3repE0EEENS1_30default_config_static_selectorELNS0_4arch9wavefront6targetE0EEEvT1_.uses_vcc, 0
	.set _ZN7rocprim17ROCPRIM_400000_NS6detail17trampoline_kernelINS0_14default_configENS1_27scan_by_key_config_selectorIiiEEZZNS1_16scan_by_key_implILNS1_25lookback_scan_determinismE0ELb0ES3_PKiN6hipcub16HIPCUB_304000_NS21ConstantInputIteratorIilEEPiiNSB_3SumENSB_8EqualityEiEE10hipError_tPvRmT2_T3_T4_T5_mT6_T7_P12ihipStream_tbENKUlT_T0_E_clISt17integral_constantIbLb0EESW_IbLb1EEEEDaSS_ST_EUlSS_E_NS1_11comp_targetILNS1_3genE5ELNS1_11target_archE942ELNS1_3gpuE9ELNS1_3repE0EEENS1_30default_config_static_selectorELNS0_4arch9wavefront6targetE0EEEvT1_.uses_flat_scratch, 0
	.set _ZN7rocprim17ROCPRIM_400000_NS6detail17trampoline_kernelINS0_14default_configENS1_27scan_by_key_config_selectorIiiEEZZNS1_16scan_by_key_implILNS1_25lookback_scan_determinismE0ELb0ES3_PKiN6hipcub16HIPCUB_304000_NS21ConstantInputIteratorIilEEPiiNSB_3SumENSB_8EqualityEiEE10hipError_tPvRmT2_T3_T4_T5_mT6_T7_P12ihipStream_tbENKUlT_T0_E_clISt17integral_constantIbLb0EESW_IbLb1EEEEDaSS_ST_EUlSS_E_NS1_11comp_targetILNS1_3genE5ELNS1_11target_archE942ELNS1_3gpuE9ELNS1_3repE0EEENS1_30default_config_static_selectorELNS0_4arch9wavefront6targetE0EEEvT1_.has_dyn_sized_stack, 0
	.set _ZN7rocprim17ROCPRIM_400000_NS6detail17trampoline_kernelINS0_14default_configENS1_27scan_by_key_config_selectorIiiEEZZNS1_16scan_by_key_implILNS1_25lookback_scan_determinismE0ELb0ES3_PKiN6hipcub16HIPCUB_304000_NS21ConstantInputIteratorIilEEPiiNSB_3SumENSB_8EqualityEiEE10hipError_tPvRmT2_T3_T4_T5_mT6_T7_P12ihipStream_tbENKUlT_T0_E_clISt17integral_constantIbLb0EESW_IbLb1EEEEDaSS_ST_EUlSS_E_NS1_11comp_targetILNS1_3genE5ELNS1_11target_archE942ELNS1_3gpuE9ELNS1_3repE0EEENS1_30default_config_static_selectorELNS0_4arch9wavefront6targetE0EEEvT1_.has_recursion, 0
	.set _ZN7rocprim17ROCPRIM_400000_NS6detail17trampoline_kernelINS0_14default_configENS1_27scan_by_key_config_selectorIiiEEZZNS1_16scan_by_key_implILNS1_25lookback_scan_determinismE0ELb0ES3_PKiN6hipcub16HIPCUB_304000_NS21ConstantInputIteratorIilEEPiiNSB_3SumENSB_8EqualityEiEE10hipError_tPvRmT2_T3_T4_T5_mT6_T7_P12ihipStream_tbENKUlT_T0_E_clISt17integral_constantIbLb0EESW_IbLb1EEEEDaSS_ST_EUlSS_E_NS1_11comp_targetILNS1_3genE5ELNS1_11target_archE942ELNS1_3gpuE9ELNS1_3repE0EEENS1_30default_config_static_selectorELNS0_4arch9wavefront6targetE0EEEvT1_.has_indirect_call, 0
	.section	.AMDGPU.csdata,"",@progbits
; Kernel info:
; codeLenInByte = 0
; TotalNumSgprs: 0
; NumVgprs: 0
; ScratchSize: 0
; MemoryBound: 0
; FloatMode: 240
; IeeeMode: 1
; LDSByteSize: 0 bytes/workgroup (compile time only)
; SGPRBlocks: 0
; VGPRBlocks: 0
; NumSGPRsForWavesPerEU: 1
; NumVGPRsForWavesPerEU: 1
; NamedBarCnt: 0
; Occupancy: 16
; WaveLimiterHint : 0
; COMPUTE_PGM_RSRC2:SCRATCH_EN: 0
; COMPUTE_PGM_RSRC2:USER_SGPR: 2
; COMPUTE_PGM_RSRC2:TRAP_HANDLER: 0
; COMPUTE_PGM_RSRC2:TGID_X_EN: 1
; COMPUTE_PGM_RSRC2:TGID_Y_EN: 0
; COMPUTE_PGM_RSRC2:TGID_Z_EN: 0
; COMPUTE_PGM_RSRC2:TIDIG_COMP_CNT: 0
	.section	.text._ZN7rocprim17ROCPRIM_400000_NS6detail17trampoline_kernelINS0_14default_configENS1_27scan_by_key_config_selectorIiiEEZZNS1_16scan_by_key_implILNS1_25lookback_scan_determinismE0ELb0ES3_PKiN6hipcub16HIPCUB_304000_NS21ConstantInputIteratorIilEEPiiNSB_3SumENSB_8EqualityEiEE10hipError_tPvRmT2_T3_T4_T5_mT6_T7_P12ihipStream_tbENKUlT_T0_E_clISt17integral_constantIbLb0EESW_IbLb1EEEEDaSS_ST_EUlSS_E_NS1_11comp_targetILNS1_3genE4ELNS1_11target_archE910ELNS1_3gpuE8ELNS1_3repE0EEENS1_30default_config_static_selectorELNS0_4arch9wavefront6targetE0EEEvT1_,"axG",@progbits,_ZN7rocprim17ROCPRIM_400000_NS6detail17trampoline_kernelINS0_14default_configENS1_27scan_by_key_config_selectorIiiEEZZNS1_16scan_by_key_implILNS1_25lookback_scan_determinismE0ELb0ES3_PKiN6hipcub16HIPCUB_304000_NS21ConstantInputIteratorIilEEPiiNSB_3SumENSB_8EqualityEiEE10hipError_tPvRmT2_T3_T4_T5_mT6_T7_P12ihipStream_tbENKUlT_T0_E_clISt17integral_constantIbLb0EESW_IbLb1EEEEDaSS_ST_EUlSS_E_NS1_11comp_targetILNS1_3genE4ELNS1_11target_archE910ELNS1_3gpuE8ELNS1_3repE0EEENS1_30default_config_static_selectorELNS0_4arch9wavefront6targetE0EEEvT1_,comdat
	.protected	_ZN7rocprim17ROCPRIM_400000_NS6detail17trampoline_kernelINS0_14default_configENS1_27scan_by_key_config_selectorIiiEEZZNS1_16scan_by_key_implILNS1_25lookback_scan_determinismE0ELb0ES3_PKiN6hipcub16HIPCUB_304000_NS21ConstantInputIteratorIilEEPiiNSB_3SumENSB_8EqualityEiEE10hipError_tPvRmT2_T3_T4_T5_mT6_T7_P12ihipStream_tbENKUlT_T0_E_clISt17integral_constantIbLb0EESW_IbLb1EEEEDaSS_ST_EUlSS_E_NS1_11comp_targetILNS1_3genE4ELNS1_11target_archE910ELNS1_3gpuE8ELNS1_3repE0EEENS1_30default_config_static_selectorELNS0_4arch9wavefront6targetE0EEEvT1_ ; -- Begin function _ZN7rocprim17ROCPRIM_400000_NS6detail17trampoline_kernelINS0_14default_configENS1_27scan_by_key_config_selectorIiiEEZZNS1_16scan_by_key_implILNS1_25lookback_scan_determinismE0ELb0ES3_PKiN6hipcub16HIPCUB_304000_NS21ConstantInputIteratorIilEEPiiNSB_3SumENSB_8EqualityEiEE10hipError_tPvRmT2_T3_T4_T5_mT6_T7_P12ihipStream_tbENKUlT_T0_E_clISt17integral_constantIbLb0EESW_IbLb1EEEEDaSS_ST_EUlSS_E_NS1_11comp_targetILNS1_3genE4ELNS1_11target_archE910ELNS1_3gpuE8ELNS1_3repE0EEENS1_30default_config_static_selectorELNS0_4arch9wavefront6targetE0EEEvT1_
	.globl	_ZN7rocprim17ROCPRIM_400000_NS6detail17trampoline_kernelINS0_14default_configENS1_27scan_by_key_config_selectorIiiEEZZNS1_16scan_by_key_implILNS1_25lookback_scan_determinismE0ELb0ES3_PKiN6hipcub16HIPCUB_304000_NS21ConstantInputIteratorIilEEPiiNSB_3SumENSB_8EqualityEiEE10hipError_tPvRmT2_T3_T4_T5_mT6_T7_P12ihipStream_tbENKUlT_T0_E_clISt17integral_constantIbLb0EESW_IbLb1EEEEDaSS_ST_EUlSS_E_NS1_11comp_targetILNS1_3genE4ELNS1_11target_archE910ELNS1_3gpuE8ELNS1_3repE0EEENS1_30default_config_static_selectorELNS0_4arch9wavefront6targetE0EEEvT1_
	.p2align	8
	.type	_ZN7rocprim17ROCPRIM_400000_NS6detail17trampoline_kernelINS0_14default_configENS1_27scan_by_key_config_selectorIiiEEZZNS1_16scan_by_key_implILNS1_25lookback_scan_determinismE0ELb0ES3_PKiN6hipcub16HIPCUB_304000_NS21ConstantInputIteratorIilEEPiiNSB_3SumENSB_8EqualityEiEE10hipError_tPvRmT2_T3_T4_T5_mT6_T7_P12ihipStream_tbENKUlT_T0_E_clISt17integral_constantIbLb0EESW_IbLb1EEEEDaSS_ST_EUlSS_E_NS1_11comp_targetILNS1_3genE4ELNS1_11target_archE910ELNS1_3gpuE8ELNS1_3repE0EEENS1_30default_config_static_selectorELNS0_4arch9wavefront6targetE0EEEvT1_,@function
_ZN7rocprim17ROCPRIM_400000_NS6detail17trampoline_kernelINS0_14default_configENS1_27scan_by_key_config_selectorIiiEEZZNS1_16scan_by_key_implILNS1_25lookback_scan_determinismE0ELb0ES3_PKiN6hipcub16HIPCUB_304000_NS21ConstantInputIteratorIilEEPiiNSB_3SumENSB_8EqualityEiEE10hipError_tPvRmT2_T3_T4_T5_mT6_T7_P12ihipStream_tbENKUlT_T0_E_clISt17integral_constantIbLb0EESW_IbLb1EEEEDaSS_ST_EUlSS_E_NS1_11comp_targetILNS1_3genE4ELNS1_11target_archE910ELNS1_3gpuE8ELNS1_3repE0EEENS1_30default_config_static_selectorELNS0_4arch9wavefront6targetE0EEEvT1_: ; @_ZN7rocprim17ROCPRIM_400000_NS6detail17trampoline_kernelINS0_14default_configENS1_27scan_by_key_config_selectorIiiEEZZNS1_16scan_by_key_implILNS1_25lookback_scan_determinismE0ELb0ES3_PKiN6hipcub16HIPCUB_304000_NS21ConstantInputIteratorIilEEPiiNSB_3SumENSB_8EqualityEiEE10hipError_tPvRmT2_T3_T4_T5_mT6_T7_P12ihipStream_tbENKUlT_T0_E_clISt17integral_constantIbLb0EESW_IbLb1EEEEDaSS_ST_EUlSS_E_NS1_11comp_targetILNS1_3genE4ELNS1_11target_archE910ELNS1_3gpuE8ELNS1_3repE0EEENS1_30default_config_static_selectorELNS0_4arch9wavefront6targetE0EEEvT1_
; %bb.0:
	.section	.rodata,"a",@progbits
	.p2align	6, 0x0
	.amdhsa_kernel _ZN7rocprim17ROCPRIM_400000_NS6detail17trampoline_kernelINS0_14default_configENS1_27scan_by_key_config_selectorIiiEEZZNS1_16scan_by_key_implILNS1_25lookback_scan_determinismE0ELb0ES3_PKiN6hipcub16HIPCUB_304000_NS21ConstantInputIteratorIilEEPiiNSB_3SumENSB_8EqualityEiEE10hipError_tPvRmT2_T3_T4_T5_mT6_T7_P12ihipStream_tbENKUlT_T0_E_clISt17integral_constantIbLb0EESW_IbLb1EEEEDaSS_ST_EUlSS_E_NS1_11comp_targetILNS1_3genE4ELNS1_11target_archE910ELNS1_3gpuE8ELNS1_3repE0EEENS1_30default_config_static_selectorELNS0_4arch9wavefront6targetE0EEEvT1_
		.amdhsa_group_segment_fixed_size 0
		.amdhsa_private_segment_fixed_size 0
		.amdhsa_kernarg_size 120
		.amdhsa_user_sgpr_count 2
		.amdhsa_user_sgpr_dispatch_ptr 0
		.amdhsa_user_sgpr_queue_ptr 0
		.amdhsa_user_sgpr_kernarg_segment_ptr 1
		.amdhsa_user_sgpr_dispatch_id 0
		.amdhsa_user_sgpr_kernarg_preload_length 0
		.amdhsa_user_sgpr_kernarg_preload_offset 0
		.amdhsa_user_sgpr_private_segment_size 0
		.amdhsa_wavefront_size32 1
		.amdhsa_uses_dynamic_stack 0
		.amdhsa_enable_private_segment 0
		.amdhsa_system_sgpr_workgroup_id_x 1
		.amdhsa_system_sgpr_workgroup_id_y 0
		.amdhsa_system_sgpr_workgroup_id_z 0
		.amdhsa_system_sgpr_workgroup_info 0
		.amdhsa_system_vgpr_workitem_id 0
		.amdhsa_next_free_vgpr 1
		.amdhsa_next_free_sgpr 1
		.amdhsa_named_barrier_count 0
		.amdhsa_reserve_vcc 0
		.amdhsa_float_round_mode_32 0
		.amdhsa_float_round_mode_16_64 0
		.amdhsa_float_denorm_mode_32 3
		.amdhsa_float_denorm_mode_16_64 3
		.amdhsa_fp16_overflow 0
		.amdhsa_memory_ordered 1
		.amdhsa_forward_progress 1
		.amdhsa_inst_pref_size 0
		.amdhsa_round_robin_scheduling 0
		.amdhsa_exception_fp_ieee_invalid_op 0
		.amdhsa_exception_fp_denorm_src 0
		.amdhsa_exception_fp_ieee_div_zero 0
		.amdhsa_exception_fp_ieee_overflow 0
		.amdhsa_exception_fp_ieee_underflow 0
		.amdhsa_exception_fp_ieee_inexact 0
		.amdhsa_exception_int_div_zero 0
	.end_amdhsa_kernel
	.section	.text._ZN7rocprim17ROCPRIM_400000_NS6detail17trampoline_kernelINS0_14default_configENS1_27scan_by_key_config_selectorIiiEEZZNS1_16scan_by_key_implILNS1_25lookback_scan_determinismE0ELb0ES3_PKiN6hipcub16HIPCUB_304000_NS21ConstantInputIteratorIilEEPiiNSB_3SumENSB_8EqualityEiEE10hipError_tPvRmT2_T3_T4_T5_mT6_T7_P12ihipStream_tbENKUlT_T0_E_clISt17integral_constantIbLb0EESW_IbLb1EEEEDaSS_ST_EUlSS_E_NS1_11comp_targetILNS1_3genE4ELNS1_11target_archE910ELNS1_3gpuE8ELNS1_3repE0EEENS1_30default_config_static_selectorELNS0_4arch9wavefront6targetE0EEEvT1_,"axG",@progbits,_ZN7rocprim17ROCPRIM_400000_NS6detail17trampoline_kernelINS0_14default_configENS1_27scan_by_key_config_selectorIiiEEZZNS1_16scan_by_key_implILNS1_25lookback_scan_determinismE0ELb0ES3_PKiN6hipcub16HIPCUB_304000_NS21ConstantInputIteratorIilEEPiiNSB_3SumENSB_8EqualityEiEE10hipError_tPvRmT2_T3_T4_T5_mT6_T7_P12ihipStream_tbENKUlT_T0_E_clISt17integral_constantIbLb0EESW_IbLb1EEEEDaSS_ST_EUlSS_E_NS1_11comp_targetILNS1_3genE4ELNS1_11target_archE910ELNS1_3gpuE8ELNS1_3repE0EEENS1_30default_config_static_selectorELNS0_4arch9wavefront6targetE0EEEvT1_,comdat
.Lfunc_end46:
	.size	_ZN7rocprim17ROCPRIM_400000_NS6detail17trampoline_kernelINS0_14default_configENS1_27scan_by_key_config_selectorIiiEEZZNS1_16scan_by_key_implILNS1_25lookback_scan_determinismE0ELb0ES3_PKiN6hipcub16HIPCUB_304000_NS21ConstantInputIteratorIilEEPiiNSB_3SumENSB_8EqualityEiEE10hipError_tPvRmT2_T3_T4_T5_mT6_T7_P12ihipStream_tbENKUlT_T0_E_clISt17integral_constantIbLb0EESW_IbLb1EEEEDaSS_ST_EUlSS_E_NS1_11comp_targetILNS1_3genE4ELNS1_11target_archE910ELNS1_3gpuE8ELNS1_3repE0EEENS1_30default_config_static_selectorELNS0_4arch9wavefront6targetE0EEEvT1_, .Lfunc_end46-_ZN7rocprim17ROCPRIM_400000_NS6detail17trampoline_kernelINS0_14default_configENS1_27scan_by_key_config_selectorIiiEEZZNS1_16scan_by_key_implILNS1_25lookback_scan_determinismE0ELb0ES3_PKiN6hipcub16HIPCUB_304000_NS21ConstantInputIteratorIilEEPiiNSB_3SumENSB_8EqualityEiEE10hipError_tPvRmT2_T3_T4_T5_mT6_T7_P12ihipStream_tbENKUlT_T0_E_clISt17integral_constantIbLb0EESW_IbLb1EEEEDaSS_ST_EUlSS_E_NS1_11comp_targetILNS1_3genE4ELNS1_11target_archE910ELNS1_3gpuE8ELNS1_3repE0EEENS1_30default_config_static_selectorELNS0_4arch9wavefront6targetE0EEEvT1_
                                        ; -- End function
	.set _ZN7rocprim17ROCPRIM_400000_NS6detail17trampoline_kernelINS0_14default_configENS1_27scan_by_key_config_selectorIiiEEZZNS1_16scan_by_key_implILNS1_25lookback_scan_determinismE0ELb0ES3_PKiN6hipcub16HIPCUB_304000_NS21ConstantInputIteratorIilEEPiiNSB_3SumENSB_8EqualityEiEE10hipError_tPvRmT2_T3_T4_T5_mT6_T7_P12ihipStream_tbENKUlT_T0_E_clISt17integral_constantIbLb0EESW_IbLb1EEEEDaSS_ST_EUlSS_E_NS1_11comp_targetILNS1_3genE4ELNS1_11target_archE910ELNS1_3gpuE8ELNS1_3repE0EEENS1_30default_config_static_selectorELNS0_4arch9wavefront6targetE0EEEvT1_.num_vgpr, 0
	.set _ZN7rocprim17ROCPRIM_400000_NS6detail17trampoline_kernelINS0_14default_configENS1_27scan_by_key_config_selectorIiiEEZZNS1_16scan_by_key_implILNS1_25lookback_scan_determinismE0ELb0ES3_PKiN6hipcub16HIPCUB_304000_NS21ConstantInputIteratorIilEEPiiNSB_3SumENSB_8EqualityEiEE10hipError_tPvRmT2_T3_T4_T5_mT6_T7_P12ihipStream_tbENKUlT_T0_E_clISt17integral_constantIbLb0EESW_IbLb1EEEEDaSS_ST_EUlSS_E_NS1_11comp_targetILNS1_3genE4ELNS1_11target_archE910ELNS1_3gpuE8ELNS1_3repE0EEENS1_30default_config_static_selectorELNS0_4arch9wavefront6targetE0EEEvT1_.num_agpr, 0
	.set _ZN7rocprim17ROCPRIM_400000_NS6detail17trampoline_kernelINS0_14default_configENS1_27scan_by_key_config_selectorIiiEEZZNS1_16scan_by_key_implILNS1_25lookback_scan_determinismE0ELb0ES3_PKiN6hipcub16HIPCUB_304000_NS21ConstantInputIteratorIilEEPiiNSB_3SumENSB_8EqualityEiEE10hipError_tPvRmT2_T3_T4_T5_mT6_T7_P12ihipStream_tbENKUlT_T0_E_clISt17integral_constantIbLb0EESW_IbLb1EEEEDaSS_ST_EUlSS_E_NS1_11comp_targetILNS1_3genE4ELNS1_11target_archE910ELNS1_3gpuE8ELNS1_3repE0EEENS1_30default_config_static_selectorELNS0_4arch9wavefront6targetE0EEEvT1_.numbered_sgpr, 0
	.set _ZN7rocprim17ROCPRIM_400000_NS6detail17trampoline_kernelINS0_14default_configENS1_27scan_by_key_config_selectorIiiEEZZNS1_16scan_by_key_implILNS1_25lookback_scan_determinismE0ELb0ES3_PKiN6hipcub16HIPCUB_304000_NS21ConstantInputIteratorIilEEPiiNSB_3SumENSB_8EqualityEiEE10hipError_tPvRmT2_T3_T4_T5_mT6_T7_P12ihipStream_tbENKUlT_T0_E_clISt17integral_constantIbLb0EESW_IbLb1EEEEDaSS_ST_EUlSS_E_NS1_11comp_targetILNS1_3genE4ELNS1_11target_archE910ELNS1_3gpuE8ELNS1_3repE0EEENS1_30default_config_static_selectorELNS0_4arch9wavefront6targetE0EEEvT1_.num_named_barrier, 0
	.set _ZN7rocprim17ROCPRIM_400000_NS6detail17trampoline_kernelINS0_14default_configENS1_27scan_by_key_config_selectorIiiEEZZNS1_16scan_by_key_implILNS1_25lookback_scan_determinismE0ELb0ES3_PKiN6hipcub16HIPCUB_304000_NS21ConstantInputIteratorIilEEPiiNSB_3SumENSB_8EqualityEiEE10hipError_tPvRmT2_T3_T4_T5_mT6_T7_P12ihipStream_tbENKUlT_T0_E_clISt17integral_constantIbLb0EESW_IbLb1EEEEDaSS_ST_EUlSS_E_NS1_11comp_targetILNS1_3genE4ELNS1_11target_archE910ELNS1_3gpuE8ELNS1_3repE0EEENS1_30default_config_static_selectorELNS0_4arch9wavefront6targetE0EEEvT1_.private_seg_size, 0
	.set _ZN7rocprim17ROCPRIM_400000_NS6detail17trampoline_kernelINS0_14default_configENS1_27scan_by_key_config_selectorIiiEEZZNS1_16scan_by_key_implILNS1_25lookback_scan_determinismE0ELb0ES3_PKiN6hipcub16HIPCUB_304000_NS21ConstantInputIteratorIilEEPiiNSB_3SumENSB_8EqualityEiEE10hipError_tPvRmT2_T3_T4_T5_mT6_T7_P12ihipStream_tbENKUlT_T0_E_clISt17integral_constantIbLb0EESW_IbLb1EEEEDaSS_ST_EUlSS_E_NS1_11comp_targetILNS1_3genE4ELNS1_11target_archE910ELNS1_3gpuE8ELNS1_3repE0EEENS1_30default_config_static_selectorELNS0_4arch9wavefront6targetE0EEEvT1_.uses_vcc, 0
	.set _ZN7rocprim17ROCPRIM_400000_NS6detail17trampoline_kernelINS0_14default_configENS1_27scan_by_key_config_selectorIiiEEZZNS1_16scan_by_key_implILNS1_25lookback_scan_determinismE0ELb0ES3_PKiN6hipcub16HIPCUB_304000_NS21ConstantInputIteratorIilEEPiiNSB_3SumENSB_8EqualityEiEE10hipError_tPvRmT2_T3_T4_T5_mT6_T7_P12ihipStream_tbENKUlT_T0_E_clISt17integral_constantIbLb0EESW_IbLb1EEEEDaSS_ST_EUlSS_E_NS1_11comp_targetILNS1_3genE4ELNS1_11target_archE910ELNS1_3gpuE8ELNS1_3repE0EEENS1_30default_config_static_selectorELNS0_4arch9wavefront6targetE0EEEvT1_.uses_flat_scratch, 0
	.set _ZN7rocprim17ROCPRIM_400000_NS6detail17trampoline_kernelINS0_14default_configENS1_27scan_by_key_config_selectorIiiEEZZNS1_16scan_by_key_implILNS1_25lookback_scan_determinismE0ELb0ES3_PKiN6hipcub16HIPCUB_304000_NS21ConstantInputIteratorIilEEPiiNSB_3SumENSB_8EqualityEiEE10hipError_tPvRmT2_T3_T4_T5_mT6_T7_P12ihipStream_tbENKUlT_T0_E_clISt17integral_constantIbLb0EESW_IbLb1EEEEDaSS_ST_EUlSS_E_NS1_11comp_targetILNS1_3genE4ELNS1_11target_archE910ELNS1_3gpuE8ELNS1_3repE0EEENS1_30default_config_static_selectorELNS0_4arch9wavefront6targetE0EEEvT1_.has_dyn_sized_stack, 0
	.set _ZN7rocprim17ROCPRIM_400000_NS6detail17trampoline_kernelINS0_14default_configENS1_27scan_by_key_config_selectorIiiEEZZNS1_16scan_by_key_implILNS1_25lookback_scan_determinismE0ELb0ES3_PKiN6hipcub16HIPCUB_304000_NS21ConstantInputIteratorIilEEPiiNSB_3SumENSB_8EqualityEiEE10hipError_tPvRmT2_T3_T4_T5_mT6_T7_P12ihipStream_tbENKUlT_T0_E_clISt17integral_constantIbLb0EESW_IbLb1EEEEDaSS_ST_EUlSS_E_NS1_11comp_targetILNS1_3genE4ELNS1_11target_archE910ELNS1_3gpuE8ELNS1_3repE0EEENS1_30default_config_static_selectorELNS0_4arch9wavefront6targetE0EEEvT1_.has_recursion, 0
	.set _ZN7rocprim17ROCPRIM_400000_NS6detail17trampoline_kernelINS0_14default_configENS1_27scan_by_key_config_selectorIiiEEZZNS1_16scan_by_key_implILNS1_25lookback_scan_determinismE0ELb0ES3_PKiN6hipcub16HIPCUB_304000_NS21ConstantInputIteratorIilEEPiiNSB_3SumENSB_8EqualityEiEE10hipError_tPvRmT2_T3_T4_T5_mT6_T7_P12ihipStream_tbENKUlT_T0_E_clISt17integral_constantIbLb0EESW_IbLb1EEEEDaSS_ST_EUlSS_E_NS1_11comp_targetILNS1_3genE4ELNS1_11target_archE910ELNS1_3gpuE8ELNS1_3repE0EEENS1_30default_config_static_selectorELNS0_4arch9wavefront6targetE0EEEvT1_.has_indirect_call, 0
	.section	.AMDGPU.csdata,"",@progbits
; Kernel info:
; codeLenInByte = 0
; TotalNumSgprs: 0
; NumVgprs: 0
; ScratchSize: 0
; MemoryBound: 0
; FloatMode: 240
; IeeeMode: 1
; LDSByteSize: 0 bytes/workgroup (compile time only)
; SGPRBlocks: 0
; VGPRBlocks: 0
; NumSGPRsForWavesPerEU: 1
; NumVGPRsForWavesPerEU: 1
; NamedBarCnt: 0
; Occupancy: 16
; WaveLimiterHint : 0
; COMPUTE_PGM_RSRC2:SCRATCH_EN: 0
; COMPUTE_PGM_RSRC2:USER_SGPR: 2
; COMPUTE_PGM_RSRC2:TRAP_HANDLER: 0
; COMPUTE_PGM_RSRC2:TGID_X_EN: 1
; COMPUTE_PGM_RSRC2:TGID_Y_EN: 0
; COMPUTE_PGM_RSRC2:TGID_Z_EN: 0
; COMPUTE_PGM_RSRC2:TIDIG_COMP_CNT: 0
	.section	.text._ZN7rocprim17ROCPRIM_400000_NS6detail17trampoline_kernelINS0_14default_configENS1_27scan_by_key_config_selectorIiiEEZZNS1_16scan_by_key_implILNS1_25lookback_scan_determinismE0ELb0ES3_PKiN6hipcub16HIPCUB_304000_NS21ConstantInputIteratorIilEEPiiNSB_3SumENSB_8EqualityEiEE10hipError_tPvRmT2_T3_T4_T5_mT6_T7_P12ihipStream_tbENKUlT_T0_E_clISt17integral_constantIbLb0EESW_IbLb1EEEEDaSS_ST_EUlSS_E_NS1_11comp_targetILNS1_3genE3ELNS1_11target_archE908ELNS1_3gpuE7ELNS1_3repE0EEENS1_30default_config_static_selectorELNS0_4arch9wavefront6targetE0EEEvT1_,"axG",@progbits,_ZN7rocprim17ROCPRIM_400000_NS6detail17trampoline_kernelINS0_14default_configENS1_27scan_by_key_config_selectorIiiEEZZNS1_16scan_by_key_implILNS1_25lookback_scan_determinismE0ELb0ES3_PKiN6hipcub16HIPCUB_304000_NS21ConstantInputIteratorIilEEPiiNSB_3SumENSB_8EqualityEiEE10hipError_tPvRmT2_T3_T4_T5_mT6_T7_P12ihipStream_tbENKUlT_T0_E_clISt17integral_constantIbLb0EESW_IbLb1EEEEDaSS_ST_EUlSS_E_NS1_11comp_targetILNS1_3genE3ELNS1_11target_archE908ELNS1_3gpuE7ELNS1_3repE0EEENS1_30default_config_static_selectorELNS0_4arch9wavefront6targetE0EEEvT1_,comdat
	.protected	_ZN7rocprim17ROCPRIM_400000_NS6detail17trampoline_kernelINS0_14default_configENS1_27scan_by_key_config_selectorIiiEEZZNS1_16scan_by_key_implILNS1_25lookback_scan_determinismE0ELb0ES3_PKiN6hipcub16HIPCUB_304000_NS21ConstantInputIteratorIilEEPiiNSB_3SumENSB_8EqualityEiEE10hipError_tPvRmT2_T3_T4_T5_mT6_T7_P12ihipStream_tbENKUlT_T0_E_clISt17integral_constantIbLb0EESW_IbLb1EEEEDaSS_ST_EUlSS_E_NS1_11comp_targetILNS1_3genE3ELNS1_11target_archE908ELNS1_3gpuE7ELNS1_3repE0EEENS1_30default_config_static_selectorELNS0_4arch9wavefront6targetE0EEEvT1_ ; -- Begin function _ZN7rocprim17ROCPRIM_400000_NS6detail17trampoline_kernelINS0_14default_configENS1_27scan_by_key_config_selectorIiiEEZZNS1_16scan_by_key_implILNS1_25lookback_scan_determinismE0ELb0ES3_PKiN6hipcub16HIPCUB_304000_NS21ConstantInputIteratorIilEEPiiNSB_3SumENSB_8EqualityEiEE10hipError_tPvRmT2_T3_T4_T5_mT6_T7_P12ihipStream_tbENKUlT_T0_E_clISt17integral_constantIbLb0EESW_IbLb1EEEEDaSS_ST_EUlSS_E_NS1_11comp_targetILNS1_3genE3ELNS1_11target_archE908ELNS1_3gpuE7ELNS1_3repE0EEENS1_30default_config_static_selectorELNS0_4arch9wavefront6targetE0EEEvT1_
	.globl	_ZN7rocprim17ROCPRIM_400000_NS6detail17trampoline_kernelINS0_14default_configENS1_27scan_by_key_config_selectorIiiEEZZNS1_16scan_by_key_implILNS1_25lookback_scan_determinismE0ELb0ES3_PKiN6hipcub16HIPCUB_304000_NS21ConstantInputIteratorIilEEPiiNSB_3SumENSB_8EqualityEiEE10hipError_tPvRmT2_T3_T4_T5_mT6_T7_P12ihipStream_tbENKUlT_T0_E_clISt17integral_constantIbLb0EESW_IbLb1EEEEDaSS_ST_EUlSS_E_NS1_11comp_targetILNS1_3genE3ELNS1_11target_archE908ELNS1_3gpuE7ELNS1_3repE0EEENS1_30default_config_static_selectorELNS0_4arch9wavefront6targetE0EEEvT1_
	.p2align	8
	.type	_ZN7rocprim17ROCPRIM_400000_NS6detail17trampoline_kernelINS0_14default_configENS1_27scan_by_key_config_selectorIiiEEZZNS1_16scan_by_key_implILNS1_25lookback_scan_determinismE0ELb0ES3_PKiN6hipcub16HIPCUB_304000_NS21ConstantInputIteratorIilEEPiiNSB_3SumENSB_8EqualityEiEE10hipError_tPvRmT2_T3_T4_T5_mT6_T7_P12ihipStream_tbENKUlT_T0_E_clISt17integral_constantIbLb0EESW_IbLb1EEEEDaSS_ST_EUlSS_E_NS1_11comp_targetILNS1_3genE3ELNS1_11target_archE908ELNS1_3gpuE7ELNS1_3repE0EEENS1_30default_config_static_selectorELNS0_4arch9wavefront6targetE0EEEvT1_,@function
_ZN7rocprim17ROCPRIM_400000_NS6detail17trampoline_kernelINS0_14default_configENS1_27scan_by_key_config_selectorIiiEEZZNS1_16scan_by_key_implILNS1_25lookback_scan_determinismE0ELb0ES3_PKiN6hipcub16HIPCUB_304000_NS21ConstantInputIteratorIilEEPiiNSB_3SumENSB_8EqualityEiEE10hipError_tPvRmT2_T3_T4_T5_mT6_T7_P12ihipStream_tbENKUlT_T0_E_clISt17integral_constantIbLb0EESW_IbLb1EEEEDaSS_ST_EUlSS_E_NS1_11comp_targetILNS1_3genE3ELNS1_11target_archE908ELNS1_3gpuE7ELNS1_3repE0EEENS1_30default_config_static_selectorELNS0_4arch9wavefront6targetE0EEEvT1_: ; @_ZN7rocprim17ROCPRIM_400000_NS6detail17trampoline_kernelINS0_14default_configENS1_27scan_by_key_config_selectorIiiEEZZNS1_16scan_by_key_implILNS1_25lookback_scan_determinismE0ELb0ES3_PKiN6hipcub16HIPCUB_304000_NS21ConstantInputIteratorIilEEPiiNSB_3SumENSB_8EqualityEiEE10hipError_tPvRmT2_T3_T4_T5_mT6_T7_P12ihipStream_tbENKUlT_T0_E_clISt17integral_constantIbLb0EESW_IbLb1EEEEDaSS_ST_EUlSS_E_NS1_11comp_targetILNS1_3genE3ELNS1_11target_archE908ELNS1_3gpuE7ELNS1_3repE0EEENS1_30default_config_static_selectorELNS0_4arch9wavefront6targetE0EEEvT1_
; %bb.0:
	.section	.rodata,"a",@progbits
	.p2align	6, 0x0
	.amdhsa_kernel _ZN7rocprim17ROCPRIM_400000_NS6detail17trampoline_kernelINS0_14default_configENS1_27scan_by_key_config_selectorIiiEEZZNS1_16scan_by_key_implILNS1_25lookback_scan_determinismE0ELb0ES3_PKiN6hipcub16HIPCUB_304000_NS21ConstantInputIteratorIilEEPiiNSB_3SumENSB_8EqualityEiEE10hipError_tPvRmT2_T3_T4_T5_mT6_T7_P12ihipStream_tbENKUlT_T0_E_clISt17integral_constantIbLb0EESW_IbLb1EEEEDaSS_ST_EUlSS_E_NS1_11comp_targetILNS1_3genE3ELNS1_11target_archE908ELNS1_3gpuE7ELNS1_3repE0EEENS1_30default_config_static_selectorELNS0_4arch9wavefront6targetE0EEEvT1_
		.amdhsa_group_segment_fixed_size 0
		.amdhsa_private_segment_fixed_size 0
		.amdhsa_kernarg_size 120
		.amdhsa_user_sgpr_count 2
		.amdhsa_user_sgpr_dispatch_ptr 0
		.amdhsa_user_sgpr_queue_ptr 0
		.amdhsa_user_sgpr_kernarg_segment_ptr 1
		.amdhsa_user_sgpr_dispatch_id 0
		.amdhsa_user_sgpr_kernarg_preload_length 0
		.amdhsa_user_sgpr_kernarg_preload_offset 0
		.amdhsa_user_sgpr_private_segment_size 0
		.amdhsa_wavefront_size32 1
		.amdhsa_uses_dynamic_stack 0
		.amdhsa_enable_private_segment 0
		.amdhsa_system_sgpr_workgroup_id_x 1
		.amdhsa_system_sgpr_workgroup_id_y 0
		.amdhsa_system_sgpr_workgroup_id_z 0
		.amdhsa_system_sgpr_workgroup_info 0
		.amdhsa_system_vgpr_workitem_id 0
		.amdhsa_next_free_vgpr 1
		.amdhsa_next_free_sgpr 1
		.amdhsa_named_barrier_count 0
		.amdhsa_reserve_vcc 0
		.amdhsa_float_round_mode_32 0
		.amdhsa_float_round_mode_16_64 0
		.amdhsa_float_denorm_mode_32 3
		.amdhsa_float_denorm_mode_16_64 3
		.amdhsa_fp16_overflow 0
		.amdhsa_memory_ordered 1
		.amdhsa_forward_progress 1
		.amdhsa_inst_pref_size 0
		.amdhsa_round_robin_scheduling 0
		.amdhsa_exception_fp_ieee_invalid_op 0
		.amdhsa_exception_fp_denorm_src 0
		.amdhsa_exception_fp_ieee_div_zero 0
		.amdhsa_exception_fp_ieee_overflow 0
		.amdhsa_exception_fp_ieee_underflow 0
		.amdhsa_exception_fp_ieee_inexact 0
		.amdhsa_exception_int_div_zero 0
	.end_amdhsa_kernel
	.section	.text._ZN7rocprim17ROCPRIM_400000_NS6detail17trampoline_kernelINS0_14default_configENS1_27scan_by_key_config_selectorIiiEEZZNS1_16scan_by_key_implILNS1_25lookback_scan_determinismE0ELb0ES3_PKiN6hipcub16HIPCUB_304000_NS21ConstantInputIteratorIilEEPiiNSB_3SumENSB_8EqualityEiEE10hipError_tPvRmT2_T3_T4_T5_mT6_T7_P12ihipStream_tbENKUlT_T0_E_clISt17integral_constantIbLb0EESW_IbLb1EEEEDaSS_ST_EUlSS_E_NS1_11comp_targetILNS1_3genE3ELNS1_11target_archE908ELNS1_3gpuE7ELNS1_3repE0EEENS1_30default_config_static_selectorELNS0_4arch9wavefront6targetE0EEEvT1_,"axG",@progbits,_ZN7rocprim17ROCPRIM_400000_NS6detail17trampoline_kernelINS0_14default_configENS1_27scan_by_key_config_selectorIiiEEZZNS1_16scan_by_key_implILNS1_25lookback_scan_determinismE0ELb0ES3_PKiN6hipcub16HIPCUB_304000_NS21ConstantInputIteratorIilEEPiiNSB_3SumENSB_8EqualityEiEE10hipError_tPvRmT2_T3_T4_T5_mT6_T7_P12ihipStream_tbENKUlT_T0_E_clISt17integral_constantIbLb0EESW_IbLb1EEEEDaSS_ST_EUlSS_E_NS1_11comp_targetILNS1_3genE3ELNS1_11target_archE908ELNS1_3gpuE7ELNS1_3repE0EEENS1_30default_config_static_selectorELNS0_4arch9wavefront6targetE0EEEvT1_,comdat
.Lfunc_end47:
	.size	_ZN7rocprim17ROCPRIM_400000_NS6detail17trampoline_kernelINS0_14default_configENS1_27scan_by_key_config_selectorIiiEEZZNS1_16scan_by_key_implILNS1_25lookback_scan_determinismE0ELb0ES3_PKiN6hipcub16HIPCUB_304000_NS21ConstantInputIteratorIilEEPiiNSB_3SumENSB_8EqualityEiEE10hipError_tPvRmT2_T3_T4_T5_mT6_T7_P12ihipStream_tbENKUlT_T0_E_clISt17integral_constantIbLb0EESW_IbLb1EEEEDaSS_ST_EUlSS_E_NS1_11comp_targetILNS1_3genE3ELNS1_11target_archE908ELNS1_3gpuE7ELNS1_3repE0EEENS1_30default_config_static_selectorELNS0_4arch9wavefront6targetE0EEEvT1_, .Lfunc_end47-_ZN7rocprim17ROCPRIM_400000_NS6detail17trampoline_kernelINS0_14default_configENS1_27scan_by_key_config_selectorIiiEEZZNS1_16scan_by_key_implILNS1_25lookback_scan_determinismE0ELb0ES3_PKiN6hipcub16HIPCUB_304000_NS21ConstantInputIteratorIilEEPiiNSB_3SumENSB_8EqualityEiEE10hipError_tPvRmT2_T3_T4_T5_mT6_T7_P12ihipStream_tbENKUlT_T0_E_clISt17integral_constantIbLb0EESW_IbLb1EEEEDaSS_ST_EUlSS_E_NS1_11comp_targetILNS1_3genE3ELNS1_11target_archE908ELNS1_3gpuE7ELNS1_3repE0EEENS1_30default_config_static_selectorELNS0_4arch9wavefront6targetE0EEEvT1_
                                        ; -- End function
	.set _ZN7rocprim17ROCPRIM_400000_NS6detail17trampoline_kernelINS0_14default_configENS1_27scan_by_key_config_selectorIiiEEZZNS1_16scan_by_key_implILNS1_25lookback_scan_determinismE0ELb0ES3_PKiN6hipcub16HIPCUB_304000_NS21ConstantInputIteratorIilEEPiiNSB_3SumENSB_8EqualityEiEE10hipError_tPvRmT2_T3_T4_T5_mT6_T7_P12ihipStream_tbENKUlT_T0_E_clISt17integral_constantIbLb0EESW_IbLb1EEEEDaSS_ST_EUlSS_E_NS1_11comp_targetILNS1_3genE3ELNS1_11target_archE908ELNS1_3gpuE7ELNS1_3repE0EEENS1_30default_config_static_selectorELNS0_4arch9wavefront6targetE0EEEvT1_.num_vgpr, 0
	.set _ZN7rocprim17ROCPRIM_400000_NS6detail17trampoline_kernelINS0_14default_configENS1_27scan_by_key_config_selectorIiiEEZZNS1_16scan_by_key_implILNS1_25lookback_scan_determinismE0ELb0ES3_PKiN6hipcub16HIPCUB_304000_NS21ConstantInputIteratorIilEEPiiNSB_3SumENSB_8EqualityEiEE10hipError_tPvRmT2_T3_T4_T5_mT6_T7_P12ihipStream_tbENKUlT_T0_E_clISt17integral_constantIbLb0EESW_IbLb1EEEEDaSS_ST_EUlSS_E_NS1_11comp_targetILNS1_3genE3ELNS1_11target_archE908ELNS1_3gpuE7ELNS1_3repE0EEENS1_30default_config_static_selectorELNS0_4arch9wavefront6targetE0EEEvT1_.num_agpr, 0
	.set _ZN7rocprim17ROCPRIM_400000_NS6detail17trampoline_kernelINS0_14default_configENS1_27scan_by_key_config_selectorIiiEEZZNS1_16scan_by_key_implILNS1_25lookback_scan_determinismE0ELb0ES3_PKiN6hipcub16HIPCUB_304000_NS21ConstantInputIteratorIilEEPiiNSB_3SumENSB_8EqualityEiEE10hipError_tPvRmT2_T3_T4_T5_mT6_T7_P12ihipStream_tbENKUlT_T0_E_clISt17integral_constantIbLb0EESW_IbLb1EEEEDaSS_ST_EUlSS_E_NS1_11comp_targetILNS1_3genE3ELNS1_11target_archE908ELNS1_3gpuE7ELNS1_3repE0EEENS1_30default_config_static_selectorELNS0_4arch9wavefront6targetE0EEEvT1_.numbered_sgpr, 0
	.set _ZN7rocprim17ROCPRIM_400000_NS6detail17trampoline_kernelINS0_14default_configENS1_27scan_by_key_config_selectorIiiEEZZNS1_16scan_by_key_implILNS1_25lookback_scan_determinismE0ELb0ES3_PKiN6hipcub16HIPCUB_304000_NS21ConstantInputIteratorIilEEPiiNSB_3SumENSB_8EqualityEiEE10hipError_tPvRmT2_T3_T4_T5_mT6_T7_P12ihipStream_tbENKUlT_T0_E_clISt17integral_constantIbLb0EESW_IbLb1EEEEDaSS_ST_EUlSS_E_NS1_11comp_targetILNS1_3genE3ELNS1_11target_archE908ELNS1_3gpuE7ELNS1_3repE0EEENS1_30default_config_static_selectorELNS0_4arch9wavefront6targetE0EEEvT1_.num_named_barrier, 0
	.set _ZN7rocprim17ROCPRIM_400000_NS6detail17trampoline_kernelINS0_14default_configENS1_27scan_by_key_config_selectorIiiEEZZNS1_16scan_by_key_implILNS1_25lookback_scan_determinismE0ELb0ES3_PKiN6hipcub16HIPCUB_304000_NS21ConstantInputIteratorIilEEPiiNSB_3SumENSB_8EqualityEiEE10hipError_tPvRmT2_T3_T4_T5_mT6_T7_P12ihipStream_tbENKUlT_T0_E_clISt17integral_constantIbLb0EESW_IbLb1EEEEDaSS_ST_EUlSS_E_NS1_11comp_targetILNS1_3genE3ELNS1_11target_archE908ELNS1_3gpuE7ELNS1_3repE0EEENS1_30default_config_static_selectorELNS0_4arch9wavefront6targetE0EEEvT1_.private_seg_size, 0
	.set _ZN7rocprim17ROCPRIM_400000_NS6detail17trampoline_kernelINS0_14default_configENS1_27scan_by_key_config_selectorIiiEEZZNS1_16scan_by_key_implILNS1_25lookback_scan_determinismE0ELb0ES3_PKiN6hipcub16HIPCUB_304000_NS21ConstantInputIteratorIilEEPiiNSB_3SumENSB_8EqualityEiEE10hipError_tPvRmT2_T3_T4_T5_mT6_T7_P12ihipStream_tbENKUlT_T0_E_clISt17integral_constantIbLb0EESW_IbLb1EEEEDaSS_ST_EUlSS_E_NS1_11comp_targetILNS1_3genE3ELNS1_11target_archE908ELNS1_3gpuE7ELNS1_3repE0EEENS1_30default_config_static_selectorELNS0_4arch9wavefront6targetE0EEEvT1_.uses_vcc, 0
	.set _ZN7rocprim17ROCPRIM_400000_NS6detail17trampoline_kernelINS0_14default_configENS1_27scan_by_key_config_selectorIiiEEZZNS1_16scan_by_key_implILNS1_25lookback_scan_determinismE0ELb0ES3_PKiN6hipcub16HIPCUB_304000_NS21ConstantInputIteratorIilEEPiiNSB_3SumENSB_8EqualityEiEE10hipError_tPvRmT2_T3_T4_T5_mT6_T7_P12ihipStream_tbENKUlT_T0_E_clISt17integral_constantIbLb0EESW_IbLb1EEEEDaSS_ST_EUlSS_E_NS1_11comp_targetILNS1_3genE3ELNS1_11target_archE908ELNS1_3gpuE7ELNS1_3repE0EEENS1_30default_config_static_selectorELNS0_4arch9wavefront6targetE0EEEvT1_.uses_flat_scratch, 0
	.set _ZN7rocprim17ROCPRIM_400000_NS6detail17trampoline_kernelINS0_14default_configENS1_27scan_by_key_config_selectorIiiEEZZNS1_16scan_by_key_implILNS1_25lookback_scan_determinismE0ELb0ES3_PKiN6hipcub16HIPCUB_304000_NS21ConstantInputIteratorIilEEPiiNSB_3SumENSB_8EqualityEiEE10hipError_tPvRmT2_T3_T4_T5_mT6_T7_P12ihipStream_tbENKUlT_T0_E_clISt17integral_constantIbLb0EESW_IbLb1EEEEDaSS_ST_EUlSS_E_NS1_11comp_targetILNS1_3genE3ELNS1_11target_archE908ELNS1_3gpuE7ELNS1_3repE0EEENS1_30default_config_static_selectorELNS0_4arch9wavefront6targetE0EEEvT1_.has_dyn_sized_stack, 0
	.set _ZN7rocprim17ROCPRIM_400000_NS6detail17trampoline_kernelINS0_14default_configENS1_27scan_by_key_config_selectorIiiEEZZNS1_16scan_by_key_implILNS1_25lookback_scan_determinismE0ELb0ES3_PKiN6hipcub16HIPCUB_304000_NS21ConstantInputIteratorIilEEPiiNSB_3SumENSB_8EqualityEiEE10hipError_tPvRmT2_T3_T4_T5_mT6_T7_P12ihipStream_tbENKUlT_T0_E_clISt17integral_constantIbLb0EESW_IbLb1EEEEDaSS_ST_EUlSS_E_NS1_11comp_targetILNS1_3genE3ELNS1_11target_archE908ELNS1_3gpuE7ELNS1_3repE0EEENS1_30default_config_static_selectorELNS0_4arch9wavefront6targetE0EEEvT1_.has_recursion, 0
	.set _ZN7rocprim17ROCPRIM_400000_NS6detail17trampoline_kernelINS0_14default_configENS1_27scan_by_key_config_selectorIiiEEZZNS1_16scan_by_key_implILNS1_25lookback_scan_determinismE0ELb0ES3_PKiN6hipcub16HIPCUB_304000_NS21ConstantInputIteratorIilEEPiiNSB_3SumENSB_8EqualityEiEE10hipError_tPvRmT2_T3_T4_T5_mT6_T7_P12ihipStream_tbENKUlT_T0_E_clISt17integral_constantIbLb0EESW_IbLb1EEEEDaSS_ST_EUlSS_E_NS1_11comp_targetILNS1_3genE3ELNS1_11target_archE908ELNS1_3gpuE7ELNS1_3repE0EEENS1_30default_config_static_selectorELNS0_4arch9wavefront6targetE0EEEvT1_.has_indirect_call, 0
	.section	.AMDGPU.csdata,"",@progbits
; Kernel info:
; codeLenInByte = 0
; TotalNumSgprs: 0
; NumVgprs: 0
; ScratchSize: 0
; MemoryBound: 0
; FloatMode: 240
; IeeeMode: 1
; LDSByteSize: 0 bytes/workgroup (compile time only)
; SGPRBlocks: 0
; VGPRBlocks: 0
; NumSGPRsForWavesPerEU: 1
; NumVGPRsForWavesPerEU: 1
; NamedBarCnt: 0
; Occupancy: 16
; WaveLimiterHint : 0
; COMPUTE_PGM_RSRC2:SCRATCH_EN: 0
; COMPUTE_PGM_RSRC2:USER_SGPR: 2
; COMPUTE_PGM_RSRC2:TRAP_HANDLER: 0
; COMPUTE_PGM_RSRC2:TGID_X_EN: 1
; COMPUTE_PGM_RSRC2:TGID_Y_EN: 0
; COMPUTE_PGM_RSRC2:TGID_Z_EN: 0
; COMPUTE_PGM_RSRC2:TIDIG_COMP_CNT: 0
	.section	.text._ZN7rocprim17ROCPRIM_400000_NS6detail17trampoline_kernelINS0_14default_configENS1_27scan_by_key_config_selectorIiiEEZZNS1_16scan_by_key_implILNS1_25lookback_scan_determinismE0ELb0ES3_PKiN6hipcub16HIPCUB_304000_NS21ConstantInputIteratorIilEEPiiNSB_3SumENSB_8EqualityEiEE10hipError_tPvRmT2_T3_T4_T5_mT6_T7_P12ihipStream_tbENKUlT_T0_E_clISt17integral_constantIbLb0EESW_IbLb1EEEEDaSS_ST_EUlSS_E_NS1_11comp_targetILNS1_3genE2ELNS1_11target_archE906ELNS1_3gpuE6ELNS1_3repE0EEENS1_30default_config_static_selectorELNS0_4arch9wavefront6targetE0EEEvT1_,"axG",@progbits,_ZN7rocprim17ROCPRIM_400000_NS6detail17trampoline_kernelINS0_14default_configENS1_27scan_by_key_config_selectorIiiEEZZNS1_16scan_by_key_implILNS1_25lookback_scan_determinismE0ELb0ES3_PKiN6hipcub16HIPCUB_304000_NS21ConstantInputIteratorIilEEPiiNSB_3SumENSB_8EqualityEiEE10hipError_tPvRmT2_T3_T4_T5_mT6_T7_P12ihipStream_tbENKUlT_T0_E_clISt17integral_constantIbLb0EESW_IbLb1EEEEDaSS_ST_EUlSS_E_NS1_11comp_targetILNS1_3genE2ELNS1_11target_archE906ELNS1_3gpuE6ELNS1_3repE0EEENS1_30default_config_static_selectorELNS0_4arch9wavefront6targetE0EEEvT1_,comdat
	.protected	_ZN7rocprim17ROCPRIM_400000_NS6detail17trampoline_kernelINS0_14default_configENS1_27scan_by_key_config_selectorIiiEEZZNS1_16scan_by_key_implILNS1_25lookback_scan_determinismE0ELb0ES3_PKiN6hipcub16HIPCUB_304000_NS21ConstantInputIteratorIilEEPiiNSB_3SumENSB_8EqualityEiEE10hipError_tPvRmT2_T3_T4_T5_mT6_T7_P12ihipStream_tbENKUlT_T0_E_clISt17integral_constantIbLb0EESW_IbLb1EEEEDaSS_ST_EUlSS_E_NS1_11comp_targetILNS1_3genE2ELNS1_11target_archE906ELNS1_3gpuE6ELNS1_3repE0EEENS1_30default_config_static_selectorELNS0_4arch9wavefront6targetE0EEEvT1_ ; -- Begin function _ZN7rocprim17ROCPRIM_400000_NS6detail17trampoline_kernelINS0_14default_configENS1_27scan_by_key_config_selectorIiiEEZZNS1_16scan_by_key_implILNS1_25lookback_scan_determinismE0ELb0ES3_PKiN6hipcub16HIPCUB_304000_NS21ConstantInputIteratorIilEEPiiNSB_3SumENSB_8EqualityEiEE10hipError_tPvRmT2_T3_T4_T5_mT6_T7_P12ihipStream_tbENKUlT_T0_E_clISt17integral_constantIbLb0EESW_IbLb1EEEEDaSS_ST_EUlSS_E_NS1_11comp_targetILNS1_3genE2ELNS1_11target_archE906ELNS1_3gpuE6ELNS1_3repE0EEENS1_30default_config_static_selectorELNS0_4arch9wavefront6targetE0EEEvT1_
	.globl	_ZN7rocprim17ROCPRIM_400000_NS6detail17trampoline_kernelINS0_14default_configENS1_27scan_by_key_config_selectorIiiEEZZNS1_16scan_by_key_implILNS1_25lookback_scan_determinismE0ELb0ES3_PKiN6hipcub16HIPCUB_304000_NS21ConstantInputIteratorIilEEPiiNSB_3SumENSB_8EqualityEiEE10hipError_tPvRmT2_T3_T4_T5_mT6_T7_P12ihipStream_tbENKUlT_T0_E_clISt17integral_constantIbLb0EESW_IbLb1EEEEDaSS_ST_EUlSS_E_NS1_11comp_targetILNS1_3genE2ELNS1_11target_archE906ELNS1_3gpuE6ELNS1_3repE0EEENS1_30default_config_static_selectorELNS0_4arch9wavefront6targetE0EEEvT1_
	.p2align	8
	.type	_ZN7rocprim17ROCPRIM_400000_NS6detail17trampoline_kernelINS0_14default_configENS1_27scan_by_key_config_selectorIiiEEZZNS1_16scan_by_key_implILNS1_25lookback_scan_determinismE0ELb0ES3_PKiN6hipcub16HIPCUB_304000_NS21ConstantInputIteratorIilEEPiiNSB_3SumENSB_8EqualityEiEE10hipError_tPvRmT2_T3_T4_T5_mT6_T7_P12ihipStream_tbENKUlT_T0_E_clISt17integral_constantIbLb0EESW_IbLb1EEEEDaSS_ST_EUlSS_E_NS1_11comp_targetILNS1_3genE2ELNS1_11target_archE906ELNS1_3gpuE6ELNS1_3repE0EEENS1_30default_config_static_selectorELNS0_4arch9wavefront6targetE0EEEvT1_,@function
_ZN7rocprim17ROCPRIM_400000_NS6detail17trampoline_kernelINS0_14default_configENS1_27scan_by_key_config_selectorIiiEEZZNS1_16scan_by_key_implILNS1_25lookback_scan_determinismE0ELb0ES3_PKiN6hipcub16HIPCUB_304000_NS21ConstantInputIteratorIilEEPiiNSB_3SumENSB_8EqualityEiEE10hipError_tPvRmT2_T3_T4_T5_mT6_T7_P12ihipStream_tbENKUlT_T0_E_clISt17integral_constantIbLb0EESW_IbLb1EEEEDaSS_ST_EUlSS_E_NS1_11comp_targetILNS1_3genE2ELNS1_11target_archE906ELNS1_3gpuE6ELNS1_3repE0EEENS1_30default_config_static_selectorELNS0_4arch9wavefront6targetE0EEEvT1_: ; @_ZN7rocprim17ROCPRIM_400000_NS6detail17trampoline_kernelINS0_14default_configENS1_27scan_by_key_config_selectorIiiEEZZNS1_16scan_by_key_implILNS1_25lookback_scan_determinismE0ELb0ES3_PKiN6hipcub16HIPCUB_304000_NS21ConstantInputIteratorIilEEPiiNSB_3SumENSB_8EqualityEiEE10hipError_tPvRmT2_T3_T4_T5_mT6_T7_P12ihipStream_tbENKUlT_T0_E_clISt17integral_constantIbLb0EESW_IbLb1EEEEDaSS_ST_EUlSS_E_NS1_11comp_targetILNS1_3genE2ELNS1_11target_archE906ELNS1_3gpuE6ELNS1_3repE0EEENS1_30default_config_static_selectorELNS0_4arch9wavefront6targetE0EEEvT1_
; %bb.0:
	.section	.rodata,"a",@progbits
	.p2align	6, 0x0
	.amdhsa_kernel _ZN7rocprim17ROCPRIM_400000_NS6detail17trampoline_kernelINS0_14default_configENS1_27scan_by_key_config_selectorIiiEEZZNS1_16scan_by_key_implILNS1_25lookback_scan_determinismE0ELb0ES3_PKiN6hipcub16HIPCUB_304000_NS21ConstantInputIteratorIilEEPiiNSB_3SumENSB_8EqualityEiEE10hipError_tPvRmT2_T3_T4_T5_mT6_T7_P12ihipStream_tbENKUlT_T0_E_clISt17integral_constantIbLb0EESW_IbLb1EEEEDaSS_ST_EUlSS_E_NS1_11comp_targetILNS1_3genE2ELNS1_11target_archE906ELNS1_3gpuE6ELNS1_3repE0EEENS1_30default_config_static_selectorELNS0_4arch9wavefront6targetE0EEEvT1_
		.amdhsa_group_segment_fixed_size 0
		.amdhsa_private_segment_fixed_size 0
		.amdhsa_kernarg_size 120
		.amdhsa_user_sgpr_count 2
		.amdhsa_user_sgpr_dispatch_ptr 0
		.amdhsa_user_sgpr_queue_ptr 0
		.amdhsa_user_sgpr_kernarg_segment_ptr 1
		.amdhsa_user_sgpr_dispatch_id 0
		.amdhsa_user_sgpr_kernarg_preload_length 0
		.amdhsa_user_sgpr_kernarg_preload_offset 0
		.amdhsa_user_sgpr_private_segment_size 0
		.amdhsa_wavefront_size32 1
		.amdhsa_uses_dynamic_stack 0
		.amdhsa_enable_private_segment 0
		.amdhsa_system_sgpr_workgroup_id_x 1
		.amdhsa_system_sgpr_workgroup_id_y 0
		.amdhsa_system_sgpr_workgroup_id_z 0
		.amdhsa_system_sgpr_workgroup_info 0
		.amdhsa_system_vgpr_workitem_id 0
		.amdhsa_next_free_vgpr 1
		.amdhsa_next_free_sgpr 1
		.amdhsa_named_barrier_count 0
		.amdhsa_reserve_vcc 0
		.amdhsa_float_round_mode_32 0
		.amdhsa_float_round_mode_16_64 0
		.amdhsa_float_denorm_mode_32 3
		.amdhsa_float_denorm_mode_16_64 3
		.amdhsa_fp16_overflow 0
		.amdhsa_memory_ordered 1
		.amdhsa_forward_progress 1
		.amdhsa_inst_pref_size 0
		.amdhsa_round_robin_scheduling 0
		.amdhsa_exception_fp_ieee_invalid_op 0
		.amdhsa_exception_fp_denorm_src 0
		.amdhsa_exception_fp_ieee_div_zero 0
		.amdhsa_exception_fp_ieee_overflow 0
		.amdhsa_exception_fp_ieee_underflow 0
		.amdhsa_exception_fp_ieee_inexact 0
		.amdhsa_exception_int_div_zero 0
	.end_amdhsa_kernel
	.section	.text._ZN7rocprim17ROCPRIM_400000_NS6detail17trampoline_kernelINS0_14default_configENS1_27scan_by_key_config_selectorIiiEEZZNS1_16scan_by_key_implILNS1_25lookback_scan_determinismE0ELb0ES3_PKiN6hipcub16HIPCUB_304000_NS21ConstantInputIteratorIilEEPiiNSB_3SumENSB_8EqualityEiEE10hipError_tPvRmT2_T3_T4_T5_mT6_T7_P12ihipStream_tbENKUlT_T0_E_clISt17integral_constantIbLb0EESW_IbLb1EEEEDaSS_ST_EUlSS_E_NS1_11comp_targetILNS1_3genE2ELNS1_11target_archE906ELNS1_3gpuE6ELNS1_3repE0EEENS1_30default_config_static_selectorELNS0_4arch9wavefront6targetE0EEEvT1_,"axG",@progbits,_ZN7rocprim17ROCPRIM_400000_NS6detail17trampoline_kernelINS0_14default_configENS1_27scan_by_key_config_selectorIiiEEZZNS1_16scan_by_key_implILNS1_25lookback_scan_determinismE0ELb0ES3_PKiN6hipcub16HIPCUB_304000_NS21ConstantInputIteratorIilEEPiiNSB_3SumENSB_8EqualityEiEE10hipError_tPvRmT2_T3_T4_T5_mT6_T7_P12ihipStream_tbENKUlT_T0_E_clISt17integral_constantIbLb0EESW_IbLb1EEEEDaSS_ST_EUlSS_E_NS1_11comp_targetILNS1_3genE2ELNS1_11target_archE906ELNS1_3gpuE6ELNS1_3repE0EEENS1_30default_config_static_selectorELNS0_4arch9wavefront6targetE0EEEvT1_,comdat
.Lfunc_end48:
	.size	_ZN7rocprim17ROCPRIM_400000_NS6detail17trampoline_kernelINS0_14default_configENS1_27scan_by_key_config_selectorIiiEEZZNS1_16scan_by_key_implILNS1_25lookback_scan_determinismE0ELb0ES3_PKiN6hipcub16HIPCUB_304000_NS21ConstantInputIteratorIilEEPiiNSB_3SumENSB_8EqualityEiEE10hipError_tPvRmT2_T3_T4_T5_mT6_T7_P12ihipStream_tbENKUlT_T0_E_clISt17integral_constantIbLb0EESW_IbLb1EEEEDaSS_ST_EUlSS_E_NS1_11comp_targetILNS1_3genE2ELNS1_11target_archE906ELNS1_3gpuE6ELNS1_3repE0EEENS1_30default_config_static_selectorELNS0_4arch9wavefront6targetE0EEEvT1_, .Lfunc_end48-_ZN7rocprim17ROCPRIM_400000_NS6detail17trampoline_kernelINS0_14default_configENS1_27scan_by_key_config_selectorIiiEEZZNS1_16scan_by_key_implILNS1_25lookback_scan_determinismE0ELb0ES3_PKiN6hipcub16HIPCUB_304000_NS21ConstantInputIteratorIilEEPiiNSB_3SumENSB_8EqualityEiEE10hipError_tPvRmT2_T3_T4_T5_mT6_T7_P12ihipStream_tbENKUlT_T0_E_clISt17integral_constantIbLb0EESW_IbLb1EEEEDaSS_ST_EUlSS_E_NS1_11comp_targetILNS1_3genE2ELNS1_11target_archE906ELNS1_3gpuE6ELNS1_3repE0EEENS1_30default_config_static_selectorELNS0_4arch9wavefront6targetE0EEEvT1_
                                        ; -- End function
	.set _ZN7rocprim17ROCPRIM_400000_NS6detail17trampoline_kernelINS0_14default_configENS1_27scan_by_key_config_selectorIiiEEZZNS1_16scan_by_key_implILNS1_25lookback_scan_determinismE0ELb0ES3_PKiN6hipcub16HIPCUB_304000_NS21ConstantInputIteratorIilEEPiiNSB_3SumENSB_8EqualityEiEE10hipError_tPvRmT2_T3_T4_T5_mT6_T7_P12ihipStream_tbENKUlT_T0_E_clISt17integral_constantIbLb0EESW_IbLb1EEEEDaSS_ST_EUlSS_E_NS1_11comp_targetILNS1_3genE2ELNS1_11target_archE906ELNS1_3gpuE6ELNS1_3repE0EEENS1_30default_config_static_selectorELNS0_4arch9wavefront6targetE0EEEvT1_.num_vgpr, 0
	.set _ZN7rocprim17ROCPRIM_400000_NS6detail17trampoline_kernelINS0_14default_configENS1_27scan_by_key_config_selectorIiiEEZZNS1_16scan_by_key_implILNS1_25lookback_scan_determinismE0ELb0ES3_PKiN6hipcub16HIPCUB_304000_NS21ConstantInputIteratorIilEEPiiNSB_3SumENSB_8EqualityEiEE10hipError_tPvRmT2_T3_T4_T5_mT6_T7_P12ihipStream_tbENKUlT_T0_E_clISt17integral_constantIbLb0EESW_IbLb1EEEEDaSS_ST_EUlSS_E_NS1_11comp_targetILNS1_3genE2ELNS1_11target_archE906ELNS1_3gpuE6ELNS1_3repE0EEENS1_30default_config_static_selectorELNS0_4arch9wavefront6targetE0EEEvT1_.num_agpr, 0
	.set _ZN7rocprim17ROCPRIM_400000_NS6detail17trampoline_kernelINS0_14default_configENS1_27scan_by_key_config_selectorIiiEEZZNS1_16scan_by_key_implILNS1_25lookback_scan_determinismE0ELb0ES3_PKiN6hipcub16HIPCUB_304000_NS21ConstantInputIteratorIilEEPiiNSB_3SumENSB_8EqualityEiEE10hipError_tPvRmT2_T3_T4_T5_mT6_T7_P12ihipStream_tbENKUlT_T0_E_clISt17integral_constantIbLb0EESW_IbLb1EEEEDaSS_ST_EUlSS_E_NS1_11comp_targetILNS1_3genE2ELNS1_11target_archE906ELNS1_3gpuE6ELNS1_3repE0EEENS1_30default_config_static_selectorELNS0_4arch9wavefront6targetE0EEEvT1_.numbered_sgpr, 0
	.set _ZN7rocprim17ROCPRIM_400000_NS6detail17trampoline_kernelINS0_14default_configENS1_27scan_by_key_config_selectorIiiEEZZNS1_16scan_by_key_implILNS1_25lookback_scan_determinismE0ELb0ES3_PKiN6hipcub16HIPCUB_304000_NS21ConstantInputIteratorIilEEPiiNSB_3SumENSB_8EqualityEiEE10hipError_tPvRmT2_T3_T4_T5_mT6_T7_P12ihipStream_tbENKUlT_T0_E_clISt17integral_constantIbLb0EESW_IbLb1EEEEDaSS_ST_EUlSS_E_NS1_11comp_targetILNS1_3genE2ELNS1_11target_archE906ELNS1_3gpuE6ELNS1_3repE0EEENS1_30default_config_static_selectorELNS0_4arch9wavefront6targetE0EEEvT1_.num_named_barrier, 0
	.set _ZN7rocprim17ROCPRIM_400000_NS6detail17trampoline_kernelINS0_14default_configENS1_27scan_by_key_config_selectorIiiEEZZNS1_16scan_by_key_implILNS1_25lookback_scan_determinismE0ELb0ES3_PKiN6hipcub16HIPCUB_304000_NS21ConstantInputIteratorIilEEPiiNSB_3SumENSB_8EqualityEiEE10hipError_tPvRmT2_T3_T4_T5_mT6_T7_P12ihipStream_tbENKUlT_T0_E_clISt17integral_constantIbLb0EESW_IbLb1EEEEDaSS_ST_EUlSS_E_NS1_11comp_targetILNS1_3genE2ELNS1_11target_archE906ELNS1_3gpuE6ELNS1_3repE0EEENS1_30default_config_static_selectorELNS0_4arch9wavefront6targetE0EEEvT1_.private_seg_size, 0
	.set _ZN7rocprim17ROCPRIM_400000_NS6detail17trampoline_kernelINS0_14default_configENS1_27scan_by_key_config_selectorIiiEEZZNS1_16scan_by_key_implILNS1_25lookback_scan_determinismE0ELb0ES3_PKiN6hipcub16HIPCUB_304000_NS21ConstantInputIteratorIilEEPiiNSB_3SumENSB_8EqualityEiEE10hipError_tPvRmT2_T3_T4_T5_mT6_T7_P12ihipStream_tbENKUlT_T0_E_clISt17integral_constantIbLb0EESW_IbLb1EEEEDaSS_ST_EUlSS_E_NS1_11comp_targetILNS1_3genE2ELNS1_11target_archE906ELNS1_3gpuE6ELNS1_3repE0EEENS1_30default_config_static_selectorELNS0_4arch9wavefront6targetE0EEEvT1_.uses_vcc, 0
	.set _ZN7rocprim17ROCPRIM_400000_NS6detail17trampoline_kernelINS0_14default_configENS1_27scan_by_key_config_selectorIiiEEZZNS1_16scan_by_key_implILNS1_25lookback_scan_determinismE0ELb0ES3_PKiN6hipcub16HIPCUB_304000_NS21ConstantInputIteratorIilEEPiiNSB_3SumENSB_8EqualityEiEE10hipError_tPvRmT2_T3_T4_T5_mT6_T7_P12ihipStream_tbENKUlT_T0_E_clISt17integral_constantIbLb0EESW_IbLb1EEEEDaSS_ST_EUlSS_E_NS1_11comp_targetILNS1_3genE2ELNS1_11target_archE906ELNS1_3gpuE6ELNS1_3repE0EEENS1_30default_config_static_selectorELNS0_4arch9wavefront6targetE0EEEvT1_.uses_flat_scratch, 0
	.set _ZN7rocprim17ROCPRIM_400000_NS6detail17trampoline_kernelINS0_14default_configENS1_27scan_by_key_config_selectorIiiEEZZNS1_16scan_by_key_implILNS1_25lookback_scan_determinismE0ELb0ES3_PKiN6hipcub16HIPCUB_304000_NS21ConstantInputIteratorIilEEPiiNSB_3SumENSB_8EqualityEiEE10hipError_tPvRmT2_T3_T4_T5_mT6_T7_P12ihipStream_tbENKUlT_T0_E_clISt17integral_constantIbLb0EESW_IbLb1EEEEDaSS_ST_EUlSS_E_NS1_11comp_targetILNS1_3genE2ELNS1_11target_archE906ELNS1_3gpuE6ELNS1_3repE0EEENS1_30default_config_static_selectorELNS0_4arch9wavefront6targetE0EEEvT1_.has_dyn_sized_stack, 0
	.set _ZN7rocprim17ROCPRIM_400000_NS6detail17trampoline_kernelINS0_14default_configENS1_27scan_by_key_config_selectorIiiEEZZNS1_16scan_by_key_implILNS1_25lookback_scan_determinismE0ELb0ES3_PKiN6hipcub16HIPCUB_304000_NS21ConstantInputIteratorIilEEPiiNSB_3SumENSB_8EqualityEiEE10hipError_tPvRmT2_T3_T4_T5_mT6_T7_P12ihipStream_tbENKUlT_T0_E_clISt17integral_constantIbLb0EESW_IbLb1EEEEDaSS_ST_EUlSS_E_NS1_11comp_targetILNS1_3genE2ELNS1_11target_archE906ELNS1_3gpuE6ELNS1_3repE0EEENS1_30default_config_static_selectorELNS0_4arch9wavefront6targetE0EEEvT1_.has_recursion, 0
	.set _ZN7rocprim17ROCPRIM_400000_NS6detail17trampoline_kernelINS0_14default_configENS1_27scan_by_key_config_selectorIiiEEZZNS1_16scan_by_key_implILNS1_25lookback_scan_determinismE0ELb0ES3_PKiN6hipcub16HIPCUB_304000_NS21ConstantInputIteratorIilEEPiiNSB_3SumENSB_8EqualityEiEE10hipError_tPvRmT2_T3_T4_T5_mT6_T7_P12ihipStream_tbENKUlT_T0_E_clISt17integral_constantIbLb0EESW_IbLb1EEEEDaSS_ST_EUlSS_E_NS1_11comp_targetILNS1_3genE2ELNS1_11target_archE906ELNS1_3gpuE6ELNS1_3repE0EEENS1_30default_config_static_selectorELNS0_4arch9wavefront6targetE0EEEvT1_.has_indirect_call, 0
	.section	.AMDGPU.csdata,"",@progbits
; Kernel info:
; codeLenInByte = 0
; TotalNumSgprs: 0
; NumVgprs: 0
; ScratchSize: 0
; MemoryBound: 0
; FloatMode: 240
; IeeeMode: 1
; LDSByteSize: 0 bytes/workgroup (compile time only)
; SGPRBlocks: 0
; VGPRBlocks: 0
; NumSGPRsForWavesPerEU: 1
; NumVGPRsForWavesPerEU: 1
; NamedBarCnt: 0
; Occupancy: 16
; WaveLimiterHint : 0
; COMPUTE_PGM_RSRC2:SCRATCH_EN: 0
; COMPUTE_PGM_RSRC2:USER_SGPR: 2
; COMPUTE_PGM_RSRC2:TRAP_HANDLER: 0
; COMPUTE_PGM_RSRC2:TGID_X_EN: 1
; COMPUTE_PGM_RSRC2:TGID_Y_EN: 0
; COMPUTE_PGM_RSRC2:TGID_Z_EN: 0
; COMPUTE_PGM_RSRC2:TIDIG_COMP_CNT: 0
	.section	.text._ZN7rocprim17ROCPRIM_400000_NS6detail17trampoline_kernelINS0_14default_configENS1_27scan_by_key_config_selectorIiiEEZZNS1_16scan_by_key_implILNS1_25lookback_scan_determinismE0ELb0ES3_PKiN6hipcub16HIPCUB_304000_NS21ConstantInputIteratorIilEEPiiNSB_3SumENSB_8EqualityEiEE10hipError_tPvRmT2_T3_T4_T5_mT6_T7_P12ihipStream_tbENKUlT_T0_E_clISt17integral_constantIbLb0EESW_IbLb1EEEEDaSS_ST_EUlSS_E_NS1_11comp_targetILNS1_3genE10ELNS1_11target_archE1200ELNS1_3gpuE4ELNS1_3repE0EEENS1_30default_config_static_selectorELNS0_4arch9wavefront6targetE0EEEvT1_,"axG",@progbits,_ZN7rocprim17ROCPRIM_400000_NS6detail17trampoline_kernelINS0_14default_configENS1_27scan_by_key_config_selectorIiiEEZZNS1_16scan_by_key_implILNS1_25lookback_scan_determinismE0ELb0ES3_PKiN6hipcub16HIPCUB_304000_NS21ConstantInputIteratorIilEEPiiNSB_3SumENSB_8EqualityEiEE10hipError_tPvRmT2_T3_T4_T5_mT6_T7_P12ihipStream_tbENKUlT_T0_E_clISt17integral_constantIbLb0EESW_IbLb1EEEEDaSS_ST_EUlSS_E_NS1_11comp_targetILNS1_3genE10ELNS1_11target_archE1200ELNS1_3gpuE4ELNS1_3repE0EEENS1_30default_config_static_selectorELNS0_4arch9wavefront6targetE0EEEvT1_,comdat
	.protected	_ZN7rocprim17ROCPRIM_400000_NS6detail17trampoline_kernelINS0_14default_configENS1_27scan_by_key_config_selectorIiiEEZZNS1_16scan_by_key_implILNS1_25lookback_scan_determinismE0ELb0ES3_PKiN6hipcub16HIPCUB_304000_NS21ConstantInputIteratorIilEEPiiNSB_3SumENSB_8EqualityEiEE10hipError_tPvRmT2_T3_T4_T5_mT6_T7_P12ihipStream_tbENKUlT_T0_E_clISt17integral_constantIbLb0EESW_IbLb1EEEEDaSS_ST_EUlSS_E_NS1_11comp_targetILNS1_3genE10ELNS1_11target_archE1200ELNS1_3gpuE4ELNS1_3repE0EEENS1_30default_config_static_selectorELNS0_4arch9wavefront6targetE0EEEvT1_ ; -- Begin function _ZN7rocprim17ROCPRIM_400000_NS6detail17trampoline_kernelINS0_14default_configENS1_27scan_by_key_config_selectorIiiEEZZNS1_16scan_by_key_implILNS1_25lookback_scan_determinismE0ELb0ES3_PKiN6hipcub16HIPCUB_304000_NS21ConstantInputIteratorIilEEPiiNSB_3SumENSB_8EqualityEiEE10hipError_tPvRmT2_T3_T4_T5_mT6_T7_P12ihipStream_tbENKUlT_T0_E_clISt17integral_constantIbLb0EESW_IbLb1EEEEDaSS_ST_EUlSS_E_NS1_11comp_targetILNS1_3genE10ELNS1_11target_archE1200ELNS1_3gpuE4ELNS1_3repE0EEENS1_30default_config_static_selectorELNS0_4arch9wavefront6targetE0EEEvT1_
	.globl	_ZN7rocprim17ROCPRIM_400000_NS6detail17trampoline_kernelINS0_14default_configENS1_27scan_by_key_config_selectorIiiEEZZNS1_16scan_by_key_implILNS1_25lookback_scan_determinismE0ELb0ES3_PKiN6hipcub16HIPCUB_304000_NS21ConstantInputIteratorIilEEPiiNSB_3SumENSB_8EqualityEiEE10hipError_tPvRmT2_T3_T4_T5_mT6_T7_P12ihipStream_tbENKUlT_T0_E_clISt17integral_constantIbLb0EESW_IbLb1EEEEDaSS_ST_EUlSS_E_NS1_11comp_targetILNS1_3genE10ELNS1_11target_archE1200ELNS1_3gpuE4ELNS1_3repE0EEENS1_30default_config_static_selectorELNS0_4arch9wavefront6targetE0EEEvT1_
	.p2align	8
	.type	_ZN7rocprim17ROCPRIM_400000_NS6detail17trampoline_kernelINS0_14default_configENS1_27scan_by_key_config_selectorIiiEEZZNS1_16scan_by_key_implILNS1_25lookback_scan_determinismE0ELb0ES3_PKiN6hipcub16HIPCUB_304000_NS21ConstantInputIteratorIilEEPiiNSB_3SumENSB_8EqualityEiEE10hipError_tPvRmT2_T3_T4_T5_mT6_T7_P12ihipStream_tbENKUlT_T0_E_clISt17integral_constantIbLb0EESW_IbLb1EEEEDaSS_ST_EUlSS_E_NS1_11comp_targetILNS1_3genE10ELNS1_11target_archE1200ELNS1_3gpuE4ELNS1_3repE0EEENS1_30default_config_static_selectorELNS0_4arch9wavefront6targetE0EEEvT1_,@function
_ZN7rocprim17ROCPRIM_400000_NS6detail17trampoline_kernelINS0_14default_configENS1_27scan_by_key_config_selectorIiiEEZZNS1_16scan_by_key_implILNS1_25lookback_scan_determinismE0ELb0ES3_PKiN6hipcub16HIPCUB_304000_NS21ConstantInputIteratorIilEEPiiNSB_3SumENSB_8EqualityEiEE10hipError_tPvRmT2_T3_T4_T5_mT6_T7_P12ihipStream_tbENKUlT_T0_E_clISt17integral_constantIbLb0EESW_IbLb1EEEEDaSS_ST_EUlSS_E_NS1_11comp_targetILNS1_3genE10ELNS1_11target_archE1200ELNS1_3gpuE4ELNS1_3repE0EEENS1_30default_config_static_selectorELNS0_4arch9wavefront6targetE0EEEvT1_: ; @_ZN7rocprim17ROCPRIM_400000_NS6detail17trampoline_kernelINS0_14default_configENS1_27scan_by_key_config_selectorIiiEEZZNS1_16scan_by_key_implILNS1_25lookback_scan_determinismE0ELb0ES3_PKiN6hipcub16HIPCUB_304000_NS21ConstantInputIteratorIilEEPiiNSB_3SumENSB_8EqualityEiEE10hipError_tPvRmT2_T3_T4_T5_mT6_T7_P12ihipStream_tbENKUlT_T0_E_clISt17integral_constantIbLb0EESW_IbLb1EEEEDaSS_ST_EUlSS_E_NS1_11comp_targetILNS1_3genE10ELNS1_11target_archE1200ELNS1_3gpuE4ELNS1_3repE0EEENS1_30default_config_static_selectorELNS0_4arch9wavefront6targetE0EEEvT1_
; %bb.0:
	.section	.rodata,"a",@progbits
	.p2align	6, 0x0
	.amdhsa_kernel _ZN7rocprim17ROCPRIM_400000_NS6detail17trampoline_kernelINS0_14default_configENS1_27scan_by_key_config_selectorIiiEEZZNS1_16scan_by_key_implILNS1_25lookback_scan_determinismE0ELb0ES3_PKiN6hipcub16HIPCUB_304000_NS21ConstantInputIteratorIilEEPiiNSB_3SumENSB_8EqualityEiEE10hipError_tPvRmT2_T3_T4_T5_mT6_T7_P12ihipStream_tbENKUlT_T0_E_clISt17integral_constantIbLb0EESW_IbLb1EEEEDaSS_ST_EUlSS_E_NS1_11comp_targetILNS1_3genE10ELNS1_11target_archE1200ELNS1_3gpuE4ELNS1_3repE0EEENS1_30default_config_static_selectorELNS0_4arch9wavefront6targetE0EEEvT1_
		.amdhsa_group_segment_fixed_size 0
		.amdhsa_private_segment_fixed_size 0
		.amdhsa_kernarg_size 120
		.amdhsa_user_sgpr_count 2
		.amdhsa_user_sgpr_dispatch_ptr 0
		.amdhsa_user_sgpr_queue_ptr 0
		.amdhsa_user_sgpr_kernarg_segment_ptr 1
		.amdhsa_user_sgpr_dispatch_id 0
		.amdhsa_user_sgpr_kernarg_preload_length 0
		.amdhsa_user_sgpr_kernarg_preload_offset 0
		.amdhsa_user_sgpr_private_segment_size 0
		.amdhsa_wavefront_size32 1
		.amdhsa_uses_dynamic_stack 0
		.amdhsa_enable_private_segment 0
		.amdhsa_system_sgpr_workgroup_id_x 1
		.amdhsa_system_sgpr_workgroup_id_y 0
		.amdhsa_system_sgpr_workgroup_id_z 0
		.amdhsa_system_sgpr_workgroup_info 0
		.amdhsa_system_vgpr_workitem_id 0
		.amdhsa_next_free_vgpr 1
		.amdhsa_next_free_sgpr 1
		.amdhsa_named_barrier_count 0
		.amdhsa_reserve_vcc 0
		.amdhsa_float_round_mode_32 0
		.amdhsa_float_round_mode_16_64 0
		.amdhsa_float_denorm_mode_32 3
		.amdhsa_float_denorm_mode_16_64 3
		.amdhsa_fp16_overflow 0
		.amdhsa_memory_ordered 1
		.amdhsa_forward_progress 1
		.amdhsa_inst_pref_size 0
		.amdhsa_round_robin_scheduling 0
		.amdhsa_exception_fp_ieee_invalid_op 0
		.amdhsa_exception_fp_denorm_src 0
		.amdhsa_exception_fp_ieee_div_zero 0
		.amdhsa_exception_fp_ieee_overflow 0
		.amdhsa_exception_fp_ieee_underflow 0
		.amdhsa_exception_fp_ieee_inexact 0
		.amdhsa_exception_int_div_zero 0
	.end_amdhsa_kernel
	.section	.text._ZN7rocprim17ROCPRIM_400000_NS6detail17trampoline_kernelINS0_14default_configENS1_27scan_by_key_config_selectorIiiEEZZNS1_16scan_by_key_implILNS1_25lookback_scan_determinismE0ELb0ES3_PKiN6hipcub16HIPCUB_304000_NS21ConstantInputIteratorIilEEPiiNSB_3SumENSB_8EqualityEiEE10hipError_tPvRmT2_T3_T4_T5_mT6_T7_P12ihipStream_tbENKUlT_T0_E_clISt17integral_constantIbLb0EESW_IbLb1EEEEDaSS_ST_EUlSS_E_NS1_11comp_targetILNS1_3genE10ELNS1_11target_archE1200ELNS1_3gpuE4ELNS1_3repE0EEENS1_30default_config_static_selectorELNS0_4arch9wavefront6targetE0EEEvT1_,"axG",@progbits,_ZN7rocprim17ROCPRIM_400000_NS6detail17trampoline_kernelINS0_14default_configENS1_27scan_by_key_config_selectorIiiEEZZNS1_16scan_by_key_implILNS1_25lookback_scan_determinismE0ELb0ES3_PKiN6hipcub16HIPCUB_304000_NS21ConstantInputIteratorIilEEPiiNSB_3SumENSB_8EqualityEiEE10hipError_tPvRmT2_T3_T4_T5_mT6_T7_P12ihipStream_tbENKUlT_T0_E_clISt17integral_constantIbLb0EESW_IbLb1EEEEDaSS_ST_EUlSS_E_NS1_11comp_targetILNS1_3genE10ELNS1_11target_archE1200ELNS1_3gpuE4ELNS1_3repE0EEENS1_30default_config_static_selectorELNS0_4arch9wavefront6targetE0EEEvT1_,comdat
.Lfunc_end49:
	.size	_ZN7rocprim17ROCPRIM_400000_NS6detail17trampoline_kernelINS0_14default_configENS1_27scan_by_key_config_selectorIiiEEZZNS1_16scan_by_key_implILNS1_25lookback_scan_determinismE0ELb0ES3_PKiN6hipcub16HIPCUB_304000_NS21ConstantInputIteratorIilEEPiiNSB_3SumENSB_8EqualityEiEE10hipError_tPvRmT2_T3_T4_T5_mT6_T7_P12ihipStream_tbENKUlT_T0_E_clISt17integral_constantIbLb0EESW_IbLb1EEEEDaSS_ST_EUlSS_E_NS1_11comp_targetILNS1_3genE10ELNS1_11target_archE1200ELNS1_3gpuE4ELNS1_3repE0EEENS1_30default_config_static_selectorELNS0_4arch9wavefront6targetE0EEEvT1_, .Lfunc_end49-_ZN7rocprim17ROCPRIM_400000_NS6detail17trampoline_kernelINS0_14default_configENS1_27scan_by_key_config_selectorIiiEEZZNS1_16scan_by_key_implILNS1_25lookback_scan_determinismE0ELb0ES3_PKiN6hipcub16HIPCUB_304000_NS21ConstantInputIteratorIilEEPiiNSB_3SumENSB_8EqualityEiEE10hipError_tPvRmT2_T3_T4_T5_mT6_T7_P12ihipStream_tbENKUlT_T0_E_clISt17integral_constantIbLb0EESW_IbLb1EEEEDaSS_ST_EUlSS_E_NS1_11comp_targetILNS1_3genE10ELNS1_11target_archE1200ELNS1_3gpuE4ELNS1_3repE0EEENS1_30default_config_static_selectorELNS0_4arch9wavefront6targetE0EEEvT1_
                                        ; -- End function
	.set _ZN7rocprim17ROCPRIM_400000_NS6detail17trampoline_kernelINS0_14default_configENS1_27scan_by_key_config_selectorIiiEEZZNS1_16scan_by_key_implILNS1_25lookback_scan_determinismE0ELb0ES3_PKiN6hipcub16HIPCUB_304000_NS21ConstantInputIteratorIilEEPiiNSB_3SumENSB_8EqualityEiEE10hipError_tPvRmT2_T3_T4_T5_mT6_T7_P12ihipStream_tbENKUlT_T0_E_clISt17integral_constantIbLb0EESW_IbLb1EEEEDaSS_ST_EUlSS_E_NS1_11comp_targetILNS1_3genE10ELNS1_11target_archE1200ELNS1_3gpuE4ELNS1_3repE0EEENS1_30default_config_static_selectorELNS0_4arch9wavefront6targetE0EEEvT1_.num_vgpr, 0
	.set _ZN7rocprim17ROCPRIM_400000_NS6detail17trampoline_kernelINS0_14default_configENS1_27scan_by_key_config_selectorIiiEEZZNS1_16scan_by_key_implILNS1_25lookback_scan_determinismE0ELb0ES3_PKiN6hipcub16HIPCUB_304000_NS21ConstantInputIteratorIilEEPiiNSB_3SumENSB_8EqualityEiEE10hipError_tPvRmT2_T3_T4_T5_mT6_T7_P12ihipStream_tbENKUlT_T0_E_clISt17integral_constantIbLb0EESW_IbLb1EEEEDaSS_ST_EUlSS_E_NS1_11comp_targetILNS1_3genE10ELNS1_11target_archE1200ELNS1_3gpuE4ELNS1_3repE0EEENS1_30default_config_static_selectorELNS0_4arch9wavefront6targetE0EEEvT1_.num_agpr, 0
	.set _ZN7rocprim17ROCPRIM_400000_NS6detail17trampoline_kernelINS0_14default_configENS1_27scan_by_key_config_selectorIiiEEZZNS1_16scan_by_key_implILNS1_25lookback_scan_determinismE0ELb0ES3_PKiN6hipcub16HIPCUB_304000_NS21ConstantInputIteratorIilEEPiiNSB_3SumENSB_8EqualityEiEE10hipError_tPvRmT2_T3_T4_T5_mT6_T7_P12ihipStream_tbENKUlT_T0_E_clISt17integral_constantIbLb0EESW_IbLb1EEEEDaSS_ST_EUlSS_E_NS1_11comp_targetILNS1_3genE10ELNS1_11target_archE1200ELNS1_3gpuE4ELNS1_3repE0EEENS1_30default_config_static_selectorELNS0_4arch9wavefront6targetE0EEEvT1_.numbered_sgpr, 0
	.set _ZN7rocprim17ROCPRIM_400000_NS6detail17trampoline_kernelINS0_14default_configENS1_27scan_by_key_config_selectorIiiEEZZNS1_16scan_by_key_implILNS1_25lookback_scan_determinismE0ELb0ES3_PKiN6hipcub16HIPCUB_304000_NS21ConstantInputIteratorIilEEPiiNSB_3SumENSB_8EqualityEiEE10hipError_tPvRmT2_T3_T4_T5_mT6_T7_P12ihipStream_tbENKUlT_T0_E_clISt17integral_constantIbLb0EESW_IbLb1EEEEDaSS_ST_EUlSS_E_NS1_11comp_targetILNS1_3genE10ELNS1_11target_archE1200ELNS1_3gpuE4ELNS1_3repE0EEENS1_30default_config_static_selectorELNS0_4arch9wavefront6targetE0EEEvT1_.num_named_barrier, 0
	.set _ZN7rocprim17ROCPRIM_400000_NS6detail17trampoline_kernelINS0_14default_configENS1_27scan_by_key_config_selectorIiiEEZZNS1_16scan_by_key_implILNS1_25lookback_scan_determinismE0ELb0ES3_PKiN6hipcub16HIPCUB_304000_NS21ConstantInputIteratorIilEEPiiNSB_3SumENSB_8EqualityEiEE10hipError_tPvRmT2_T3_T4_T5_mT6_T7_P12ihipStream_tbENKUlT_T0_E_clISt17integral_constantIbLb0EESW_IbLb1EEEEDaSS_ST_EUlSS_E_NS1_11comp_targetILNS1_3genE10ELNS1_11target_archE1200ELNS1_3gpuE4ELNS1_3repE0EEENS1_30default_config_static_selectorELNS0_4arch9wavefront6targetE0EEEvT1_.private_seg_size, 0
	.set _ZN7rocprim17ROCPRIM_400000_NS6detail17trampoline_kernelINS0_14default_configENS1_27scan_by_key_config_selectorIiiEEZZNS1_16scan_by_key_implILNS1_25lookback_scan_determinismE0ELb0ES3_PKiN6hipcub16HIPCUB_304000_NS21ConstantInputIteratorIilEEPiiNSB_3SumENSB_8EqualityEiEE10hipError_tPvRmT2_T3_T4_T5_mT6_T7_P12ihipStream_tbENKUlT_T0_E_clISt17integral_constantIbLb0EESW_IbLb1EEEEDaSS_ST_EUlSS_E_NS1_11comp_targetILNS1_3genE10ELNS1_11target_archE1200ELNS1_3gpuE4ELNS1_3repE0EEENS1_30default_config_static_selectorELNS0_4arch9wavefront6targetE0EEEvT1_.uses_vcc, 0
	.set _ZN7rocprim17ROCPRIM_400000_NS6detail17trampoline_kernelINS0_14default_configENS1_27scan_by_key_config_selectorIiiEEZZNS1_16scan_by_key_implILNS1_25lookback_scan_determinismE0ELb0ES3_PKiN6hipcub16HIPCUB_304000_NS21ConstantInputIteratorIilEEPiiNSB_3SumENSB_8EqualityEiEE10hipError_tPvRmT2_T3_T4_T5_mT6_T7_P12ihipStream_tbENKUlT_T0_E_clISt17integral_constantIbLb0EESW_IbLb1EEEEDaSS_ST_EUlSS_E_NS1_11comp_targetILNS1_3genE10ELNS1_11target_archE1200ELNS1_3gpuE4ELNS1_3repE0EEENS1_30default_config_static_selectorELNS0_4arch9wavefront6targetE0EEEvT1_.uses_flat_scratch, 0
	.set _ZN7rocprim17ROCPRIM_400000_NS6detail17trampoline_kernelINS0_14default_configENS1_27scan_by_key_config_selectorIiiEEZZNS1_16scan_by_key_implILNS1_25lookback_scan_determinismE0ELb0ES3_PKiN6hipcub16HIPCUB_304000_NS21ConstantInputIteratorIilEEPiiNSB_3SumENSB_8EqualityEiEE10hipError_tPvRmT2_T3_T4_T5_mT6_T7_P12ihipStream_tbENKUlT_T0_E_clISt17integral_constantIbLb0EESW_IbLb1EEEEDaSS_ST_EUlSS_E_NS1_11comp_targetILNS1_3genE10ELNS1_11target_archE1200ELNS1_3gpuE4ELNS1_3repE0EEENS1_30default_config_static_selectorELNS0_4arch9wavefront6targetE0EEEvT1_.has_dyn_sized_stack, 0
	.set _ZN7rocprim17ROCPRIM_400000_NS6detail17trampoline_kernelINS0_14default_configENS1_27scan_by_key_config_selectorIiiEEZZNS1_16scan_by_key_implILNS1_25lookback_scan_determinismE0ELb0ES3_PKiN6hipcub16HIPCUB_304000_NS21ConstantInputIteratorIilEEPiiNSB_3SumENSB_8EqualityEiEE10hipError_tPvRmT2_T3_T4_T5_mT6_T7_P12ihipStream_tbENKUlT_T0_E_clISt17integral_constantIbLb0EESW_IbLb1EEEEDaSS_ST_EUlSS_E_NS1_11comp_targetILNS1_3genE10ELNS1_11target_archE1200ELNS1_3gpuE4ELNS1_3repE0EEENS1_30default_config_static_selectorELNS0_4arch9wavefront6targetE0EEEvT1_.has_recursion, 0
	.set _ZN7rocprim17ROCPRIM_400000_NS6detail17trampoline_kernelINS0_14default_configENS1_27scan_by_key_config_selectorIiiEEZZNS1_16scan_by_key_implILNS1_25lookback_scan_determinismE0ELb0ES3_PKiN6hipcub16HIPCUB_304000_NS21ConstantInputIteratorIilEEPiiNSB_3SumENSB_8EqualityEiEE10hipError_tPvRmT2_T3_T4_T5_mT6_T7_P12ihipStream_tbENKUlT_T0_E_clISt17integral_constantIbLb0EESW_IbLb1EEEEDaSS_ST_EUlSS_E_NS1_11comp_targetILNS1_3genE10ELNS1_11target_archE1200ELNS1_3gpuE4ELNS1_3repE0EEENS1_30default_config_static_selectorELNS0_4arch9wavefront6targetE0EEEvT1_.has_indirect_call, 0
	.section	.AMDGPU.csdata,"",@progbits
; Kernel info:
; codeLenInByte = 0
; TotalNumSgprs: 0
; NumVgprs: 0
; ScratchSize: 0
; MemoryBound: 0
; FloatMode: 240
; IeeeMode: 1
; LDSByteSize: 0 bytes/workgroup (compile time only)
; SGPRBlocks: 0
; VGPRBlocks: 0
; NumSGPRsForWavesPerEU: 1
; NumVGPRsForWavesPerEU: 1
; NamedBarCnt: 0
; Occupancy: 16
; WaveLimiterHint : 0
; COMPUTE_PGM_RSRC2:SCRATCH_EN: 0
; COMPUTE_PGM_RSRC2:USER_SGPR: 2
; COMPUTE_PGM_RSRC2:TRAP_HANDLER: 0
; COMPUTE_PGM_RSRC2:TGID_X_EN: 1
; COMPUTE_PGM_RSRC2:TGID_Y_EN: 0
; COMPUTE_PGM_RSRC2:TGID_Z_EN: 0
; COMPUTE_PGM_RSRC2:TIDIG_COMP_CNT: 0
	.section	.text._ZN7rocprim17ROCPRIM_400000_NS6detail17trampoline_kernelINS0_14default_configENS1_27scan_by_key_config_selectorIiiEEZZNS1_16scan_by_key_implILNS1_25lookback_scan_determinismE0ELb0ES3_PKiN6hipcub16HIPCUB_304000_NS21ConstantInputIteratorIilEEPiiNSB_3SumENSB_8EqualityEiEE10hipError_tPvRmT2_T3_T4_T5_mT6_T7_P12ihipStream_tbENKUlT_T0_E_clISt17integral_constantIbLb0EESW_IbLb1EEEEDaSS_ST_EUlSS_E_NS1_11comp_targetILNS1_3genE9ELNS1_11target_archE1100ELNS1_3gpuE3ELNS1_3repE0EEENS1_30default_config_static_selectorELNS0_4arch9wavefront6targetE0EEEvT1_,"axG",@progbits,_ZN7rocprim17ROCPRIM_400000_NS6detail17trampoline_kernelINS0_14default_configENS1_27scan_by_key_config_selectorIiiEEZZNS1_16scan_by_key_implILNS1_25lookback_scan_determinismE0ELb0ES3_PKiN6hipcub16HIPCUB_304000_NS21ConstantInputIteratorIilEEPiiNSB_3SumENSB_8EqualityEiEE10hipError_tPvRmT2_T3_T4_T5_mT6_T7_P12ihipStream_tbENKUlT_T0_E_clISt17integral_constantIbLb0EESW_IbLb1EEEEDaSS_ST_EUlSS_E_NS1_11comp_targetILNS1_3genE9ELNS1_11target_archE1100ELNS1_3gpuE3ELNS1_3repE0EEENS1_30default_config_static_selectorELNS0_4arch9wavefront6targetE0EEEvT1_,comdat
	.protected	_ZN7rocprim17ROCPRIM_400000_NS6detail17trampoline_kernelINS0_14default_configENS1_27scan_by_key_config_selectorIiiEEZZNS1_16scan_by_key_implILNS1_25lookback_scan_determinismE0ELb0ES3_PKiN6hipcub16HIPCUB_304000_NS21ConstantInputIteratorIilEEPiiNSB_3SumENSB_8EqualityEiEE10hipError_tPvRmT2_T3_T4_T5_mT6_T7_P12ihipStream_tbENKUlT_T0_E_clISt17integral_constantIbLb0EESW_IbLb1EEEEDaSS_ST_EUlSS_E_NS1_11comp_targetILNS1_3genE9ELNS1_11target_archE1100ELNS1_3gpuE3ELNS1_3repE0EEENS1_30default_config_static_selectorELNS0_4arch9wavefront6targetE0EEEvT1_ ; -- Begin function _ZN7rocprim17ROCPRIM_400000_NS6detail17trampoline_kernelINS0_14default_configENS1_27scan_by_key_config_selectorIiiEEZZNS1_16scan_by_key_implILNS1_25lookback_scan_determinismE0ELb0ES3_PKiN6hipcub16HIPCUB_304000_NS21ConstantInputIteratorIilEEPiiNSB_3SumENSB_8EqualityEiEE10hipError_tPvRmT2_T3_T4_T5_mT6_T7_P12ihipStream_tbENKUlT_T0_E_clISt17integral_constantIbLb0EESW_IbLb1EEEEDaSS_ST_EUlSS_E_NS1_11comp_targetILNS1_3genE9ELNS1_11target_archE1100ELNS1_3gpuE3ELNS1_3repE0EEENS1_30default_config_static_selectorELNS0_4arch9wavefront6targetE0EEEvT1_
	.globl	_ZN7rocprim17ROCPRIM_400000_NS6detail17trampoline_kernelINS0_14default_configENS1_27scan_by_key_config_selectorIiiEEZZNS1_16scan_by_key_implILNS1_25lookback_scan_determinismE0ELb0ES3_PKiN6hipcub16HIPCUB_304000_NS21ConstantInputIteratorIilEEPiiNSB_3SumENSB_8EqualityEiEE10hipError_tPvRmT2_T3_T4_T5_mT6_T7_P12ihipStream_tbENKUlT_T0_E_clISt17integral_constantIbLb0EESW_IbLb1EEEEDaSS_ST_EUlSS_E_NS1_11comp_targetILNS1_3genE9ELNS1_11target_archE1100ELNS1_3gpuE3ELNS1_3repE0EEENS1_30default_config_static_selectorELNS0_4arch9wavefront6targetE0EEEvT1_
	.p2align	8
	.type	_ZN7rocprim17ROCPRIM_400000_NS6detail17trampoline_kernelINS0_14default_configENS1_27scan_by_key_config_selectorIiiEEZZNS1_16scan_by_key_implILNS1_25lookback_scan_determinismE0ELb0ES3_PKiN6hipcub16HIPCUB_304000_NS21ConstantInputIteratorIilEEPiiNSB_3SumENSB_8EqualityEiEE10hipError_tPvRmT2_T3_T4_T5_mT6_T7_P12ihipStream_tbENKUlT_T0_E_clISt17integral_constantIbLb0EESW_IbLb1EEEEDaSS_ST_EUlSS_E_NS1_11comp_targetILNS1_3genE9ELNS1_11target_archE1100ELNS1_3gpuE3ELNS1_3repE0EEENS1_30default_config_static_selectorELNS0_4arch9wavefront6targetE0EEEvT1_,@function
_ZN7rocprim17ROCPRIM_400000_NS6detail17trampoline_kernelINS0_14default_configENS1_27scan_by_key_config_selectorIiiEEZZNS1_16scan_by_key_implILNS1_25lookback_scan_determinismE0ELb0ES3_PKiN6hipcub16HIPCUB_304000_NS21ConstantInputIteratorIilEEPiiNSB_3SumENSB_8EqualityEiEE10hipError_tPvRmT2_T3_T4_T5_mT6_T7_P12ihipStream_tbENKUlT_T0_E_clISt17integral_constantIbLb0EESW_IbLb1EEEEDaSS_ST_EUlSS_E_NS1_11comp_targetILNS1_3genE9ELNS1_11target_archE1100ELNS1_3gpuE3ELNS1_3repE0EEENS1_30default_config_static_selectorELNS0_4arch9wavefront6targetE0EEEvT1_: ; @_ZN7rocprim17ROCPRIM_400000_NS6detail17trampoline_kernelINS0_14default_configENS1_27scan_by_key_config_selectorIiiEEZZNS1_16scan_by_key_implILNS1_25lookback_scan_determinismE0ELb0ES3_PKiN6hipcub16HIPCUB_304000_NS21ConstantInputIteratorIilEEPiiNSB_3SumENSB_8EqualityEiEE10hipError_tPvRmT2_T3_T4_T5_mT6_T7_P12ihipStream_tbENKUlT_T0_E_clISt17integral_constantIbLb0EESW_IbLb1EEEEDaSS_ST_EUlSS_E_NS1_11comp_targetILNS1_3genE9ELNS1_11target_archE1100ELNS1_3gpuE3ELNS1_3repE0EEENS1_30default_config_static_selectorELNS0_4arch9wavefront6targetE0EEEvT1_
; %bb.0:
	.section	.rodata,"a",@progbits
	.p2align	6, 0x0
	.amdhsa_kernel _ZN7rocprim17ROCPRIM_400000_NS6detail17trampoline_kernelINS0_14default_configENS1_27scan_by_key_config_selectorIiiEEZZNS1_16scan_by_key_implILNS1_25lookback_scan_determinismE0ELb0ES3_PKiN6hipcub16HIPCUB_304000_NS21ConstantInputIteratorIilEEPiiNSB_3SumENSB_8EqualityEiEE10hipError_tPvRmT2_T3_T4_T5_mT6_T7_P12ihipStream_tbENKUlT_T0_E_clISt17integral_constantIbLb0EESW_IbLb1EEEEDaSS_ST_EUlSS_E_NS1_11comp_targetILNS1_3genE9ELNS1_11target_archE1100ELNS1_3gpuE3ELNS1_3repE0EEENS1_30default_config_static_selectorELNS0_4arch9wavefront6targetE0EEEvT1_
		.amdhsa_group_segment_fixed_size 0
		.amdhsa_private_segment_fixed_size 0
		.amdhsa_kernarg_size 120
		.amdhsa_user_sgpr_count 2
		.amdhsa_user_sgpr_dispatch_ptr 0
		.amdhsa_user_sgpr_queue_ptr 0
		.amdhsa_user_sgpr_kernarg_segment_ptr 1
		.amdhsa_user_sgpr_dispatch_id 0
		.amdhsa_user_sgpr_kernarg_preload_length 0
		.amdhsa_user_sgpr_kernarg_preload_offset 0
		.amdhsa_user_sgpr_private_segment_size 0
		.amdhsa_wavefront_size32 1
		.amdhsa_uses_dynamic_stack 0
		.amdhsa_enable_private_segment 0
		.amdhsa_system_sgpr_workgroup_id_x 1
		.amdhsa_system_sgpr_workgroup_id_y 0
		.amdhsa_system_sgpr_workgroup_id_z 0
		.amdhsa_system_sgpr_workgroup_info 0
		.amdhsa_system_vgpr_workitem_id 0
		.amdhsa_next_free_vgpr 1
		.amdhsa_next_free_sgpr 1
		.amdhsa_named_barrier_count 0
		.amdhsa_reserve_vcc 0
		.amdhsa_float_round_mode_32 0
		.amdhsa_float_round_mode_16_64 0
		.amdhsa_float_denorm_mode_32 3
		.amdhsa_float_denorm_mode_16_64 3
		.amdhsa_fp16_overflow 0
		.amdhsa_memory_ordered 1
		.amdhsa_forward_progress 1
		.amdhsa_inst_pref_size 0
		.amdhsa_round_robin_scheduling 0
		.amdhsa_exception_fp_ieee_invalid_op 0
		.amdhsa_exception_fp_denorm_src 0
		.amdhsa_exception_fp_ieee_div_zero 0
		.amdhsa_exception_fp_ieee_overflow 0
		.amdhsa_exception_fp_ieee_underflow 0
		.amdhsa_exception_fp_ieee_inexact 0
		.amdhsa_exception_int_div_zero 0
	.end_amdhsa_kernel
	.section	.text._ZN7rocprim17ROCPRIM_400000_NS6detail17trampoline_kernelINS0_14default_configENS1_27scan_by_key_config_selectorIiiEEZZNS1_16scan_by_key_implILNS1_25lookback_scan_determinismE0ELb0ES3_PKiN6hipcub16HIPCUB_304000_NS21ConstantInputIteratorIilEEPiiNSB_3SumENSB_8EqualityEiEE10hipError_tPvRmT2_T3_T4_T5_mT6_T7_P12ihipStream_tbENKUlT_T0_E_clISt17integral_constantIbLb0EESW_IbLb1EEEEDaSS_ST_EUlSS_E_NS1_11comp_targetILNS1_3genE9ELNS1_11target_archE1100ELNS1_3gpuE3ELNS1_3repE0EEENS1_30default_config_static_selectorELNS0_4arch9wavefront6targetE0EEEvT1_,"axG",@progbits,_ZN7rocprim17ROCPRIM_400000_NS6detail17trampoline_kernelINS0_14default_configENS1_27scan_by_key_config_selectorIiiEEZZNS1_16scan_by_key_implILNS1_25lookback_scan_determinismE0ELb0ES3_PKiN6hipcub16HIPCUB_304000_NS21ConstantInputIteratorIilEEPiiNSB_3SumENSB_8EqualityEiEE10hipError_tPvRmT2_T3_T4_T5_mT6_T7_P12ihipStream_tbENKUlT_T0_E_clISt17integral_constantIbLb0EESW_IbLb1EEEEDaSS_ST_EUlSS_E_NS1_11comp_targetILNS1_3genE9ELNS1_11target_archE1100ELNS1_3gpuE3ELNS1_3repE0EEENS1_30default_config_static_selectorELNS0_4arch9wavefront6targetE0EEEvT1_,comdat
.Lfunc_end50:
	.size	_ZN7rocprim17ROCPRIM_400000_NS6detail17trampoline_kernelINS0_14default_configENS1_27scan_by_key_config_selectorIiiEEZZNS1_16scan_by_key_implILNS1_25lookback_scan_determinismE0ELb0ES3_PKiN6hipcub16HIPCUB_304000_NS21ConstantInputIteratorIilEEPiiNSB_3SumENSB_8EqualityEiEE10hipError_tPvRmT2_T3_T4_T5_mT6_T7_P12ihipStream_tbENKUlT_T0_E_clISt17integral_constantIbLb0EESW_IbLb1EEEEDaSS_ST_EUlSS_E_NS1_11comp_targetILNS1_3genE9ELNS1_11target_archE1100ELNS1_3gpuE3ELNS1_3repE0EEENS1_30default_config_static_selectorELNS0_4arch9wavefront6targetE0EEEvT1_, .Lfunc_end50-_ZN7rocprim17ROCPRIM_400000_NS6detail17trampoline_kernelINS0_14default_configENS1_27scan_by_key_config_selectorIiiEEZZNS1_16scan_by_key_implILNS1_25lookback_scan_determinismE0ELb0ES3_PKiN6hipcub16HIPCUB_304000_NS21ConstantInputIteratorIilEEPiiNSB_3SumENSB_8EqualityEiEE10hipError_tPvRmT2_T3_T4_T5_mT6_T7_P12ihipStream_tbENKUlT_T0_E_clISt17integral_constantIbLb0EESW_IbLb1EEEEDaSS_ST_EUlSS_E_NS1_11comp_targetILNS1_3genE9ELNS1_11target_archE1100ELNS1_3gpuE3ELNS1_3repE0EEENS1_30default_config_static_selectorELNS0_4arch9wavefront6targetE0EEEvT1_
                                        ; -- End function
	.set _ZN7rocprim17ROCPRIM_400000_NS6detail17trampoline_kernelINS0_14default_configENS1_27scan_by_key_config_selectorIiiEEZZNS1_16scan_by_key_implILNS1_25lookback_scan_determinismE0ELb0ES3_PKiN6hipcub16HIPCUB_304000_NS21ConstantInputIteratorIilEEPiiNSB_3SumENSB_8EqualityEiEE10hipError_tPvRmT2_T3_T4_T5_mT6_T7_P12ihipStream_tbENKUlT_T0_E_clISt17integral_constantIbLb0EESW_IbLb1EEEEDaSS_ST_EUlSS_E_NS1_11comp_targetILNS1_3genE9ELNS1_11target_archE1100ELNS1_3gpuE3ELNS1_3repE0EEENS1_30default_config_static_selectorELNS0_4arch9wavefront6targetE0EEEvT1_.num_vgpr, 0
	.set _ZN7rocprim17ROCPRIM_400000_NS6detail17trampoline_kernelINS0_14default_configENS1_27scan_by_key_config_selectorIiiEEZZNS1_16scan_by_key_implILNS1_25lookback_scan_determinismE0ELb0ES3_PKiN6hipcub16HIPCUB_304000_NS21ConstantInputIteratorIilEEPiiNSB_3SumENSB_8EqualityEiEE10hipError_tPvRmT2_T3_T4_T5_mT6_T7_P12ihipStream_tbENKUlT_T0_E_clISt17integral_constantIbLb0EESW_IbLb1EEEEDaSS_ST_EUlSS_E_NS1_11comp_targetILNS1_3genE9ELNS1_11target_archE1100ELNS1_3gpuE3ELNS1_3repE0EEENS1_30default_config_static_selectorELNS0_4arch9wavefront6targetE0EEEvT1_.num_agpr, 0
	.set _ZN7rocprim17ROCPRIM_400000_NS6detail17trampoline_kernelINS0_14default_configENS1_27scan_by_key_config_selectorIiiEEZZNS1_16scan_by_key_implILNS1_25lookback_scan_determinismE0ELb0ES3_PKiN6hipcub16HIPCUB_304000_NS21ConstantInputIteratorIilEEPiiNSB_3SumENSB_8EqualityEiEE10hipError_tPvRmT2_T3_T4_T5_mT6_T7_P12ihipStream_tbENKUlT_T0_E_clISt17integral_constantIbLb0EESW_IbLb1EEEEDaSS_ST_EUlSS_E_NS1_11comp_targetILNS1_3genE9ELNS1_11target_archE1100ELNS1_3gpuE3ELNS1_3repE0EEENS1_30default_config_static_selectorELNS0_4arch9wavefront6targetE0EEEvT1_.numbered_sgpr, 0
	.set _ZN7rocprim17ROCPRIM_400000_NS6detail17trampoline_kernelINS0_14default_configENS1_27scan_by_key_config_selectorIiiEEZZNS1_16scan_by_key_implILNS1_25lookback_scan_determinismE0ELb0ES3_PKiN6hipcub16HIPCUB_304000_NS21ConstantInputIteratorIilEEPiiNSB_3SumENSB_8EqualityEiEE10hipError_tPvRmT2_T3_T4_T5_mT6_T7_P12ihipStream_tbENKUlT_T0_E_clISt17integral_constantIbLb0EESW_IbLb1EEEEDaSS_ST_EUlSS_E_NS1_11comp_targetILNS1_3genE9ELNS1_11target_archE1100ELNS1_3gpuE3ELNS1_3repE0EEENS1_30default_config_static_selectorELNS0_4arch9wavefront6targetE0EEEvT1_.num_named_barrier, 0
	.set _ZN7rocprim17ROCPRIM_400000_NS6detail17trampoline_kernelINS0_14default_configENS1_27scan_by_key_config_selectorIiiEEZZNS1_16scan_by_key_implILNS1_25lookback_scan_determinismE0ELb0ES3_PKiN6hipcub16HIPCUB_304000_NS21ConstantInputIteratorIilEEPiiNSB_3SumENSB_8EqualityEiEE10hipError_tPvRmT2_T3_T4_T5_mT6_T7_P12ihipStream_tbENKUlT_T0_E_clISt17integral_constantIbLb0EESW_IbLb1EEEEDaSS_ST_EUlSS_E_NS1_11comp_targetILNS1_3genE9ELNS1_11target_archE1100ELNS1_3gpuE3ELNS1_3repE0EEENS1_30default_config_static_selectorELNS0_4arch9wavefront6targetE0EEEvT1_.private_seg_size, 0
	.set _ZN7rocprim17ROCPRIM_400000_NS6detail17trampoline_kernelINS0_14default_configENS1_27scan_by_key_config_selectorIiiEEZZNS1_16scan_by_key_implILNS1_25lookback_scan_determinismE0ELb0ES3_PKiN6hipcub16HIPCUB_304000_NS21ConstantInputIteratorIilEEPiiNSB_3SumENSB_8EqualityEiEE10hipError_tPvRmT2_T3_T4_T5_mT6_T7_P12ihipStream_tbENKUlT_T0_E_clISt17integral_constantIbLb0EESW_IbLb1EEEEDaSS_ST_EUlSS_E_NS1_11comp_targetILNS1_3genE9ELNS1_11target_archE1100ELNS1_3gpuE3ELNS1_3repE0EEENS1_30default_config_static_selectorELNS0_4arch9wavefront6targetE0EEEvT1_.uses_vcc, 0
	.set _ZN7rocprim17ROCPRIM_400000_NS6detail17trampoline_kernelINS0_14default_configENS1_27scan_by_key_config_selectorIiiEEZZNS1_16scan_by_key_implILNS1_25lookback_scan_determinismE0ELb0ES3_PKiN6hipcub16HIPCUB_304000_NS21ConstantInputIteratorIilEEPiiNSB_3SumENSB_8EqualityEiEE10hipError_tPvRmT2_T3_T4_T5_mT6_T7_P12ihipStream_tbENKUlT_T0_E_clISt17integral_constantIbLb0EESW_IbLb1EEEEDaSS_ST_EUlSS_E_NS1_11comp_targetILNS1_3genE9ELNS1_11target_archE1100ELNS1_3gpuE3ELNS1_3repE0EEENS1_30default_config_static_selectorELNS0_4arch9wavefront6targetE0EEEvT1_.uses_flat_scratch, 0
	.set _ZN7rocprim17ROCPRIM_400000_NS6detail17trampoline_kernelINS0_14default_configENS1_27scan_by_key_config_selectorIiiEEZZNS1_16scan_by_key_implILNS1_25lookback_scan_determinismE0ELb0ES3_PKiN6hipcub16HIPCUB_304000_NS21ConstantInputIteratorIilEEPiiNSB_3SumENSB_8EqualityEiEE10hipError_tPvRmT2_T3_T4_T5_mT6_T7_P12ihipStream_tbENKUlT_T0_E_clISt17integral_constantIbLb0EESW_IbLb1EEEEDaSS_ST_EUlSS_E_NS1_11comp_targetILNS1_3genE9ELNS1_11target_archE1100ELNS1_3gpuE3ELNS1_3repE0EEENS1_30default_config_static_selectorELNS0_4arch9wavefront6targetE0EEEvT1_.has_dyn_sized_stack, 0
	.set _ZN7rocprim17ROCPRIM_400000_NS6detail17trampoline_kernelINS0_14default_configENS1_27scan_by_key_config_selectorIiiEEZZNS1_16scan_by_key_implILNS1_25lookback_scan_determinismE0ELb0ES3_PKiN6hipcub16HIPCUB_304000_NS21ConstantInputIteratorIilEEPiiNSB_3SumENSB_8EqualityEiEE10hipError_tPvRmT2_T3_T4_T5_mT6_T7_P12ihipStream_tbENKUlT_T0_E_clISt17integral_constantIbLb0EESW_IbLb1EEEEDaSS_ST_EUlSS_E_NS1_11comp_targetILNS1_3genE9ELNS1_11target_archE1100ELNS1_3gpuE3ELNS1_3repE0EEENS1_30default_config_static_selectorELNS0_4arch9wavefront6targetE0EEEvT1_.has_recursion, 0
	.set _ZN7rocprim17ROCPRIM_400000_NS6detail17trampoline_kernelINS0_14default_configENS1_27scan_by_key_config_selectorIiiEEZZNS1_16scan_by_key_implILNS1_25lookback_scan_determinismE0ELb0ES3_PKiN6hipcub16HIPCUB_304000_NS21ConstantInputIteratorIilEEPiiNSB_3SumENSB_8EqualityEiEE10hipError_tPvRmT2_T3_T4_T5_mT6_T7_P12ihipStream_tbENKUlT_T0_E_clISt17integral_constantIbLb0EESW_IbLb1EEEEDaSS_ST_EUlSS_E_NS1_11comp_targetILNS1_3genE9ELNS1_11target_archE1100ELNS1_3gpuE3ELNS1_3repE0EEENS1_30default_config_static_selectorELNS0_4arch9wavefront6targetE0EEEvT1_.has_indirect_call, 0
	.section	.AMDGPU.csdata,"",@progbits
; Kernel info:
; codeLenInByte = 0
; TotalNumSgprs: 0
; NumVgprs: 0
; ScratchSize: 0
; MemoryBound: 0
; FloatMode: 240
; IeeeMode: 1
; LDSByteSize: 0 bytes/workgroup (compile time only)
; SGPRBlocks: 0
; VGPRBlocks: 0
; NumSGPRsForWavesPerEU: 1
; NumVGPRsForWavesPerEU: 1
; NamedBarCnt: 0
; Occupancy: 16
; WaveLimiterHint : 0
; COMPUTE_PGM_RSRC2:SCRATCH_EN: 0
; COMPUTE_PGM_RSRC2:USER_SGPR: 2
; COMPUTE_PGM_RSRC2:TRAP_HANDLER: 0
; COMPUTE_PGM_RSRC2:TGID_X_EN: 1
; COMPUTE_PGM_RSRC2:TGID_Y_EN: 0
; COMPUTE_PGM_RSRC2:TGID_Z_EN: 0
; COMPUTE_PGM_RSRC2:TIDIG_COMP_CNT: 0
	.section	.text._ZN7rocprim17ROCPRIM_400000_NS6detail17trampoline_kernelINS0_14default_configENS1_27scan_by_key_config_selectorIiiEEZZNS1_16scan_by_key_implILNS1_25lookback_scan_determinismE0ELb0ES3_PKiN6hipcub16HIPCUB_304000_NS21ConstantInputIteratorIilEEPiiNSB_3SumENSB_8EqualityEiEE10hipError_tPvRmT2_T3_T4_T5_mT6_T7_P12ihipStream_tbENKUlT_T0_E_clISt17integral_constantIbLb0EESW_IbLb1EEEEDaSS_ST_EUlSS_E_NS1_11comp_targetILNS1_3genE8ELNS1_11target_archE1030ELNS1_3gpuE2ELNS1_3repE0EEENS1_30default_config_static_selectorELNS0_4arch9wavefront6targetE0EEEvT1_,"axG",@progbits,_ZN7rocprim17ROCPRIM_400000_NS6detail17trampoline_kernelINS0_14default_configENS1_27scan_by_key_config_selectorIiiEEZZNS1_16scan_by_key_implILNS1_25lookback_scan_determinismE0ELb0ES3_PKiN6hipcub16HIPCUB_304000_NS21ConstantInputIteratorIilEEPiiNSB_3SumENSB_8EqualityEiEE10hipError_tPvRmT2_T3_T4_T5_mT6_T7_P12ihipStream_tbENKUlT_T0_E_clISt17integral_constantIbLb0EESW_IbLb1EEEEDaSS_ST_EUlSS_E_NS1_11comp_targetILNS1_3genE8ELNS1_11target_archE1030ELNS1_3gpuE2ELNS1_3repE0EEENS1_30default_config_static_selectorELNS0_4arch9wavefront6targetE0EEEvT1_,comdat
	.protected	_ZN7rocprim17ROCPRIM_400000_NS6detail17trampoline_kernelINS0_14default_configENS1_27scan_by_key_config_selectorIiiEEZZNS1_16scan_by_key_implILNS1_25lookback_scan_determinismE0ELb0ES3_PKiN6hipcub16HIPCUB_304000_NS21ConstantInputIteratorIilEEPiiNSB_3SumENSB_8EqualityEiEE10hipError_tPvRmT2_T3_T4_T5_mT6_T7_P12ihipStream_tbENKUlT_T0_E_clISt17integral_constantIbLb0EESW_IbLb1EEEEDaSS_ST_EUlSS_E_NS1_11comp_targetILNS1_3genE8ELNS1_11target_archE1030ELNS1_3gpuE2ELNS1_3repE0EEENS1_30default_config_static_selectorELNS0_4arch9wavefront6targetE0EEEvT1_ ; -- Begin function _ZN7rocprim17ROCPRIM_400000_NS6detail17trampoline_kernelINS0_14default_configENS1_27scan_by_key_config_selectorIiiEEZZNS1_16scan_by_key_implILNS1_25lookback_scan_determinismE0ELb0ES3_PKiN6hipcub16HIPCUB_304000_NS21ConstantInputIteratorIilEEPiiNSB_3SumENSB_8EqualityEiEE10hipError_tPvRmT2_T3_T4_T5_mT6_T7_P12ihipStream_tbENKUlT_T0_E_clISt17integral_constantIbLb0EESW_IbLb1EEEEDaSS_ST_EUlSS_E_NS1_11comp_targetILNS1_3genE8ELNS1_11target_archE1030ELNS1_3gpuE2ELNS1_3repE0EEENS1_30default_config_static_selectorELNS0_4arch9wavefront6targetE0EEEvT1_
	.globl	_ZN7rocprim17ROCPRIM_400000_NS6detail17trampoline_kernelINS0_14default_configENS1_27scan_by_key_config_selectorIiiEEZZNS1_16scan_by_key_implILNS1_25lookback_scan_determinismE0ELb0ES3_PKiN6hipcub16HIPCUB_304000_NS21ConstantInputIteratorIilEEPiiNSB_3SumENSB_8EqualityEiEE10hipError_tPvRmT2_T3_T4_T5_mT6_T7_P12ihipStream_tbENKUlT_T0_E_clISt17integral_constantIbLb0EESW_IbLb1EEEEDaSS_ST_EUlSS_E_NS1_11comp_targetILNS1_3genE8ELNS1_11target_archE1030ELNS1_3gpuE2ELNS1_3repE0EEENS1_30default_config_static_selectorELNS0_4arch9wavefront6targetE0EEEvT1_
	.p2align	8
	.type	_ZN7rocprim17ROCPRIM_400000_NS6detail17trampoline_kernelINS0_14default_configENS1_27scan_by_key_config_selectorIiiEEZZNS1_16scan_by_key_implILNS1_25lookback_scan_determinismE0ELb0ES3_PKiN6hipcub16HIPCUB_304000_NS21ConstantInputIteratorIilEEPiiNSB_3SumENSB_8EqualityEiEE10hipError_tPvRmT2_T3_T4_T5_mT6_T7_P12ihipStream_tbENKUlT_T0_E_clISt17integral_constantIbLb0EESW_IbLb1EEEEDaSS_ST_EUlSS_E_NS1_11comp_targetILNS1_3genE8ELNS1_11target_archE1030ELNS1_3gpuE2ELNS1_3repE0EEENS1_30default_config_static_selectorELNS0_4arch9wavefront6targetE0EEEvT1_,@function
_ZN7rocprim17ROCPRIM_400000_NS6detail17trampoline_kernelINS0_14default_configENS1_27scan_by_key_config_selectorIiiEEZZNS1_16scan_by_key_implILNS1_25lookback_scan_determinismE0ELb0ES3_PKiN6hipcub16HIPCUB_304000_NS21ConstantInputIteratorIilEEPiiNSB_3SumENSB_8EqualityEiEE10hipError_tPvRmT2_T3_T4_T5_mT6_T7_P12ihipStream_tbENKUlT_T0_E_clISt17integral_constantIbLb0EESW_IbLb1EEEEDaSS_ST_EUlSS_E_NS1_11comp_targetILNS1_3genE8ELNS1_11target_archE1030ELNS1_3gpuE2ELNS1_3repE0EEENS1_30default_config_static_selectorELNS0_4arch9wavefront6targetE0EEEvT1_: ; @_ZN7rocprim17ROCPRIM_400000_NS6detail17trampoline_kernelINS0_14default_configENS1_27scan_by_key_config_selectorIiiEEZZNS1_16scan_by_key_implILNS1_25lookback_scan_determinismE0ELb0ES3_PKiN6hipcub16HIPCUB_304000_NS21ConstantInputIteratorIilEEPiiNSB_3SumENSB_8EqualityEiEE10hipError_tPvRmT2_T3_T4_T5_mT6_T7_P12ihipStream_tbENKUlT_T0_E_clISt17integral_constantIbLb0EESW_IbLb1EEEEDaSS_ST_EUlSS_E_NS1_11comp_targetILNS1_3genE8ELNS1_11target_archE1030ELNS1_3gpuE2ELNS1_3repE0EEENS1_30default_config_static_selectorELNS0_4arch9wavefront6targetE0EEEvT1_
; %bb.0:
	.section	.rodata,"a",@progbits
	.p2align	6, 0x0
	.amdhsa_kernel _ZN7rocprim17ROCPRIM_400000_NS6detail17trampoline_kernelINS0_14default_configENS1_27scan_by_key_config_selectorIiiEEZZNS1_16scan_by_key_implILNS1_25lookback_scan_determinismE0ELb0ES3_PKiN6hipcub16HIPCUB_304000_NS21ConstantInputIteratorIilEEPiiNSB_3SumENSB_8EqualityEiEE10hipError_tPvRmT2_T3_T4_T5_mT6_T7_P12ihipStream_tbENKUlT_T0_E_clISt17integral_constantIbLb0EESW_IbLb1EEEEDaSS_ST_EUlSS_E_NS1_11comp_targetILNS1_3genE8ELNS1_11target_archE1030ELNS1_3gpuE2ELNS1_3repE0EEENS1_30default_config_static_selectorELNS0_4arch9wavefront6targetE0EEEvT1_
		.amdhsa_group_segment_fixed_size 0
		.amdhsa_private_segment_fixed_size 0
		.amdhsa_kernarg_size 120
		.amdhsa_user_sgpr_count 2
		.amdhsa_user_sgpr_dispatch_ptr 0
		.amdhsa_user_sgpr_queue_ptr 0
		.amdhsa_user_sgpr_kernarg_segment_ptr 1
		.amdhsa_user_sgpr_dispatch_id 0
		.amdhsa_user_sgpr_kernarg_preload_length 0
		.amdhsa_user_sgpr_kernarg_preload_offset 0
		.amdhsa_user_sgpr_private_segment_size 0
		.amdhsa_wavefront_size32 1
		.amdhsa_uses_dynamic_stack 0
		.amdhsa_enable_private_segment 0
		.amdhsa_system_sgpr_workgroup_id_x 1
		.amdhsa_system_sgpr_workgroup_id_y 0
		.amdhsa_system_sgpr_workgroup_id_z 0
		.amdhsa_system_sgpr_workgroup_info 0
		.amdhsa_system_vgpr_workitem_id 0
		.amdhsa_next_free_vgpr 1
		.amdhsa_next_free_sgpr 1
		.amdhsa_named_barrier_count 0
		.amdhsa_reserve_vcc 0
		.amdhsa_float_round_mode_32 0
		.amdhsa_float_round_mode_16_64 0
		.amdhsa_float_denorm_mode_32 3
		.amdhsa_float_denorm_mode_16_64 3
		.amdhsa_fp16_overflow 0
		.amdhsa_memory_ordered 1
		.amdhsa_forward_progress 1
		.amdhsa_inst_pref_size 0
		.amdhsa_round_robin_scheduling 0
		.amdhsa_exception_fp_ieee_invalid_op 0
		.amdhsa_exception_fp_denorm_src 0
		.amdhsa_exception_fp_ieee_div_zero 0
		.amdhsa_exception_fp_ieee_overflow 0
		.amdhsa_exception_fp_ieee_underflow 0
		.amdhsa_exception_fp_ieee_inexact 0
		.amdhsa_exception_int_div_zero 0
	.end_amdhsa_kernel
	.section	.text._ZN7rocprim17ROCPRIM_400000_NS6detail17trampoline_kernelINS0_14default_configENS1_27scan_by_key_config_selectorIiiEEZZNS1_16scan_by_key_implILNS1_25lookback_scan_determinismE0ELb0ES3_PKiN6hipcub16HIPCUB_304000_NS21ConstantInputIteratorIilEEPiiNSB_3SumENSB_8EqualityEiEE10hipError_tPvRmT2_T3_T4_T5_mT6_T7_P12ihipStream_tbENKUlT_T0_E_clISt17integral_constantIbLb0EESW_IbLb1EEEEDaSS_ST_EUlSS_E_NS1_11comp_targetILNS1_3genE8ELNS1_11target_archE1030ELNS1_3gpuE2ELNS1_3repE0EEENS1_30default_config_static_selectorELNS0_4arch9wavefront6targetE0EEEvT1_,"axG",@progbits,_ZN7rocprim17ROCPRIM_400000_NS6detail17trampoline_kernelINS0_14default_configENS1_27scan_by_key_config_selectorIiiEEZZNS1_16scan_by_key_implILNS1_25lookback_scan_determinismE0ELb0ES3_PKiN6hipcub16HIPCUB_304000_NS21ConstantInputIteratorIilEEPiiNSB_3SumENSB_8EqualityEiEE10hipError_tPvRmT2_T3_T4_T5_mT6_T7_P12ihipStream_tbENKUlT_T0_E_clISt17integral_constantIbLb0EESW_IbLb1EEEEDaSS_ST_EUlSS_E_NS1_11comp_targetILNS1_3genE8ELNS1_11target_archE1030ELNS1_3gpuE2ELNS1_3repE0EEENS1_30default_config_static_selectorELNS0_4arch9wavefront6targetE0EEEvT1_,comdat
.Lfunc_end51:
	.size	_ZN7rocprim17ROCPRIM_400000_NS6detail17trampoline_kernelINS0_14default_configENS1_27scan_by_key_config_selectorIiiEEZZNS1_16scan_by_key_implILNS1_25lookback_scan_determinismE0ELb0ES3_PKiN6hipcub16HIPCUB_304000_NS21ConstantInputIteratorIilEEPiiNSB_3SumENSB_8EqualityEiEE10hipError_tPvRmT2_T3_T4_T5_mT6_T7_P12ihipStream_tbENKUlT_T0_E_clISt17integral_constantIbLb0EESW_IbLb1EEEEDaSS_ST_EUlSS_E_NS1_11comp_targetILNS1_3genE8ELNS1_11target_archE1030ELNS1_3gpuE2ELNS1_3repE0EEENS1_30default_config_static_selectorELNS0_4arch9wavefront6targetE0EEEvT1_, .Lfunc_end51-_ZN7rocprim17ROCPRIM_400000_NS6detail17trampoline_kernelINS0_14default_configENS1_27scan_by_key_config_selectorIiiEEZZNS1_16scan_by_key_implILNS1_25lookback_scan_determinismE0ELb0ES3_PKiN6hipcub16HIPCUB_304000_NS21ConstantInputIteratorIilEEPiiNSB_3SumENSB_8EqualityEiEE10hipError_tPvRmT2_T3_T4_T5_mT6_T7_P12ihipStream_tbENKUlT_T0_E_clISt17integral_constantIbLb0EESW_IbLb1EEEEDaSS_ST_EUlSS_E_NS1_11comp_targetILNS1_3genE8ELNS1_11target_archE1030ELNS1_3gpuE2ELNS1_3repE0EEENS1_30default_config_static_selectorELNS0_4arch9wavefront6targetE0EEEvT1_
                                        ; -- End function
	.set _ZN7rocprim17ROCPRIM_400000_NS6detail17trampoline_kernelINS0_14default_configENS1_27scan_by_key_config_selectorIiiEEZZNS1_16scan_by_key_implILNS1_25lookback_scan_determinismE0ELb0ES3_PKiN6hipcub16HIPCUB_304000_NS21ConstantInputIteratorIilEEPiiNSB_3SumENSB_8EqualityEiEE10hipError_tPvRmT2_T3_T4_T5_mT6_T7_P12ihipStream_tbENKUlT_T0_E_clISt17integral_constantIbLb0EESW_IbLb1EEEEDaSS_ST_EUlSS_E_NS1_11comp_targetILNS1_3genE8ELNS1_11target_archE1030ELNS1_3gpuE2ELNS1_3repE0EEENS1_30default_config_static_selectorELNS0_4arch9wavefront6targetE0EEEvT1_.num_vgpr, 0
	.set _ZN7rocprim17ROCPRIM_400000_NS6detail17trampoline_kernelINS0_14default_configENS1_27scan_by_key_config_selectorIiiEEZZNS1_16scan_by_key_implILNS1_25lookback_scan_determinismE0ELb0ES3_PKiN6hipcub16HIPCUB_304000_NS21ConstantInputIteratorIilEEPiiNSB_3SumENSB_8EqualityEiEE10hipError_tPvRmT2_T3_T4_T5_mT6_T7_P12ihipStream_tbENKUlT_T0_E_clISt17integral_constantIbLb0EESW_IbLb1EEEEDaSS_ST_EUlSS_E_NS1_11comp_targetILNS1_3genE8ELNS1_11target_archE1030ELNS1_3gpuE2ELNS1_3repE0EEENS1_30default_config_static_selectorELNS0_4arch9wavefront6targetE0EEEvT1_.num_agpr, 0
	.set _ZN7rocprim17ROCPRIM_400000_NS6detail17trampoline_kernelINS0_14default_configENS1_27scan_by_key_config_selectorIiiEEZZNS1_16scan_by_key_implILNS1_25lookback_scan_determinismE0ELb0ES3_PKiN6hipcub16HIPCUB_304000_NS21ConstantInputIteratorIilEEPiiNSB_3SumENSB_8EqualityEiEE10hipError_tPvRmT2_T3_T4_T5_mT6_T7_P12ihipStream_tbENKUlT_T0_E_clISt17integral_constantIbLb0EESW_IbLb1EEEEDaSS_ST_EUlSS_E_NS1_11comp_targetILNS1_3genE8ELNS1_11target_archE1030ELNS1_3gpuE2ELNS1_3repE0EEENS1_30default_config_static_selectorELNS0_4arch9wavefront6targetE0EEEvT1_.numbered_sgpr, 0
	.set _ZN7rocprim17ROCPRIM_400000_NS6detail17trampoline_kernelINS0_14default_configENS1_27scan_by_key_config_selectorIiiEEZZNS1_16scan_by_key_implILNS1_25lookback_scan_determinismE0ELb0ES3_PKiN6hipcub16HIPCUB_304000_NS21ConstantInputIteratorIilEEPiiNSB_3SumENSB_8EqualityEiEE10hipError_tPvRmT2_T3_T4_T5_mT6_T7_P12ihipStream_tbENKUlT_T0_E_clISt17integral_constantIbLb0EESW_IbLb1EEEEDaSS_ST_EUlSS_E_NS1_11comp_targetILNS1_3genE8ELNS1_11target_archE1030ELNS1_3gpuE2ELNS1_3repE0EEENS1_30default_config_static_selectorELNS0_4arch9wavefront6targetE0EEEvT1_.num_named_barrier, 0
	.set _ZN7rocprim17ROCPRIM_400000_NS6detail17trampoline_kernelINS0_14default_configENS1_27scan_by_key_config_selectorIiiEEZZNS1_16scan_by_key_implILNS1_25lookback_scan_determinismE0ELb0ES3_PKiN6hipcub16HIPCUB_304000_NS21ConstantInputIteratorIilEEPiiNSB_3SumENSB_8EqualityEiEE10hipError_tPvRmT2_T3_T4_T5_mT6_T7_P12ihipStream_tbENKUlT_T0_E_clISt17integral_constantIbLb0EESW_IbLb1EEEEDaSS_ST_EUlSS_E_NS1_11comp_targetILNS1_3genE8ELNS1_11target_archE1030ELNS1_3gpuE2ELNS1_3repE0EEENS1_30default_config_static_selectorELNS0_4arch9wavefront6targetE0EEEvT1_.private_seg_size, 0
	.set _ZN7rocprim17ROCPRIM_400000_NS6detail17trampoline_kernelINS0_14default_configENS1_27scan_by_key_config_selectorIiiEEZZNS1_16scan_by_key_implILNS1_25lookback_scan_determinismE0ELb0ES3_PKiN6hipcub16HIPCUB_304000_NS21ConstantInputIteratorIilEEPiiNSB_3SumENSB_8EqualityEiEE10hipError_tPvRmT2_T3_T4_T5_mT6_T7_P12ihipStream_tbENKUlT_T0_E_clISt17integral_constantIbLb0EESW_IbLb1EEEEDaSS_ST_EUlSS_E_NS1_11comp_targetILNS1_3genE8ELNS1_11target_archE1030ELNS1_3gpuE2ELNS1_3repE0EEENS1_30default_config_static_selectorELNS0_4arch9wavefront6targetE0EEEvT1_.uses_vcc, 0
	.set _ZN7rocprim17ROCPRIM_400000_NS6detail17trampoline_kernelINS0_14default_configENS1_27scan_by_key_config_selectorIiiEEZZNS1_16scan_by_key_implILNS1_25lookback_scan_determinismE0ELb0ES3_PKiN6hipcub16HIPCUB_304000_NS21ConstantInputIteratorIilEEPiiNSB_3SumENSB_8EqualityEiEE10hipError_tPvRmT2_T3_T4_T5_mT6_T7_P12ihipStream_tbENKUlT_T0_E_clISt17integral_constantIbLb0EESW_IbLb1EEEEDaSS_ST_EUlSS_E_NS1_11comp_targetILNS1_3genE8ELNS1_11target_archE1030ELNS1_3gpuE2ELNS1_3repE0EEENS1_30default_config_static_selectorELNS0_4arch9wavefront6targetE0EEEvT1_.uses_flat_scratch, 0
	.set _ZN7rocprim17ROCPRIM_400000_NS6detail17trampoline_kernelINS0_14default_configENS1_27scan_by_key_config_selectorIiiEEZZNS1_16scan_by_key_implILNS1_25lookback_scan_determinismE0ELb0ES3_PKiN6hipcub16HIPCUB_304000_NS21ConstantInputIteratorIilEEPiiNSB_3SumENSB_8EqualityEiEE10hipError_tPvRmT2_T3_T4_T5_mT6_T7_P12ihipStream_tbENKUlT_T0_E_clISt17integral_constantIbLb0EESW_IbLb1EEEEDaSS_ST_EUlSS_E_NS1_11comp_targetILNS1_3genE8ELNS1_11target_archE1030ELNS1_3gpuE2ELNS1_3repE0EEENS1_30default_config_static_selectorELNS0_4arch9wavefront6targetE0EEEvT1_.has_dyn_sized_stack, 0
	.set _ZN7rocprim17ROCPRIM_400000_NS6detail17trampoline_kernelINS0_14default_configENS1_27scan_by_key_config_selectorIiiEEZZNS1_16scan_by_key_implILNS1_25lookback_scan_determinismE0ELb0ES3_PKiN6hipcub16HIPCUB_304000_NS21ConstantInputIteratorIilEEPiiNSB_3SumENSB_8EqualityEiEE10hipError_tPvRmT2_T3_T4_T5_mT6_T7_P12ihipStream_tbENKUlT_T0_E_clISt17integral_constantIbLb0EESW_IbLb1EEEEDaSS_ST_EUlSS_E_NS1_11comp_targetILNS1_3genE8ELNS1_11target_archE1030ELNS1_3gpuE2ELNS1_3repE0EEENS1_30default_config_static_selectorELNS0_4arch9wavefront6targetE0EEEvT1_.has_recursion, 0
	.set _ZN7rocprim17ROCPRIM_400000_NS6detail17trampoline_kernelINS0_14default_configENS1_27scan_by_key_config_selectorIiiEEZZNS1_16scan_by_key_implILNS1_25lookback_scan_determinismE0ELb0ES3_PKiN6hipcub16HIPCUB_304000_NS21ConstantInputIteratorIilEEPiiNSB_3SumENSB_8EqualityEiEE10hipError_tPvRmT2_T3_T4_T5_mT6_T7_P12ihipStream_tbENKUlT_T0_E_clISt17integral_constantIbLb0EESW_IbLb1EEEEDaSS_ST_EUlSS_E_NS1_11comp_targetILNS1_3genE8ELNS1_11target_archE1030ELNS1_3gpuE2ELNS1_3repE0EEENS1_30default_config_static_selectorELNS0_4arch9wavefront6targetE0EEEvT1_.has_indirect_call, 0
	.section	.AMDGPU.csdata,"",@progbits
; Kernel info:
; codeLenInByte = 0
; TotalNumSgprs: 0
; NumVgprs: 0
; ScratchSize: 0
; MemoryBound: 0
; FloatMode: 240
; IeeeMode: 1
; LDSByteSize: 0 bytes/workgroup (compile time only)
; SGPRBlocks: 0
; VGPRBlocks: 0
; NumSGPRsForWavesPerEU: 1
; NumVGPRsForWavesPerEU: 1
; NamedBarCnt: 0
; Occupancy: 16
; WaveLimiterHint : 0
; COMPUTE_PGM_RSRC2:SCRATCH_EN: 0
; COMPUTE_PGM_RSRC2:USER_SGPR: 2
; COMPUTE_PGM_RSRC2:TRAP_HANDLER: 0
; COMPUTE_PGM_RSRC2:TGID_X_EN: 1
; COMPUTE_PGM_RSRC2:TGID_Y_EN: 0
; COMPUTE_PGM_RSRC2:TGID_Z_EN: 0
; COMPUTE_PGM_RSRC2:TIDIG_COMP_CNT: 0
	.section	.text._ZN7rocprim17ROCPRIM_400000_NS6detail30init_device_scan_by_key_kernelINS1_19lookback_scan_stateINS0_5tupleIJibEEELb0ELb1EEEN6thrust23THRUST_200600_302600_NS16reverse_iteratorIPKiEEjNS1_16block_id_wrapperIjLb0EEEEEvT_jjPNSF_10value_typeET0_PNSt15iterator_traitsISI_E10value_typeEmT1_T2_,"axG",@progbits,_ZN7rocprim17ROCPRIM_400000_NS6detail30init_device_scan_by_key_kernelINS1_19lookback_scan_stateINS0_5tupleIJibEEELb0ELb1EEEN6thrust23THRUST_200600_302600_NS16reverse_iteratorIPKiEEjNS1_16block_id_wrapperIjLb0EEEEEvT_jjPNSF_10value_typeET0_PNSt15iterator_traitsISI_E10value_typeEmT1_T2_,comdat
	.protected	_ZN7rocprim17ROCPRIM_400000_NS6detail30init_device_scan_by_key_kernelINS1_19lookback_scan_stateINS0_5tupleIJibEEELb0ELb1EEEN6thrust23THRUST_200600_302600_NS16reverse_iteratorIPKiEEjNS1_16block_id_wrapperIjLb0EEEEEvT_jjPNSF_10value_typeET0_PNSt15iterator_traitsISI_E10value_typeEmT1_T2_ ; -- Begin function _ZN7rocprim17ROCPRIM_400000_NS6detail30init_device_scan_by_key_kernelINS1_19lookback_scan_stateINS0_5tupleIJibEEELb0ELb1EEEN6thrust23THRUST_200600_302600_NS16reverse_iteratorIPKiEEjNS1_16block_id_wrapperIjLb0EEEEEvT_jjPNSF_10value_typeET0_PNSt15iterator_traitsISI_E10value_typeEmT1_T2_
	.globl	_ZN7rocprim17ROCPRIM_400000_NS6detail30init_device_scan_by_key_kernelINS1_19lookback_scan_stateINS0_5tupleIJibEEELb0ELb1EEEN6thrust23THRUST_200600_302600_NS16reverse_iteratorIPKiEEjNS1_16block_id_wrapperIjLb0EEEEEvT_jjPNSF_10value_typeET0_PNSt15iterator_traitsISI_E10value_typeEmT1_T2_
	.p2align	8
	.type	_ZN7rocprim17ROCPRIM_400000_NS6detail30init_device_scan_by_key_kernelINS1_19lookback_scan_stateINS0_5tupleIJibEEELb0ELb1EEEN6thrust23THRUST_200600_302600_NS16reverse_iteratorIPKiEEjNS1_16block_id_wrapperIjLb0EEEEEvT_jjPNSF_10value_typeET0_PNSt15iterator_traitsISI_E10value_typeEmT1_T2_,@function
_ZN7rocprim17ROCPRIM_400000_NS6detail30init_device_scan_by_key_kernelINS1_19lookback_scan_stateINS0_5tupleIJibEEELb0ELb1EEEN6thrust23THRUST_200600_302600_NS16reverse_iteratorIPKiEEjNS1_16block_id_wrapperIjLb0EEEEEvT_jjPNSF_10value_typeET0_PNSt15iterator_traitsISI_E10value_typeEmT1_T2_: ; @_ZN7rocprim17ROCPRIM_400000_NS6detail30init_device_scan_by_key_kernelINS1_19lookback_scan_stateINS0_5tupleIJibEEELb0ELb1EEEN6thrust23THRUST_200600_302600_NS16reverse_iteratorIPKiEEjNS1_16block_id_wrapperIjLb0EEEEEvT_jjPNSF_10value_typeET0_PNSt15iterator_traitsISI_E10value_typeEmT1_T2_
; %bb.0:
	s_clause 0x2
	s_load_b32 s2, s[0:1], 0x44
	s_load_b32 s14, s[0:1], 0x38
	s_load_b256 s[4:11], s[0:1], 0x0
	s_bfe_u32 s3, ttmp6, 0x4000c
	s_and_b32 s12, ttmp6, 15
	s_add_co_i32 s3, s3, 1
	s_getreg_b32 s13, hwreg(HW_REG_IB_STS2, 6, 4)
	s_mul_i32 s3, ttmp9, s3
	s_delay_alu instid0(SALU_CYCLE_1)
	s_add_co_i32 s12, s12, s3
	s_wait_kmcnt 0x0
	s_and_b32 s15, s2, 0xffff
	s_cmp_eq_u32 s13, 0
	s_cselect_b32 s2, ttmp9, s12
	s_cmp_eq_u64 s[8:9], 0
	v_mad_u32 v4, s2, s15, v0
	s_cbranch_scc1 .LBB52_8
; %bb.1:
	s_cmp_lt_u32 s7, s6
	s_mov_b32 s16, exec_lo
	s_cselect_b32 s2, s7, 0
	s_delay_alu instid0(VALU_DEP_1) | instid1(SALU_CYCLE_1)
	v_cmpx_eq_u32_e64 s2, v4
	s_cbranch_execz .LBB52_7
; %bb.2:
	s_add_co_i32 s2, s7, 32
	s_mov_b32 s3, 0
	v_mov_b32_e32 v7, 0
	s_lshl_b64 s[12:13], s[2:3], 4
	s_mov_b32 s2, exec_lo
	s_add_nc_u64 s[12:13], s[4:5], s[12:13]
	s_delay_alu instid0(SALU_CYCLE_1) | instskip(SKIP_2) | instid1(VALU_DEP_1)
	v_mov_b64_e32 v[0:1], s[12:13]
	;;#ASMSTART
	global_load_b128 v[0:3], v[0:1] off scope:SCOPE_DEV	
s_wait_loadcnt 0x0
	;;#ASMEND
	v_and_b32_e32 v6, 0xff, v2
	v_cmpx_eq_u64_e32 0, v[6:7]
	s_cbranch_execz .LBB52_6
; %bb.3:
	v_mov_b64_e32 v[8:9], s[12:13]
.LBB52_4:                               ; =>This Inner Loop Header: Depth=1
	;;#ASMSTART
	global_load_b128 v[0:3], v[8:9] off scope:SCOPE_DEV	
s_wait_loadcnt 0x0
	;;#ASMEND
	v_and_b32_e32 v6, 0xff, v2
	s_delay_alu instid0(VALU_DEP_1) | instskip(SKIP_1) | instid1(SALU_CYCLE_1)
	v_cmp_ne_u64_e32 vcc_lo, 0, v[6:7]
	s_or_b32 s3, vcc_lo, s3
	s_and_not1_b32 exec_lo, exec_lo, s3
	s_cbranch_execnz .LBB52_4
; %bb.5:
	s_or_b32 exec_lo, exec_lo, s3
.LBB52_6:
	s_delay_alu instid0(SALU_CYCLE_1)
	s_or_b32 exec_lo, exec_lo, s2
	v_mov_b32_e32 v2, 0
	s_clause 0x1
	global_store_b32 v2, v0, s[8:9]
	global_store_b8 v2, v1, s[8:9] offset:4
.LBB52_7:
	s_wait_xcnt 0x0
	s_or_b32 exec_lo, exec_lo, s16
.LBB52_8:
	s_delay_alu instid0(SALU_CYCLE_1) | instskip(NEXT) | instid1(VALU_DEP_1)
	s_mov_b32 s2, exec_lo
	v_cmpx_gt_u32_e64 s6, v4
	s_cbranch_execz .LBB52_10
; %bb.9:
	v_dual_mov_b32 v0, 0 :: v_dual_add_nc_u32 v5, 32, v4
	s_delay_alu instid0(VALU_DEP_1)
	v_dual_mov_b32 v1, v0 :: v_dual_mov_b32 v2, v0
	v_mov_b32_e32 v3, v0
	global_store_b128 v5, v[0:3], s[4:5] scale_offset
.LBB52_10:
	s_wait_xcnt 0x0
	s_or_b32 exec_lo, exec_lo, s2
	v_mov_b32_e32 v5, 0
	s_mov_b32 s2, exec_lo
	v_cmpx_gt_u32_e32 32, v4
	s_cbranch_execz .LBB52_12
; %bb.11:
	s_delay_alu instid0(VALU_DEP_2)
	v_lshl_add_u64 v[6:7], v[4:5], 4, s[4:5]
	v_dual_mov_b32 v2, 0xff :: v_dual_mov_b32 v1, v5
	v_dual_mov_b32 v0, v5 :: v_dual_mov_b32 v3, v5
	global_store_b128 v[6:7], v[0:3], off
.LBB52_12:
	s_wait_xcnt 0x0
	s_or_b32 exec_lo, exec_lo, s2
	s_load_b64 s[2:3], s[0:1], 0x28
	s_mov_b32 s4, exec_lo
	s_wait_kmcnt 0x0
	v_cmpx_gt_u64_e64 s[2:3], v[4:5]
	s_cbranch_execz .LBB52_15
; %bb.13:
	s_clause 0x1
	s_load_b32 s4, s[0:1], 0x30
	s_load_b64 s[6:7], s[0:1], 0x20
	s_mov_b32 s5, 0
	s_wait_xcnt 0x0
	s_mov_b32 s1, s5
	s_wait_kmcnt 0x0
	s_add_co_i32 s0, s4, -1
	v_lshl_add_u64 v[2:3], v[4:5], 2, s[6:7]
	v_mad_nc_u64_u32 v[0:1], s4, v4, s[0:1]
	s_mul_i32 s0, s14, s15
	s_delay_alu instid0(SALU_CYCLE_1) | instskip(NEXT) | instid1(SALU_CYCLE_1)
	s_mul_u64 s[8:9], s[4:5], s[0:1]
	s_lshl_b64 s[8:9], s[8:9], 2
	s_delay_alu instid0(SALU_CYCLE_1) | instskip(SKIP_1) | instid1(VALU_DEP_1)
	s_sub_nc_u64 s[6:7], 0, s[8:9]
	s_lshl_b64 s[8:9], s[0:1], 2
	v_not_b32_e32 v1, v1
	s_delay_alu instid0(VALU_DEP_2) | instskip(NEXT) | instid1(VALU_DEP_1)
	v_not_b32_e32 v0, v0
	v_lshl_add_u64 v[0:1], v[0:1], 2, s[10:11]
.LBB52_14:                              ; =>This Inner Loop Header: Depth=1
	global_load_b32 v6, v[0:1], off
	v_add_nc_u64_e32 v[4:5], s[0:1], v[4:5]
	s_wait_xcnt 0x0
	v_add_nc_u64_e32 v[0:1], s[6:7], v[0:1]
	s_delay_alu instid0(VALU_DEP_2)
	v_cmp_le_u64_e32 vcc_lo, s[2:3], v[4:5]
	s_or_b32 s5, vcc_lo, s5
	s_wait_loadcnt 0x0
	global_store_b32 v[2:3], v6, off
	s_wait_xcnt 0x0
	v_add_nc_u64_e32 v[2:3], s[8:9], v[2:3]
	s_and_not1_b32 exec_lo, exec_lo, s5
	s_cbranch_execnz .LBB52_14
.LBB52_15:
	s_endpgm
	.section	.rodata,"a",@progbits
	.p2align	6, 0x0
	.amdhsa_kernel _ZN7rocprim17ROCPRIM_400000_NS6detail30init_device_scan_by_key_kernelINS1_19lookback_scan_stateINS0_5tupleIJibEEELb0ELb1EEEN6thrust23THRUST_200600_302600_NS16reverse_iteratorIPKiEEjNS1_16block_id_wrapperIjLb0EEEEEvT_jjPNSF_10value_typeET0_PNSt15iterator_traitsISI_E10value_typeEmT1_T2_
		.amdhsa_group_segment_fixed_size 0
		.amdhsa_private_segment_fixed_size 0
		.amdhsa_kernarg_size 312
		.amdhsa_user_sgpr_count 2
		.amdhsa_user_sgpr_dispatch_ptr 0
		.amdhsa_user_sgpr_queue_ptr 0
		.amdhsa_user_sgpr_kernarg_segment_ptr 1
		.amdhsa_user_sgpr_dispatch_id 0
		.amdhsa_user_sgpr_kernarg_preload_length 0
		.amdhsa_user_sgpr_kernarg_preload_offset 0
		.amdhsa_user_sgpr_private_segment_size 0
		.amdhsa_wavefront_size32 1
		.amdhsa_uses_dynamic_stack 0
		.amdhsa_enable_private_segment 0
		.amdhsa_system_sgpr_workgroup_id_x 1
		.amdhsa_system_sgpr_workgroup_id_y 0
		.amdhsa_system_sgpr_workgroup_id_z 0
		.amdhsa_system_sgpr_workgroup_info 0
		.amdhsa_system_vgpr_workitem_id 0
		.amdhsa_next_free_vgpr 10
		.amdhsa_next_free_sgpr 17
		.amdhsa_named_barrier_count 0
		.amdhsa_reserve_vcc 1
		.amdhsa_float_round_mode_32 0
		.amdhsa_float_round_mode_16_64 0
		.amdhsa_float_denorm_mode_32 3
		.amdhsa_float_denorm_mode_16_64 3
		.amdhsa_fp16_overflow 0
		.amdhsa_memory_ordered 1
		.amdhsa_forward_progress 1
		.amdhsa_inst_pref_size 5
		.amdhsa_round_robin_scheduling 0
		.amdhsa_exception_fp_ieee_invalid_op 0
		.amdhsa_exception_fp_denorm_src 0
		.amdhsa_exception_fp_ieee_div_zero 0
		.amdhsa_exception_fp_ieee_overflow 0
		.amdhsa_exception_fp_ieee_underflow 0
		.amdhsa_exception_fp_ieee_inexact 0
		.amdhsa_exception_int_div_zero 0
	.end_amdhsa_kernel
	.section	.text._ZN7rocprim17ROCPRIM_400000_NS6detail30init_device_scan_by_key_kernelINS1_19lookback_scan_stateINS0_5tupleIJibEEELb0ELb1EEEN6thrust23THRUST_200600_302600_NS16reverse_iteratorIPKiEEjNS1_16block_id_wrapperIjLb0EEEEEvT_jjPNSF_10value_typeET0_PNSt15iterator_traitsISI_E10value_typeEmT1_T2_,"axG",@progbits,_ZN7rocprim17ROCPRIM_400000_NS6detail30init_device_scan_by_key_kernelINS1_19lookback_scan_stateINS0_5tupleIJibEEELb0ELb1EEEN6thrust23THRUST_200600_302600_NS16reverse_iteratorIPKiEEjNS1_16block_id_wrapperIjLb0EEEEEvT_jjPNSF_10value_typeET0_PNSt15iterator_traitsISI_E10value_typeEmT1_T2_,comdat
.Lfunc_end52:
	.size	_ZN7rocprim17ROCPRIM_400000_NS6detail30init_device_scan_by_key_kernelINS1_19lookback_scan_stateINS0_5tupleIJibEEELb0ELb1EEEN6thrust23THRUST_200600_302600_NS16reverse_iteratorIPKiEEjNS1_16block_id_wrapperIjLb0EEEEEvT_jjPNSF_10value_typeET0_PNSt15iterator_traitsISI_E10value_typeEmT1_T2_, .Lfunc_end52-_ZN7rocprim17ROCPRIM_400000_NS6detail30init_device_scan_by_key_kernelINS1_19lookback_scan_stateINS0_5tupleIJibEEELb0ELb1EEEN6thrust23THRUST_200600_302600_NS16reverse_iteratorIPKiEEjNS1_16block_id_wrapperIjLb0EEEEEvT_jjPNSF_10value_typeET0_PNSt15iterator_traitsISI_E10value_typeEmT1_T2_
                                        ; -- End function
	.set _ZN7rocprim17ROCPRIM_400000_NS6detail30init_device_scan_by_key_kernelINS1_19lookback_scan_stateINS0_5tupleIJibEEELb0ELb1EEEN6thrust23THRUST_200600_302600_NS16reverse_iteratorIPKiEEjNS1_16block_id_wrapperIjLb0EEEEEvT_jjPNSF_10value_typeET0_PNSt15iterator_traitsISI_E10value_typeEmT1_T2_.num_vgpr, 10
	.set _ZN7rocprim17ROCPRIM_400000_NS6detail30init_device_scan_by_key_kernelINS1_19lookback_scan_stateINS0_5tupleIJibEEELb0ELb1EEEN6thrust23THRUST_200600_302600_NS16reverse_iteratorIPKiEEjNS1_16block_id_wrapperIjLb0EEEEEvT_jjPNSF_10value_typeET0_PNSt15iterator_traitsISI_E10value_typeEmT1_T2_.num_agpr, 0
	.set _ZN7rocprim17ROCPRIM_400000_NS6detail30init_device_scan_by_key_kernelINS1_19lookback_scan_stateINS0_5tupleIJibEEELb0ELb1EEEN6thrust23THRUST_200600_302600_NS16reverse_iteratorIPKiEEjNS1_16block_id_wrapperIjLb0EEEEEvT_jjPNSF_10value_typeET0_PNSt15iterator_traitsISI_E10value_typeEmT1_T2_.numbered_sgpr, 17
	.set _ZN7rocprim17ROCPRIM_400000_NS6detail30init_device_scan_by_key_kernelINS1_19lookback_scan_stateINS0_5tupleIJibEEELb0ELb1EEEN6thrust23THRUST_200600_302600_NS16reverse_iteratorIPKiEEjNS1_16block_id_wrapperIjLb0EEEEEvT_jjPNSF_10value_typeET0_PNSt15iterator_traitsISI_E10value_typeEmT1_T2_.num_named_barrier, 0
	.set _ZN7rocprim17ROCPRIM_400000_NS6detail30init_device_scan_by_key_kernelINS1_19lookback_scan_stateINS0_5tupleIJibEEELb0ELb1EEEN6thrust23THRUST_200600_302600_NS16reverse_iteratorIPKiEEjNS1_16block_id_wrapperIjLb0EEEEEvT_jjPNSF_10value_typeET0_PNSt15iterator_traitsISI_E10value_typeEmT1_T2_.private_seg_size, 0
	.set _ZN7rocprim17ROCPRIM_400000_NS6detail30init_device_scan_by_key_kernelINS1_19lookback_scan_stateINS0_5tupleIJibEEELb0ELb1EEEN6thrust23THRUST_200600_302600_NS16reverse_iteratorIPKiEEjNS1_16block_id_wrapperIjLb0EEEEEvT_jjPNSF_10value_typeET0_PNSt15iterator_traitsISI_E10value_typeEmT1_T2_.uses_vcc, 1
	.set _ZN7rocprim17ROCPRIM_400000_NS6detail30init_device_scan_by_key_kernelINS1_19lookback_scan_stateINS0_5tupleIJibEEELb0ELb1EEEN6thrust23THRUST_200600_302600_NS16reverse_iteratorIPKiEEjNS1_16block_id_wrapperIjLb0EEEEEvT_jjPNSF_10value_typeET0_PNSt15iterator_traitsISI_E10value_typeEmT1_T2_.uses_flat_scratch, 0
	.set _ZN7rocprim17ROCPRIM_400000_NS6detail30init_device_scan_by_key_kernelINS1_19lookback_scan_stateINS0_5tupleIJibEEELb0ELb1EEEN6thrust23THRUST_200600_302600_NS16reverse_iteratorIPKiEEjNS1_16block_id_wrapperIjLb0EEEEEvT_jjPNSF_10value_typeET0_PNSt15iterator_traitsISI_E10value_typeEmT1_T2_.has_dyn_sized_stack, 0
	.set _ZN7rocprim17ROCPRIM_400000_NS6detail30init_device_scan_by_key_kernelINS1_19lookback_scan_stateINS0_5tupleIJibEEELb0ELb1EEEN6thrust23THRUST_200600_302600_NS16reverse_iteratorIPKiEEjNS1_16block_id_wrapperIjLb0EEEEEvT_jjPNSF_10value_typeET0_PNSt15iterator_traitsISI_E10value_typeEmT1_T2_.has_recursion, 0
	.set _ZN7rocprim17ROCPRIM_400000_NS6detail30init_device_scan_by_key_kernelINS1_19lookback_scan_stateINS0_5tupleIJibEEELb0ELb1EEEN6thrust23THRUST_200600_302600_NS16reverse_iteratorIPKiEEjNS1_16block_id_wrapperIjLb0EEEEEvT_jjPNSF_10value_typeET0_PNSt15iterator_traitsISI_E10value_typeEmT1_T2_.has_indirect_call, 0
	.section	.AMDGPU.csdata,"",@progbits
; Kernel info:
; codeLenInByte = 592
; TotalNumSgprs: 19
; NumVgprs: 10
; ScratchSize: 0
; MemoryBound: 0
; FloatMode: 240
; IeeeMode: 1
; LDSByteSize: 0 bytes/workgroup (compile time only)
; SGPRBlocks: 0
; VGPRBlocks: 0
; NumSGPRsForWavesPerEU: 19
; NumVGPRsForWavesPerEU: 10
; NamedBarCnt: 0
; Occupancy: 16
; WaveLimiterHint : 0
; COMPUTE_PGM_RSRC2:SCRATCH_EN: 0
; COMPUTE_PGM_RSRC2:USER_SGPR: 2
; COMPUTE_PGM_RSRC2:TRAP_HANDLER: 0
; COMPUTE_PGM_RSRC2:TGID_X_EN: 1
; COMPUTE_PGM_RSRC2:TGID_Y_EN: 0
; COMPUTE_PGM_RSRC2:TGID_Z_EN: 0
; COMPUTE_PGM_RSRC2:TIDIG_COMP_CNT: 0
	.section	.text._ZN7rocprim17ROCPRIM_400000_NS6detail17trampoline_kernelINS0_14default_configENS1_27scan_by_key_config_selectorIiiEEZZNS1_16scan_by_key_implILNS1_25lookback_scan_determinismE0ELb0ES3_N6thrust23THRUST_200600_302600_NS16reverse_iteratorIPKiEESD_NSA_IPiEEiN6hipcub16HIPCUB_304000_NS3MaxENSH_8EqualityEiEE10hipError_tPvRmT2_T3_T4_T5_mT6_T7_P12ihipStream_tbENKUlT_T0_E_clISt17integral_constantIbLb0EES10_EEDaSV_SW_EUlSV_E_NS1_11comp_targetILNS1_3genE0ELNS1_11target_archE4294967295ELNS1_3gpuE0ELNS1_3repE0EEENS1_30default_config_static_selectorELNS0_4arch9wavefront6targetE0EEEvT1_,"axG",@progbits,_ZN7rocprim17ROCPRIM_400000_NS6detail17trampoline_kernelINS0_14default_configENS1_27scan_by_key_config_selectorIiiEEZZNS1_16scan_by_key_implILNS1_25lookback_scan_determinismE0ELb0ES3_N6thrust23THRUST_200600_302600_NS16reverse_iteratorIPKiEESD_NSA_IPiEEiN6hipcub16HIPCUB_304000_NS3MaxENSH_8EqualityEiEE10hipError_tPvRmT2_T3_T4_T5_mT6_T7_P12ihipStream_tbENKUlT_T0_E_clISt17integral_constantIbLb0EES10_EEDaSV_SW_EUlSV_E_NS1_11comp_targetILNS1_3genE0ELNS1_11target_archE4294967295ELNS1_3gpuE0ELNS1_3repE0EEENS1_30default_config_static_selectorELNS0_4arch9wavefront6targetE0EEEvT1_,comdat
	.protected	_ZN7rocprim17ROCPRIM_400000_NS6detail17trampoline_kernelINS0_14default_configENS1_27scan_by_key_config_selectorIiiEEZZNS1_16scan_by_key_implILNS1_25lookback_scan_determinismE0ELb0ES3_N6thrust23THRUST_200600_302600_NS16reverse_iteratorIPKiEESD_NSA_IPiEEiN6hipcub16HIPCUB_304000_NS3MaxENSH_8EqualityEiEE10hipError_tPvRmT2_T3_T4_T5_mT6_T7_P12ihipStream_tbENKUlT_T0_E_clISt17integral_constantIbLb0EES10_EEDaSV_SW_EUlSV_E_NS1_11comp_targetILNS1_3genE0ELNS1_11target_archE4294967295ELNS1_3gpuE0ELNS1_3repE0EEENS1_30default_config_static_selectorELNS0_4arch9wavefront6targetE0EEEvT1_ ; -- Begin function _ZN7rocprim17ROCPRIM_400000_NS6detail17trampoline_kernelINS0_14default_configENS1_27scan_by_key_config_selectorIiiEEZZNS1_16scan_by_key_implILNS1_25lookback_scan_determinismE0ELb0ES3_N6thrust23THRUST_200600_302600_NS16reverse_iteratorIPKiEESD_NSA_IPiEEiN6hipcub16HIPCUB_304000_NS3MaxENSH_8EqualityEiEE10hipError_tPvRmT2_T3_T4_T5_mT6_T7_P12ihipStream_tbENKUlT_T0_E_clISt17integral_constantIbLb0EES10_EEDaSV_SW_EUlSV_E_NS1_11comp_targetILNS1_3genE0ELNS1_11target_archE4294967295ELNS1_3gpuE0ELNS1_3repE0EEENS1_30default_config_static_selectorELNS0_4arch9wavefront6targetE0EEEvT1_
	.globl	_ZN7rocprim17ROCPRIM_400000_NS6detail17trampoline_kernelINS0_14default_configENS1_27scan_by_key_config_selectorIiiEEZZNS1_16scan_by_key_implILNS1_25lookback_scan_determinismE0ELb0ES3_N6thrust23THRUST_200600_302600_NS16reverse_iteratorIPKiEESD_NSA_IPiEEiN6hipcub16HIPCUB_304000_NS3MaxENSH_8EqualityEiEE10hipError_tPvRmT2_T3_T4_T5_mT6_T7_P12ihipStream_tbENKUlT_T0_E_clISt17integral_constantIbLb0EES10_EEDaSV_SW_EUlSV_E_NS1_11comp_targetILNS1_3genE0ELNS1_11target_archE4294967295ELNS1_3gpuE0ELNS1_3repE0EEENS1_30default_config_static_selectorELNS0_4arch9wavefront6targetE0EEEvT1_
	.p2align	8
	.type	_ZN7rocprim17ROCPRIM_400000_NS6detail17trampoline_kernelINS0_14default_configENS1_27scan_by_key_config_selectorIiiEEZZNS1_16scan_by_key_implILNS1_25lookback_scan_determinismE0ELb0ES3_N6thrust23THRUST_200600_302600_NS16reverse_iteratorIPKiEESD_NSA_IPiEEiN6hipcub16HIPCUB_304000_NS3MaxENSH_8EqualityEiEE10hipError_tPvRmT2_T3_T4_T5_mT6_T7_P12ihipStream_tbENKUlT_T0_E_clISt17integral_constantIbLb0EES10_EEDaSV_SW_EUlSV_E_NS1_11comp_targetILNS1_3genE0ELNS1_11target_archE4294967295ELNS1_3gpuE0ELNS1_3repE0EEENS1_30default_config_static_selectorELNS0_4arch9wavefront6targetE0EEEvT1_,@function
_ZN7rocprim17ROCPRIM_400000_NS6detail17trampoline_kernelINS0_14default_configENS1_27scan_by_key_config_selectorIiiEEZZNS1_16scan_by_key_implILNS1_25lookback_scan_determinismE0ELb0ES3_N6thrust23THRUST_200600_302600_NS16reverse_iteratorIPKiEESD_NSA_IPiEEiN6hipcub16HIPCUB_304000_NS3MaxENSH_8EqualityEiEE10hipError_tPvRmT2_T3_T4_T5_mT6_T7_P12ihipStream_tbENKUlT_T0_E_clISt17integral_constantIbLb0EES10_EEDaSV_SW_EUlSV_E_NS1_11comp_targetILNS1_3genE0ELNS1_11target_archE4294967295ELNS1_3gpuE0ELNS1_3repE0EEENS1_30default_config_static_selectorELNS0_4arch9wavefront6targetE0EEEvT1_: ; @_ZN7rocprim17ROCPRIM_400000_NS6detail17trampoline_kernelINS0_14default_configENS1_27scan_by_key_config_selectorIiiEEZZNS1_16scan_by_key_implILNS1_25lookback_scan_determinismE0ELb0ES3_N6thrust23THRUST_200600_302600_NS16reverse_iteratorIPKiEESD_NSA_IPiEEiN6hipcub16HIPCUB_304000_NS3MaxENSH_8EqualityEiEE10hipError_tPvRmT2_T3_T4_T5_mT6_T7_P12ihipStream_tbENKUlT_T0_E_clISt17integral_constantIbLb0EES10_EEDaSV_SW_EUlSV_E_NS1_11comp_targetILNS1_3genE0ELNS1_11target_archE4294967295ELNS1_3gpuE0ELNS1_3repE0EEENS1_30default_config_static_selectorELNS0_4arch9wavefront6targetE0EEEvT1_
; %bb.0:
	s_clause 0x3
	s_load_b256 s[12:19], s[0:1], 0x0
	s_load_b256 s[20:27], s[0:1], 0x48
	s_load_b96 s[36:38], s[0:1], 0x38
	s_load_b128 s[28:31], s[0:1], 0x28
	s_getreg_b32 s2, hwreg(HW_REG_IB_STS2, 6, 4)
	s_mov_b32 s35, 0
	s_barrier_signal -1
	s_barrier_wait -1
	s_wait_kmcnt 0x0
	s_lshl_b64 s[0:1], s[14:15], 2
	s_cmp_eq_u64 s[24:25], 0
	s_mov_b32 s34, s38
	s_cselect_b32 s33, -1, 0
	s_bfe_u32 s3, ttmp6, 0x4000c
	s_and_b32 s4, ttmp6, 15
	s_add_co_i32 s3, s3, 1
	s_mov_b32 s25, s35
	s_mul_i32 s3, ttmp9, s3
	s_delay_alu instid0(SALU_CYCLE_1)
	s_add_co_i32 s4, s4, s3
	s_cmp_eq_u32 s2, 0
	s_mul_u64 s[2:3], s[36:37], s[34:35]
	s_cselect_b32 s24, ttmp9, s4
	s_add_nc_u64 s[4:5], s[20:21], -1
	s_add_nc_u64 s[20:21], s[2:3], s[24:25]
	s_mul_i32 s34, s24, 0xc00
	v_cmp_ge_u64_e64 s25, s[20:21], s[4:5]
	s_sub_nc_u64 s[2:3], s[12:13], s[0:1]
	s_lshl_b64 s[6:7], s[34:35], 2
	s_sub_nc_u64 s[0:1], s[16:17], s[0:1]
	s_sub_nc_u64 s[16:17], s[2:3], s[6:7]
	;; [unrolled: 1-line block ×3, first 2 shown]
	s_mul_i32 s31, s4, 0xfffff400
	s_and_b32 vcc_lo, exec_lo, s25
	s_add_nc_u64 s[38:39], s[16:17], -4
	s_cbranch_vccz .LBB53_64
; %bb.1:
	v_mov_b32_e32 v3, 0
	s_add_co_i32 s40, s31, s30
	s_delay_alu instid0(SALU_CYCLE_1)
	v_cmp_gt_u32_e32 vcc_lo, s40, v0
	flat_load_b32 v1, v3, s[16:17] offset:-4
	s_wait_loadcnt_dscnt 0x0
	v_mov_b32_e32 v2, v1
	s_and_saveexec_b32 s0, vcc_lo
	s_cbranch_execz .LBB53_3
; %bb.2:
	v_lshlrev_b32_e32 v2, 2, v0
	s_delay_alu instid0(VALU_DEP_1)
	v_sub_nc_u64_e32 v[2:3], s[16:17], v[2:3]
	flat_load_b32 v2, v[2:3] offset:-4
.LBB53_3:
	s_wait_xcnt 0x0
	s_or_b32 exec_lo, exec_lo, s0
	v_or_b32_e32 v3, 0x100, v0
	s_delay_alu instid0(VALU_DEP_1)
	v_cmp_gt_u32_e64 s0, s40, v3
	v_mov_b32_e32 v3, v1
	s_and_saveexec_b32 s1, s0
	s_cbranch_execz .LBB53_5
; %bb.4:
	v_dual_mov_b32 v5, 0 :: v_dual_lshlrev_b32 v4, 2, v0
	s_delay_alu instid0(VALU_DEP_1)
	v_sub_nc_u64_e32 v[4:5], s[16:17], v[4:5]
	flat_load_b32 v3, v[4:5] offset:-1028
.LBB53_5:
	s_wait_xcnt 0x0
	s_or_b32 exec_lo, exec_lo, s1
	v_or_b32_e32 v4, 0x200, v0
	s_delay_alu instid0(VALU_DEP_1)
	v_cmp_gt_u32_e64 s1, s40, v4
	v_mov_b32_e32 v4, v1
	s_and_saveexec_b32 s2, s1
	s_cbranch_execz .LBB53_7
; %bb.6:
	v_dual_mov_b32 v5, 0 :: v_dual_lshlrev_b32 v4, 2, v0
	s_delay_alu instid0(VALU_DEP_1)
	v_sub_nc_u64_e32 v[4:5], s[16:17], v[4:5]
	flat_load_b32 v4, v[4:5] offset:-2052
.LBB53_7:
	s_wait_xcnt 0x0
	s_or_b32 exec_lo, exec_lo, s2
	v_or_b32_e32 v5, 0x300, v0
	v_mov_b32_e32 v6, v1
	s_delay_alu instid0(VALU_DEP_2)
	v_cmp_gt_u32_e64 s2, s40, v5
	s_and_saveexec_b32 s3, s2
	s_cbranch_execz .LBB53_9
; %bb.8:
	v_dual_mov_b32 v7, 0 :: v_dual_lshlrev_b32 v6, 2, v0
	s_delay_alu instid0(VALU_DEP_1)
	v_sub_nc_u64_e32 v[6:7], s[16:17], v[6:7]
	flat_load_b32 v6, v[6:7] offset:-3076
.LBB53_9:
	s_wait_xcnt 0x0
	s_or_b32 exec_lo, exec_lo, s3
	v_or_b32_e32 v5, 0x400, v0
	v_mov_b32_e32 v7, v1
	s_delay_alu instid0(VALU_DEP_2)
	v_cmp_gt_u32_e64 s3, s40, v5
	;; [unrolled: 14-line block ×8, first 2 shown]
	s_and_saveexec_b32 s10, s9
	s_cbranch_execz .LBB53_23
; %bb.22:
	v_dual_mov_b32 v15, 0 :: v_dual_lshlrev_b32 v14, 2, v0
	s_delay_alu instid0(VALU_DEP_1)
	v_sub_nc_u64_e32 v[14:15], s[16:17], v[14:15]
	flat_load_b32 v13, v[14:15] offset:-10244
.LBB53_23:
	s_wait_xcnt 0x0
	s_or_b32 exec_lo, exec_lo, s10
	v_or_b32_e32 v5, 0xb00, v0
	s_delay_alu instid0(VALU_DEP_1) | instskip(SKIP_2) | instid1(SALU_CYCLE_1)
	v_cmp_gt_u32_e64 s10, s40, v5
	v_cmp_le_u32_e64 s11, s40, v5
	s_and_saveexec_b32 s41, s11
	s_xor_b32 s11, exec_lo, s41
	s_delay_alu instid0(SALU_CYCLE_1)
	s_and_not1_saveexec_b32 s11, s11
	s_cbranch_execz .LBB53_25
; %bb.24:
	v_dual_mov_b32 v15, 0 :: v_dual_lshlrev_b32 v14, 2, v0
	s_delay_alu instid0(VALU_DEP_1)
	v_sub_nc_u64_e32 v[14:15], s[16:17], v[14:15]
	flat_load_b32 v1, v[14:15] offset:-11268
.LBB53_25:
	s_wait_xcnt 0x0
	s_or_b32 exec_lo, exec_lo, s11
	v_lshlrev_b32_e32 v5, 2, v0
	s_lshl_b64 s[42:43], s[20:21], 2
	s_and_b32 s11, s33, exec_lo
	s_add_nc_u64 s[42:43], s[26:27], s[42:43]
	s_wait_loadcnt_dscnt 0x0
	ds_store_2addr_stride64_b32 v5, v2, v3 offset1:4
	ds_store_2addr_stride64_b32 v5, v4, v6 offset0:8 offset1:12
	ds_store_2addr_stride64_b32 v5, v7, v8 offset0:16 offset1:20
	;; [unrolled: 1-line block ×5, first 2 shown]
	s_add_nc_u64 s[42:43], s[42:43], -4
	v_mov_b32_e32 v1, 0
	s_cselect_b32 s11, s16, s42
	s_cselect_b32 s41, s17, s43
	s_cmp_eq_u64 s[20:21], 0
	s_wait_dscnt 0x0
	s_cselect_b32 s43, s39, s41
	s_cselect_b32 s42, s38, s11
	s_barrier_signal -1
	s_barrier_wait -1
	flat_load_b32 v20, v1, s[42:43]
	s_wait_xcnt 0x0
	v_mad_u32_u24 v1, v0, 44, v5
	ds_load_b128 v[6:9], v1 offset:32
	ds_load_b128 v[14:17], v1
	ds_load_b128 v[10:13], v1 offset:16
	v_mad_i32_i24 v2, 0xffffffd4, v0, v1
	s_mov_b32 s41, exec_lo
	s_wait_dscnt 0x2
	ds_store_b32 v2, v9 offset:12288
	s_wait_loadcnt_dscnt 0x0
	s_barrier_signal -1
	s_barrier_wait -1
	v_cmpx_ne_u32_e32 0, v0
; %bb.26:
	v_mul_i32_i24_e32 v2, 0xffffffd4, v0
	s_delay_alu instid0(VALU_DEP_1)
	v_add_nc_u32_e32 v2, v1, v2
	ds_load_b32 v20, v2 offset:12284
; %bb.27:
	s_or_b32 exec_lo, exec_lo, s41
	v_lshlrev_b32_e32 v2, 2, v0
	s_wait_dscnt 0x0
	s_barrier_signal -1
	s_barrier_wait -1
                                        ; implicit-def: $vgpr18
	s_and_saveexec_b32 s11, vcc_lo
	s_cbranch_execz .LBB53_98
; %bb.28:
	v_mov_b32_e32 v3, 0
	s_delay_alu instid0(VALU_DEP_1)
	v_sub_nc_u64_e32 v[18:19], s[12:13], v[2:3]
	flat_load_b32 v18, v[18:19] offset:-4
	s_wait_xcnt 0x0
	s_or_b32 exec_lo, exec_lo, s11
                                        ; implicit-def: $vgpr19
	s_and_saveexec_b32 s11, s0
	s_cbranch_execnz .LBB53_99
.LBB53_29:
	s_or_b32 exec_lo, exec_lo, s11
                                        ; implicit-def: $vgpr21
	s_and_saveexec_b32 s0, s1
	s_cbranch_execz .LBB53_100
.LBB53_30:
	v_mov_b32_e32 v3, 0
	s_delay_alu instid0(VALU_DEP_1)
	v_sub_nc_u64_e32 v[22:23], s[12:13], v[2:3]
	flat_load_b32 v21, v[22:23] offset:-2052
	s_wait_xcnt 0x0
	s_or_b32 exec_lo, exec_lo, s0
                                        ; implicit-def: $vgpr22
	s_and_saveexec_b32 s0, s2
	s_cbranch_execnz .LBB53_101
.LBB53_31:
	s_or_b32 exec_lo, exec_lo, s0
                                        ; implicit-def: $vgpr23
	s_and_saveexec_b32 s0, s3
	s_cbranch_execz .LBB53_102
.LBB53_32:
	v_mov_b32_e32 v3, 0
	s_delay_alu instid0(VALU_DEP_1)
	v_sub_nc_u64_e32 v[24:25], s[12:13], v[2:3]
	flat_load_b32 v23, v[24:25] offset:-4100
	s_wait_xcnt 0x0
	s_or_b32 exec_lo, exec_lo, s0
                                        ; implicit-def: $vgpr24
	s_and_saveexec_b32 s0, s4
	s_cbranch_execnz .LBB53_103
.LBB53_33:
	s_or_b32 exec_lo, exec_lo, s0
                                        ; implicit-def: $vgpr25
	s_and_saveexec_b32 s0, s5
	s_cbranch_execz .LBB53_104
.LBB53_34:
	v_mov_b32_e32 v3, 0
	s_delay_alu instid0(VALU_DEP_1)
	v_sub_nc_u64_e32 v[26:27], s[12:13], v[2:3]
	flat_load_b32 v25, v[26:27] offset:-6148
	s_wait_xcnt 0x0
	s_or_b32 exec_lo, exec_lo, s0
                                        ; implicit-def: $vgpr26
	s_and_saveexec_b32 s0, s6
	s_cbranch_execnz .LBB53_105
.LBB53_35:
	s_or_b32 exec_lo, exec_lo, s0
                                        ; implicit-def: $vgpr27
	s_and_saveexec_b32 s0, s7
	s_cbranch_execz .LBB53_106
.LBB53_36:
	v_mov_b32_e32 v3, 0
	s_delay_alu instid0(VALU_DEP_1)
	v_sub_nc_u64_e32 v[28:29], s[12:13], v[2:3]
	flat_load_b32 v27, v[28:29] offset:-8196
	s_wait_xcnt 0x0
	s_or_b32 exec_lo, exec_lo, s0
                                        ; implicit-def: $vgpr28
	s_and_saveexec_b32 s0, s8
	s_cbranch_execnz .LBB53_107
.LBB53_37:
	s_or_b32 exec_lo, exec_lo, s0
                                        ; implicit-def: $vgpr29
	s_and_saveexec_b32 s0, s9
	s_cbranch_execz .LBB53_39
.LBB53_38:
	v_mov_b32_e32 v3, 0
	s_delay_alu instid0(VALU_DEP_1)
	v_sub_nc_u64_e32 v[30:31], s[12:13], v[2:3]
	flat_load_b32 v29, v[30:31] offset:-10244
.LBB53_39:
	s_wait_xcnt 0x0
	s_or_b32 exec_lo, exec_lo, s0
	v_mul_u32_u24_e32 v4, 12, v0
                                        ; implicit-def: $vgpr3
	s_and_saveexec_b32 s0, s10
	s_cbranch_execz .LBB53_41
; %bb.40:
	v_mov_b32_e32 v3, 0
	s_delay_alu instid0(VALU_DEP_1)
	v_sub_nc_u64_e32 v[2:3], s[12:13], v[2:3]
	flat_load_b32 v3, v[2:3] offset:-11268
.LBB53_41:
	s_wait_xcnt 0x0
	s_or_b32 exec_lo, exec_lo, s0
	s_wait_loadcnt_dscnt 0x0
	ds_store_2addr_stride64_b32 v5, v18, v19 offset1:4
	ds_store_2addr_stride64_b32 v5, v21, v22 offset0:8 offset1:12
	ds_store_2addr_stride64_b32 v5, v23, v24 offset0:16 offset1:20
	;; [unrolled: 1-line block ×5, first 2 shown]
	v_mov_b64_e32 v[18:19], 0
	v_mov_b64_e32 v[42:43], 0
	;; [unrolled: 1-line block ×20, first 2 shown]
	s_mov_b32 s1, 0
	s_mov_b32 s4, 0
	s_mov_b32 s3, exec_lo
	s_wait_dscnt 0x0
	s_barrier_signal -1
	s_barrier_wait -1
                                        ; implicit-def: $sgpr2
                                        ; implicit-def: $vgpr5
	v_cmpx_gt_u32_e64 s40, v4
	s_cbranch_execz .LBB53_63
; %bb.42:
	ds_load_b32 v18, v1
	v_cmp_ne_u32_e32 vcc_lo, v20, v14
	v_mov_b64_e32 v[42:43], 0
	v_mov_b64_e32 v[46:47], 0
	;; [unrolled: 1-line block ×18, first 2 shown]
	v_or_b32_e32 v2, 1, v4
	v_cndmask_b32_e64 v19, 0, 1, vcc_lo
	s_mov_b32 s0, 0
	s_mov_b32 s4, exec_lo
                                        ; implicit-def: $sgpr2
                                        ; implicit-def: $vgpr5
	s_delay_alu instid0(VALU_DEP_2)
	v_cmpx_gt_u32_e64 s40, v2
	s_cbranch_execz .LBB53_62
; %bb.43:
	ds_load_2addr_b32 v[42:43], v1 offset0:1 offset1:2
	v_cmp_ne_u32_e32 vcc_lo, v14, v15
	v_mov_b64_e32 v[46:47], 0
	v_mov_b64_e32 v[44:45], 0
	v_mov_b64_e32 v[48:49], 0
	v_mov_b64_e32 v[50:51], 0
	v_mov_b64_e32 v[52:53], 0
	v_mov_b64_e32 v[54:55], 0
	v_mov_b64_e32 v[56:57], 0
	v_mov_b64_e32 v[58:59], 0
	v_mov_b64_e32 v[36:37], 0
	v_mov_b64_e32 v[34:35], 0
	v_mov_b64_e32 v[32:33], 0
	v_mov_b64_e32 v[30:31], 0
	v_mov_b64_e32 v[28:29], 0
	v_mov_b64_e32 v[26:27], 0
	v_mov_b64_e32 v[24:25], 0
	v_mov_b64_e32 v[22:23], 0
	v_or_b32_e32 v3, 2, v4
	v_cndmask_b32_e64 v2, 0, 1, vcc_lo
	s_mov_b32 s5, exec_lo
                                        ; implicit-def: $sgpr2
                                        ; implicit-def: $vgpr5
	s_delay_alu instid0(VALU_DEP_2)
	v_cmpx_gt_u32_e64 s40, v3
	s_cbranch_execz .LBB53_61
; %bb.44:
	v_cmp_ne_u32_e32 vcc_lo, v15, v16
	v_mov_b64_e32 v[44:45], 0
	v_mov_b64_e32 v[48:49], 0
	;; [unrolled: 1-line block ×14, first 2 shown]
	v_or_b32_e32 v3, 3, v4
	v_cndmask_b32_e64 v47, 0, 1, vcc_lo
	s_mov_b32 s6, exec_lo
                                        ; implicit-def: $sgpr2
                                        ; implicit-def: $vgpr5
	s_delay_alu instid0(VALU_DEP_2)
	v_cmpx_gt_u32_e64 s40, v3
	s_cbranch_execz .LBB53_60
; %bb.45:
	ds_load_2addr_b32 v[44:45], v1 offset0:3 offset1:4
	v_add_nc_u32_e32 v5, 4, v4
	v_cmp_ne_u32_e32 vcc_lo, v16, v17
	v_mov_b64_e32 v[48:49], 0
	v_mov_b64_e32 v[50:51], 0
	v_mov_b64_e32 v[52:53], 0
	v_mov_b64_e32 v[54:55], 0
	v_mov_b64_e32 v[56:57], 0
	v_mov_b64_e32 v[58:59], 0
	v_mov_b64_e32 v[32:33], 0
	v_mov_b64_e32 v[30:31], 0
	v_mov_b64_e32 v[28:29], 0
	v_mov_b64_e32 v[26:27], 0
	v_mov_b64_e32 v[24:25], 0
	v_mov_b64_e32 v[22:23], 0
	v_cndmask_b32_e64 v3, 0, 1, vcc_lo
	v_cmp_gt_u32_e32 vcc_lo, s40, v5
                                        ; implicit-def: $sgpr2
                                        ; implicit-def: $vgpr5
	s_and_saveexec_b32 s7, vcc_lo
	s_cbranch_execz .LBB53_59
; %bb.46:
	v_add_nc_u32_e32 v5, 5, v4
	v_cmp_ne_u32_e32 vcc_lo, v17, v10
	v_mov_b64_e32 v[50:51], 0
	v_mov_b64_e32 v[52:53], 0
	v_mov_b64_e32 v[54:55], 0
	v_mov_b64_e32 v[56:57], 0
	v_mov_b64_e32 v[58:59], 0
	v_mov_b64_e32 v[30:31], 0
	v_mov_b64_e32 v[28:29], 0
	v_mov_b64_e32 v[26:27], 0
	v_mov_b64_e32 v[24:25], 0
	v_mov_b64_e32 v[22:23], 0
	v_cndmask_b32_e64 v49, 0, 1, vcc_lo
	v_cmp_gt_u32_e32 vcc_lo, s40, v5
                                        ; implicit-def: $sgpr2
                                        ; implicit-def: $vgpr5
	s_and_saveexec_b32 s8, vcc_lo
	s_cbranch_execz .LBB53_58
; %bb.47:
	ds_load_2addr_b32 v[50:51], v1 offset0:5 offset1:6
	v_add_nc_u32_e32 v5, 6, v4
	v_cmp_ne_u32_e32 vcc_lo, v10, v11
	v_mov_b64_e32 v[52:53], 0
	v_mov_b64_e32 v[54:55], 0
	;; [unrolled: 1-line block ×8, first 2 shown]
	v_cndmask_b32_e64 v10, 0, 1, vcc_lo
	v_cmp_gt_u32_e32 vcc_lo, s40, v5
                                        ; implicit-def: $sgpr2
                                        ; implicit-def: $vgpr5
	s_and_saveexec_b32 s9, vcc_lo
	s_cbranch_execz .LBB53_57
; %bb.48:
	v_add_nc_u32_e32 v5, 7, v4
	v_cmp_ne_u32_e32 vcc_lo, v11, v12
	v_mov_b64_e32 v[54:55], 0
	v_mov_b64_e32 v[56:57], 0
	;; [unrolled: 1-line block ×6, first 2 shown]
	v_cndmask_b32_e64 v53, 0, 1, vcc_lo
	v_cmp_gt_u32_e32 vcc_lo, s40, v5
                                        ; implicit-def: $sgpr2
                                        ; implicit-def: $vgpr5
	s_and_saveexec_b32 s10, vcc_lo
	s_cbranch_execz .LBB53_56
; %bb.49:
	ds_load_2addr_b32 v[54:55], v1 offset0:7 offset1:8
	v_add_nc_u32_e32 v5, 8, v4
	v_cmp_ne_u32_e32 vcc_lo, v12, v13
	v_mov_b64_e32 v[56:57], 0
	v_mov_b64_e32 v[58:59], 0
	;; [unrolled: 1-line block ×4, first 2 shown]
	v_cndmask_b32_e64 v11, 0, 1, vcc_lo
	v_cmp_gt_u32_e32 vcc_lo, s40, v5
                                        ; implicit-def: $sgpr2
                                        ; implicit-def: $vgpr5
	s_and_saveexec_b32 s11, vcc_lo
	s_cbranch_execz .LBB53_55
; %bb.50:
	v_add_nc_u32_e32 v5, 9, v4
	v_cmp_ne_u32_e32 vcc_lo, v13, v6
	v_mov_b64_e32 v[58:59], 0
	v_mov_b64_e32 v[22:23], 0
                                        ; implicit-def: $sgpr2
	v_cndmask_b32_e64 v57, 0, 1, vcc_lo
	v_cmp_gt_u32_e32 vcc_lo, s40, v5
                                        ; implicit-def: $vgpr5
	s_and_saveexec_b32 s41, vcc_lo
	s_cbranch_execz .LBB53_54
; %bb.51:
	ds_load_2addr_b32 v[58:59], v1 offset0:9 offset1:10
	v_add_nc_u32_e32 v5, 10, v4
	v_cmp_ne_u32_e32 vcc_lo, v6, v7
	v_mov_b64_e32 v[22:23], 0
                                        ; implicit-def: $sgpr2
	v_cndmask_b32_e64 v6, 0, 1, vcc_lo
	s_delay_alu instid0(VALU_DEP_4) | instskip(SKIP_1) | instid1(SALU_CYCLE_1)
	v_cmp_gt_u32_e32 vcc_lo, s40, v5
                                        ; implicit-def: $vgpr5
	s_and_saveexec_b32 s42, vcc_lo
	s_xor_b32 s42, exec_lo, s42
	s_cbranch_execz .LBB53_53
; %bb.52:
	ds_load_b32 v5, v1 offset:44
	s_wait_dscnt 0x1
	v_dual_mov_b32 v22, v59 :: v_dual_add_nc_u32 v1, 11, v4
	v_cmp_ne_u32_e64 s0, v7, v8
	v_cmp_ne_u32_e64 s2, v8, v9
	s_delay_alu instid0(VALU_DEP_3) | instskip(NEXT) | instid1(VALU_DEP_3)
	v_cmp_gt_u32_e32 vcc_lo, s40, v1
	v_cndmask_b32_e64 v23, 0, 1, s0
	s_and_b32 s0, vcc_lo, exec_lo
.LBB53_53:
	s_or_b32 exec_lo, exec_lo, s42
	s_wait_dscnt 0x0
	v_mov_b32_e32 v59, v6
	s_and_b32 s0, s0, exec_lo
.LBB53_54:
	s_or_b32 exec_lo, exec_lo, s41
	s_delay_alu instid0(VALU_DEP_1)
	v_mov_b64_e32 v[24:25], v[58:59]
	s_wait_dscnt 0x0
	v_mov_b32_e32 v56, v55
	s_and_b32 s0, s0, exec_lo
.LBB53_55:
	s_or_b32 exec_lo, exec_lo, s11
	s_delay_alu instid0(VALU_DEP_1)
	v_mov_b64_e32 v[26:27], v[56:57]
	s_wait_dscnt 0x0
	v_mov_b32_e32 v55, v11
	s_and_b32 s0, s0, exec_lo
.LBB53_56:
	s_or_b32 exec_lo, exec_lo, s10
	s_delay_alu instid0(VALU_DEP_1)
	v_mov_b64_e32 v[28:29], v[54:55]
	s_wait_dscnt 0x0
	v_mov_b32_e32 v52, v51
	s_and_b32 s0, s0, exec_lo
.LBB53_57:
	s_or_b32 exec_lo, exec_lo, s9
	s_delay_alu instid0(VALU_DEP_1)
	v_mov_b64_e32 v[30:31], v[52:53]
	s_wait_dscnt 0x0
	v_mov_b32_e32 v51, v10
	s_and_b32 s0, s0, exec_lo
.LBB53_58:
	s_or_b32 exec_lo, exec_lo, s8
	s_delay_alu instid0(VALU_DEP_1)
	v_mov_b64_e32 v[32:33], v[50:51]
	s_wait_dscnt 0x0
	v_mov_b32_e32 v48, v45
	s_and_b32 s0, s0, exec_lo
.LBB53_59:
	s_or_b32 exec_lo, exec_lo, s7
	s_delay_alu instid0(VALU_DEP_1)
	v_mov_b64_e32 v[34:35], v[48:49]
	s_wait_dscnt 0x0
	v_mov_b32_e32 v45, v3
	s_and_b32 s0, s0, exec_lo
.LBB53_60:
	s_or_b32 exec_lo, exec_lo, s6
	s_delay_alu instid0(VALU_DEP_1)
	v_mov_b64_e32 v[36:37], v[44:45]
	s_wait_dscnt 0x0
	v_mov_b32_e32 v46, v43
	s_and_b32 s0, s0, exec_lo
.LBB53_61:
	s_or_b32 exec_lo, exec_lo, s5
	s_delay_alu instid0(VALU_DEP_1)
	v_mov_b64_e32 v[38:39], v[46:47]
	s_wait_dscnt 0x0
	v_mov_b32_e32 v43, v2
	s_and_b32 s0, s0, exec_lo
.LBB53_62:
	s_or_b32 exec_lo, exec_lo, s4
	s_delay_alu instid0(VALU_DEP_1)
	v_mov_b64_e32 v[40:41], v[42:43]
	s_and_b32 s4, s0, exec_lo
.LBB53_63:
	s_or_b32 exec_lo, exec_lo, s3
	v_lshlrev_b32_e32 v20, 2, v0
	v_cmp_ne_u32_e64 s0, 0, v0
	s_and_b32 vcc_lo, exec_lo, s1
	s_cbranch_vccnz .LBB53_65
	s_branch .LBB53_68
.LBB53_64:
	s_mov_b32 s4, s35
                                        ; implicit-def: $sgpr2
                                        ; implicit-def: $vgpr5
                                        ; implicit-def: $vgpr18_vgpr19
                                        ; implicit-def: $vgpr42_vgpr43
                                        ; implicit-def: $vgpr46_vgpr47
                                        ; implicit-def: $vgpr44_vgpr45
                                        ; implicit-def: $vgpr48_vgpr49
                                        ; implicit-def: $vgpr50_vgpr51
                                        ; implicit-def: $vgpr52_vgpr53
                                        ; implicit-def: $vgpr54_vgpr55
                                        ; implicit-def: $vgpr56_vgpr57
                                        ; implicit-def: $vgpr58_vgpr59
                                        ; implicit-def: $vgpr40_vgpr41
                                        ; implicit-def: $vgpr38_vgpr39
                                        ; implicit-def: $vgpr36_vgpr37
                                        ; implicit-def: $vgpr34_vgpr35
                                        ; implicit-def: $vgpr32_vgpr33
                                        ; implicit-def: $vgpr30_vgpr31
                                        ; implicit-def: $vgpr28_vgpr29
                                        ; implicit-def: $vgpr26_vgpr27
                                        ; implicit-def: $vgpr24_vgpr25
                                        ; implicit-def: $vgpr22_vgpr23
	v_lshlrev_b32_e32 v20, 2, v0
	v_cmp_ne_u32_e64 s0, 0, v0
	s_cbranch_execz .LBB53_68
.LBB53_65:
	v_mov_b32_e32 v1, 0
	s_lshl_b64 s[2:3], s[20:21], 2
	s_and_b32 s1, s33, exec_lo
	s_add_nc_u64 s[2:3], s[26:27], s[2:3]
	v_mad_u32_u24 v16, v0, 44, v20
	v_mov_b32_e32 v21, v1
	s_add_nc_u64 s[2:3], s[2:3], -4
	s_delay_alu instid0(SALU_CYCLE_1) | instskip(SKIP_1) | instid1(VALU_DEP_1)
	s_cselect_b32 s1, s16, s2
	s_cselect_b32 s2, s17, s3
	v_sub_nc_u64_e32 v[2:3], s[16:17], v[20:21]
	s_cmp_eq_u64 s[20:21], 0
	s_wait_dscnt 0x0
	v_mad_i32_i24 v18, 0xffffffd4, v0, v16
	s_cselect_b32 s3, s39, s2
	s_cselect_b32 s2, s38, s1
	s_clause 0xb
	flat_load_b32 v4, v[2:3] offset:-4
	flat_load_b32 v5, v[2:3] offset:-1028
	;; [unrolled: 1-line block ×12, first 2 shown]
	s_wait_loadcnt_dscnt 0xa0a
	ds_store_2addr_stride64_b32 v20, v4, v5 offset1:4
	s_wait_loadcnt_dscnt 0x809
	ds_store_2addr_stride64_b32 v20, v6, v7 offset0:8 offset1:12
	s_wait_loadcnt_dscnt 0x608
	ds_store_2addr_stride64_b32 v20, v8, v9 offset0:16 offset1:20
	;; [unrolled: 2-line block ×5, first 2 shown]
	s_wait_dscnt 0x0
	s_barrier_signal -1
	s_barrier_wait -1
	flat_load_b32 v17, v1, s[2:3]
	ds_load_b128 v[6:9], v16 offset:32
	ds_load_b128 v[2:5], v16
	ds_load_b128 v[10:13], v16 offset:16
	v_sub_nc_u64_e32 v[14:15], 0, v[0:1]
	s_wait_dscnt 0x2
	ds_store_b32 v18, v9 offset:12288
	s_wait_loadcnt_dscnt 0x0
	s_barrier_signal -1
	s_barrier_wait -1
	s_and_saveexec_b32 s1, s0
; %bb.66:
	v_mul_i32_i24_e32 v1, 0xffffffd4, v0
	s_delay_alu instid0(VALU_DEP_1)
	v_add_nc_u32_e32 v1, v16, v1
	ds_load_b32 v17, v1 offset:12284
; %bb.67:
	s_or_b32 exec_lo, exec_lo, s1
	v_lshl_add_u64 v[14:15], v[14:15], 2, s[12:13]
	s_wait_dscnt 0x0
	s_barrier_signal -1
	s_barrier_wait -1
	s_clause 0xb
	flat_load_b32 v1, v[14:15] offset:-4
	flat_load_b32 v18, v[14:15] offset:-1028
	;; [unrolled: 1-line block ×12, first 2 shown]
	v_cmp_ne_u32_e32 vcc_lo, v17, v2
	v_cmp_ne_u32_e64 s2, v8, v9
	s_mov_b32 s4, -1
	s_wait_loadcnt_dscnt 0xa0a
	ds_store_2addr_stride64_b32 v20, v1, v18 offset1:4
	s_wait_loadcnt_dscnt 0x809
	ds_store_2addr_stride64_b32 v20, v21, v22 offset0:8 offset1:12
	s_wait_loadcnt_dscnt 0x608
	ds_store_2addr_stride64_b32 v20, v23, v24 offset0:16 offset1:20
	;; [unrolled: 2-line block ×5, first 2 shown]
	v_cndmask_b32_e64 v19, 0, 1, vcc_lo
	v_cmp_ne_u32_e32 vcc_lo, v2, v3
	s_wait_dscnt 0x0
	s_barrier_signal -1
	s_barrier_wait -1
	v_cndmask_b32_e64 v43, 0, 1, vcc_lo
	v_cmp_ne_u32_e32 vcc_lo, v3, v4
	ds_load_b128 v[24:27], v16
	ds_load_b128 v[28:31], v16 offset:16
	v_cndmask_b32_e64 v47, 0, 1, vcc_lo
	v_cmp_ne_u32_e32 vcc_lo, v4, v5
	v_cndmask_b32_e64 v45, 0, 1, vcc_lo
	v_cmp_ne_u32_e32 vcc_lo, v5, v10
	ds_load_b128 v[2:5], v16 offset:32
	v_cndmask_b32_e64 v49, 0, 1, vcc_lo
	v_cmp_ne_u32_e32 vcc_lo, v10, v11
	s_wait_dscnt 0x2
	v_dual_mov_b32 v18, v24 :: v_dual_mov_b32 v42, v25
	v_cndmask_b32_e64 v51, 0, 1, vcc_lo
	v_cmp_ne_u32_e32 vcc_lo, v11, v12
	v_dual_mov_b32 v46, v26 :: v_dual_mov_b32 v44, v27
	s_wait_dscnt 0x1
	v_dual_mov_b32 v48, v28 :: v_dual_mov_b32 v50, v29
	v_cndmask_b32_e64 v53, 0, 1, vcc_lo
	v_cmp_ne_u32_e32 vcc_lo, v12, v13
	v_dual_mov_b32 v52, v30 :: v_dual_mov_b32 v54, v31
	s_wait_dscnt 0x0
	v_dual_mov_b32 v56, v2 :: v_dual_mov_b32 v58, v3
	v_cndmask_b32_e64 v55, 0, 1, vcc_lo
	v_cmp_ne_u32_e32 vcc_lo, v13, v6
	v_mov_b64_e32 v[40:41], v[42:43]
	v_mov_b64_e32 v[38:39], v[46:47]
	v_mov_b64_e32 v[36:37], v[44:45]
	v_mov_b64_e32 v[34:35], v[48:49]
	v_cndmask_b32_e64 v57, 0, 1, vcc_lo
	v_cmp_ne_u32_e32 vcc_lo, v6, v7
	v_mov_b64_e32 v[32:33], v[50:51]
	v_mov_b64_e32 v[30:31], v[52:53]
	;; [unrolled: 1-line block ×4, first 2 shown]
	v_cndmask_b32_e64 v59, 0, 1, vcc_lo
	v_cmp_ne_u32_e32 vcc_lo, v7, v8
	v_mov_b32_e32 v22, v4
	s_delay_alu instid0(VALU_DEP_3)
	v_mov_b64_e32 v[24:25], v[58:59]
	v_cndmask_b32_e64 v23, 0, 1, vcc_lo
.LBB53_68:
	v_mov_b64_e32 v[16:17], 0
	s_and_saveexec_b32 s0, s4
	s_cbranch_execz .LBB53_70
; %bb.69:
	v_mov_b64_e32 v[24:25], v[58:59]
	v_mov_b64_e32 v[26:27], v[56:57]
	;; [unrolled: 1-line block ×9, first 2 shown]
	v_cndmask_b32_e64 v17, 0, 1, s2
	v_mov_b32_e32 v16, v5
.LBB53_70:
	s_or_b32 exec_lo, exec_lo, s0
	v_dual_lshrrev_b32 v1, 2, v0 :: v_dual_bitop2_b32 v42, v29, v27 bitop3:0x54
	v_or_b32_e32 v21, v25, v23
	s_cmp_lg_u32 s24, 0
	s_wait_dscnt 0x0
	v_cmp_gt_u32_e32 vcc_lo, 32, v0
	s_barrier_signal -1
	s_barrier_wait -1
	s_cbranch_scc0 .LBB53_108
; %bb.71:
	s_mov_b64 s[10:11], 0x100000000
	v_max_i32_e32 v2, v40, v18
	v_cmp_gt_u64_e64 s0, s[10:11], v[40:41]
	v_cmp_gt_u64_e64 s1, s[10:11], v[38:39]
	;; [unrolled: 1-line block ×7, first 2 shown]
	v_dual_cndmask_b32 v2, v40, v2, s0 :: v_dual_bitop2_b32 v5, 56, v1 bitop3:0x40
	v_cmp_gt_u64_e64 s7, s[10:11], v[26:27]
	v_cmp_gt_u64_e64 s8, s[10:11], v[24:25]
	;; [unrolled: 1-line block ×4, first 2 shown]
	v_max_i32_e32 v2, v38, v2
	v_or3_b32 v3, v42, v31, v33
	v_lshl_add_u32 v5, v0, 3, v5
	s_delay_alu instid0(VALU_DEP_3) | instskip(NEXT) | instid1(VALU_DEP_3)
	v_cndmask_b32_e64 v2, v38, v2, s1
	v_or3_b32 v3, v3, v35, v37
	s_delay_alu instid0(VALU_DEP_2) | instskip(NEXT) | instid1(VALU_DEP_2)
	v_max_i32_e32 v2, v36, v2
	v_or3_b32 v3, v3, v39, v41
	s_delay_alu instid0(VALU_DEP_2) | instskip(NEXT) | instid1(VALU_DEP_2)
	v_cndmask_b32_e64 v2, v36, v2, s2
	v_or3_b32 v3, v17, v21, v3
	s_delay_alu instid0(VALU_DEP_2) | instskip(NEXT) | instid1(VALU_DEP_2)
	v_max_i32_e32 v2, v34, v2
	v_and_b32_e32 v3, 0xff, v3
	s_delay_alu instid0(VALU_DEP_2) | instskip(NEXT) | instid1(VALU_DEP_1)
	v_cndmask_b32_e64 v2, v34, v2, s3
	v_max_i32_e32 v2, v32, v2
	s_delay_alu instid0(VALU_DEP_1) | instskip(NEXT) | instid1(VALU_DEP_1)
	v_cndmask_b32_e64 v2, v32, v2, s4
	v_max_i32_e32 v2, v30, v2
	s_delay_alu instid0(VALU_DEP_1) | instskip(NEXT) | instid1(VALU_DEP_1)
	;; [unrolled: 3-line block ×6, first 2 shown]
	v_dual_cndmask_b32 v4, v22, v2, s9 :: v_dual_mov_b32 v2, 0
	v_max_i32_e32 v4, v16, v4
	s_delay_alu instid0(VALU_DEP_2) | instskip(NEXT) | instid1(VALU_DEP_1)
	v_cmp_eq_u64_e64 s11, 0, v[2:3]
	v_dual_cndmask_b32 v12, v16, v4, s10 :: v_dual_cndmask_b32 v13, 1, v19, s11
	ds_store_b32 v5, v12
	ds_store_b8 v5, v13 offset:4
	s_wait_dscnt 0x0
	s_barrier_signal -1
	s_barrier_wait -1
	s_and_saveexec_b32 s13, vcc_lo
	s_cbranch_execz .LBB53_81
; %bb.72:
	v_dual_lshlrev_b32 v2, 1, v0 :: v_dual_lshlrev_b32 v3, 6, v0
	s_mov_b32 s12, exec_lo
	s_delay_alu instid0(VALU_DEP_1) | instskip(NEXT) | instid1(VALU_DEP_1)
	v_and_b32_e32 v2, 0x1f8, v2
	v_add_nc_u32_e32 v4, v2, v3
	ds_load_2addr_b32 v[6:7], v4 offset0:2 offset1:4
	ds_load_b64 v[2:3], v4
	ds_load_u8 v5, v4 offset:12
	ds_load_2addr_b32 v[8:9], v4 offset0:6 offset1:8
	ds_load_u8 v10, v4 offset:20
	ds_load_u8 v11, v4 offset:28
	;; [unrolled: 1-line block ×5, first 2 shown]
	ds_load_b32 v44, v4 offset:56
	s_wait_dscnt 0x8
	v_max_i32_e32 v45, v6, v2
	s_wait_dscnt 0x7
	v_cmp_eq_u16_e64 s11, 0, v5
	s_delay_alu instid0(VALU_DEP_1) | instskip(SKIP_2) | instid1(VALU_DEP_2)
	v_cndmask_b32_e64 v6, v6, v45, s11
	s_wait_dscnt 0x5
	v_cmp_eq_u16_e64 s11, 0, v10
	v_max_i32_e32 v6, v7, v6
	s_delay_alu instid0(VALU_DEP_1) | instskip(SKIP_4) | instid1(VALU_DEP_1)
	v_cndmask_b32_e64 v45, v7, v6, s11
	ds_load_2addr_b32 v[6:7], v4 offset0:10 offset1:12
	s_wait_dscnt 0x5
	v_cmp_eq_u16_e64 s11, 0, v11
	v_max_i32_e32 v45, v8, v45
	v_cndmask_b32_e64 v8, v8, v45, s11
	ds_load_u8 v45, v4 offset:60
	s_wait_dscnt 0x5
	v_cmp_eq_u16_e64 s11, 0, v14
	v_max_i32_e32 v8, v9, v8
	s_delay_alu instid0(VALU_DEP_1) | instskip(SKIP_3) | instid1(VALU_DEP_2)
	v_cndmask_b32_e64 v8, v9, v8, s11
	s_wait_dscnt 0x4
	v_cmp_eq_u16_e64 s11, 0, v15
	s_wait_dscnt 0x1
	v_max_i32_e32 v8, v6, v8
	s_wait_dscnt 0x0
	s_delay_alu instid0(VALU_DEP_1) | instskip(NEXT) | instid1(VALU_DEP_1)
	v_dual_cndmask_b32 v6, v6, v8, s11 :: v_dual_bitop2_b32 v8, 1, v45 bitop3:0x40
	v_max_i32_e32 v6, v7, v6
	v_or_b32_e32 v5, v10, v5
	s_delay_alu instid0(VALU_DEP_1) | instskip(NEXT) | instid1(VALU_DEP_1)
	v_bitop3_b16 v5, v5, v14, v11 bitop3:0xfe
	v_bitop3_b16 v9, v5, v43, v15 bitop3:0xfe
	v_and_b32_e32 v5, 1, v3
	s_delay_alu instid0(VALU_DEP_2) | instskip(NEXT) | instid1(VALU_DEP_1)
	v_cmp_eq_u16_e64 s11, 0, v9
	v_cndmask_b32_e64 v9, 1, v5, s11
	v_cmp_eq_u32_e64 s11, 1, v8
	s_delay_alu instid0(VALU_DEP_1) | instskip(SKIP_1) | instid1(VALU_DEP_2)
	v_cndmask_b32_e64 v9, v9, 1, s11
	v_cmp_eq_u16_e64 s11, 0, v43
	v_and_b32_e32 v8, 0xffff, v9
	s_delay_alu instid0(VALU_DEP_2) | instskip(SKIP_2) | instid1(VALU_DEP_3)
	v_cndmask_b32_e64 v7, v7, v6, s11
	v_and_b32_e32 v6, 0xffffff00, v3
	v_cmp_eq_u16_e64 s11, 0, v45
	v_max_i32_e32 v10, v44, v7
	v_mbcnt_lo_u32_b32 v7, -1, 0
	s_delay_alu instid0(VALU_DEP_2) | instskip(NEXT) | instid1(VALU_DEP_2)
	v_dual_cndmask_b32 v8, v44, v10, s11 :: v_dual_bitop2_b32 v11, v6, v8 bitop3:0x54
	v_and_b32_e32 v10, 15, v7
	s_delay_alu instid0(VALU_DEP_2) | instskip(NEXT) | instid1(VALU_DEP_3)
	v_mov_b32_dpp v15, v11 row_shr:1 row_mask:0xf bank_mask:0xf
	v_mov_b32_dpp v14, v8 row_shr:1 row_mask:0xf bank_mask:0xf
	s_delay_alu instid0(VALU_DEP_3)
	v_cmpx_ne_u32_e32 0, v10
	s_cbranch_execz .LBB53_74
; %bb.73:
	v_and_b32_e32 v11, 1, v9
	v_and_b32_e32 v15, 1, v15
	s_delay_alu instid0(VALU_DEP_2) | instskip(SKIP_1) | instid1(VALU_DEP_2)
	v_cmp_eq_u32_e64 s11, 1, v11
	v_max_i32_e32 v11, v8, v14
	v_cndmask_b32_e64 v15, v15, 1, s11
	v_cmp_eq_u16_e64 s11, 0, v9
	s_delay_alu instid0(VALU_DEP_2) | instskip(NEXT) | instid1(VALU_DEP_2)
	v_and_b32_e32 v14, 0xffff, v15
	v_dual_cndmask_b32 v8, v8, v11, s11 :: v_dual_mov_b32 v9, v15
	s_delay_alu instid0(VALU_DEP_2)
	v_or_b32_e32 v11, v6, v14
.LBB53_74:
	s_or_b32 exec_lo, exec_lo, s12
	s_delay_alu instid0(VALU_DEP_2) | instskip(NEXT) | instid1(VALU_DEP_2)
	v_mov_b32_dpp v14, v8 row_shr:2 row_mask:0xf bank_mask:0xf
	v_mov_b32_dpp v15, v11 row_shr:2 row_mask:0xf bank_mask:0xf
	s_mov_b32 s12, exec_lo
	v_cmpx_lt_u32_e32 1, v10
	s_cbranch_execz .LBB53_76
; %bb.75:
	v_and_b32_e32 v11, 1, v9
	v_and_b32_e32 v15, 1, v15
	s_delay_alu instid0(VALU_DEP_2) | instskip(SKIP_1) | instid1(VALU_DEP_2)
	v_cmp_eq_u32_e64 s11, 1, v11
	v_max_i32_e32 v11, v8, v14
	v_cndmask_b32_e64 v15, v15, 1, s11
	v_cmp_eq_u16_e64 s11, 0, v9
	s_delay_alu instid0(VALU_DEP_2) | instskip(NEXT) | instid1(VALU_DEP_2)
	v_and_b32_e32 v14, 0xffff, v15
	v_dual_cndmask_b32 v8, v8, v11, s11 :: v_dual_mov_b32 v9, v15
	s_delay_alu instid0(VALU_DEP_2)
	v_or_b32_e32 v11, v6, v14
.LBB53_76:
	s_or_b32 exec_lo, exec_lo, s12
	s_delay_alu instid0(VALU_DEP_2) | instskip(NEXT) | instid1(VALU_DEP_2)
	v_mov_b32_dpp v14, v8 row_shr:4 row_mask:0xf bank_mask:0xf
	v_mov_b32_dpp v15, v11 row_shr:4 row_mask:0xf bank_mask:0xf
	s_mov_b32 s12, exec_lo
	v_cmpx_lt_u32_e32 3, v10
	;; [unrolled: 21-line block ×3, first 2 shown]
	s_cbranch_execz .LBB53_80
; %bb.79:
	v_and_b32_e32 v10, 1, v9
	v_and_b32_e32 v11, 1, v15
	s_delay_alu instid0(VALU_DEP_2) | instskip(NEXT) | instid1(VALU_DEP_1)
	v_cmp_eq_u32_e64 s11, 1, v10
	v_cndmask_b32_e64 v10, v11, 1, s11
	v_max_i32_e32 v11, v8, v14
	v_cmp_eq_u16_e64 s11, 0, v9
	s_delay_alu instid0(VALU_DEP_3) | instskip(NEXT) | instid1(VALU_DEP_2)
	v_and_b32_e32 v14, 0xffff, v10
	v_dual_mov_b32 v9, v10 :: v_dual_cndmask_b32 v8, v8, v11, s11
	s_delay_alu instid0(VALU_DEP_2)
	v_or_b32_e32 v11, v6, v14
.LBB53_80:
	s_or_b32 exec_lo, exec_lo, s12
	ds_swizzle_b32 v10, v8 offset:swizzle(BROADCAST,32,15)
	ds_swizzle_b32 v11, v11 offset:swizzle(BROADCAST,32,15)
	v_cmp_eq_u16_e64 s11, 0, v9
	v_and_b32_e32 v3, 0xff, v3
	; wave barrier
	s_wait_dscnt 0x1
	v_max_i32_e32 v10, v8, v10
	v_and_b32_e32 v14, 16, v7
	s_wait_dscnt 0x0
	s_delay_alu instid0(VALU_DEP_2) | instskip(NEXT) | instid1(VALU_DEP_2)
	v_dual_cndmask_b32 v10, v8, v10, s11 :: v_dual_bitop2_b32 v11, 1, v11 bitop3:0x40
	v_cmp_eq_u32_e64 s11, 0, v14
	v_dual_add_nc_u32 v14, -1, v7 :: v_dual_bitop2_b32 v15, 1, v9 bitop3:0x40
	s_delay_alu instid0(VALU_DEP_2) | instskip(NEXT) | instid1(VALU_DEP_2)
	v_cndmask_b32_e64 v8, v10, v8, s11
	v_cmp_eq_u32_e64 s12, 1, v15
	s_delay_alu instid0(VALU_DEP_1) | instskip(NEXT) | instid1(VALU_DEP_1)
	v_cndmask_b32_e64 v11, v11, 1, s12
	v_cndmask_b32_e64 v9, v11, v9, s11
	v_cmp_gt_i32_e64 s11, 0, v14
	s_delay_alu instid0(VALU_DEP_1) | instskip(NEXT) | instid1(VALU_DEP_3)
	v_cndmask_b32_e64 v7, v14, v7, s11
	v_and_b32_e32 v9, 0xffff, v9
	v_cmp_eq_u16_e64 s11, 0, v3
	s_delay_alu instid0(VALU_DEP_2)
	v_dual_lshlrev_b32 v7, 2, v7 :: v_dual_bitop2_b32 v6, v6, v9 bitop3:0x54
	ds_bpermute_b32 v8, v7, v8
	ds_bpermute_b32 v6, v7, v6
	s_wait_dscnt 0x1
	v_max_i32_e32 v7, v2, v8
	s_wait_dscnt 0x0
	s_delay_alu instid0(VALU_DEP_1) | instskip(SKIP_1) | instid1(VALU_DEP_1)
	v_dual_cndmask_b32 v2, v2, v7, s11 :: v_dual_bitop2_b32 v6, 1, v6 bitop3:0x40
	v_cmp_eq_u32_e64 s11, 1, v5
	v_cndmask_b32_e64 v3, v6, 1, s11
	v_cmp_eq_u32_e64 s11, 0, v0
	s_delay_alu instid0(VALU_DEP_1)
	v_dual_cndmask_b32 v5, v2, v12, s11 :: v_dual_cndmask_b32 v8, v3, v13, s11
	ds_store_b32 v4, v5
	ds_store_b8 v4, v8 offset:4
	; wave barrier
	ds_load_2addr_b32 v[2:3], v4 offset0:2 offset1:4
	ds_load_u8 v9, v4 offset:12
	ds_load_u8 v10, v4 offset:20
	ds_load_2addr_b32 v[6:7], v4 offset0:6 offset1:8
	ds_load_u8 v11, v4 offset:28
	ds_load_u8 v14, v4 offset:36
	;; [unrolled: 1-line block ×4, first 2 shown]
	ds_load_b32 v44, v4 offset:56
	ds_load_u8 v45, v4 offset:60
	s_wait_dscnt 0x9
	v_max_i32_e32 v5, v2, v5
	s_wait_dscnt 0x8
	v_cmp_eq_u16_e64 s11, 0, v9
	s_wait_dscnt 0x0
	v_and_b32_e32 v48, 1, v45
	s_delay_alu instid0(VALU_DEP_2) | instskip(SKIP_2) | instid1(VALU_DEP_3)
	v_cndmask_b32_e64 v5, v2, v5, s11
	v_cmp_eq_u16_e64 s11, 0, v10
	v_and_b32_e32 v10, 1, v10
	v_max_i32_e32 v2, v3, v5
	s_delay_alu instid0(VALU_DEP_1)
	v_cndmask_b32_e64 v46, v3, v2, s11
	ds_load_2addr_b32 v[2:3], v4 offset0:10 offset1:12
	v_cmp_eq_u16_e64 s11, 0, v11
	v_max_i32_e32 v47, v6, v46
	ds_store_2addr_b32 v4, v5, v46 offset0:2 offset1:4
	v_cndmask_b32_e64 v6, v6, v47, s11
	s_delay_alu instid0(VALU_DEP_1) | instskip(SKIP_1) | instid1(VALU_DEP_1)
	v_max_i32_e32 v47, v7, v6
	v_and_b32_e32 v9, 1, v9
	v_cmp_eq_u32_e64 s11, 1, v9
	v_and_b32_e32 v9, 1, v11
	v_and_b32_e32 v11, 1, v14
	s_delay_alu instid0(VALU_DEP_3) | instskip(SKIP_1) | instid1(VALU_DEP_1)
	v_cndmask_b32_e64 v8, v8, 1, s11
	v_cmp_eq_u16_e64 s11, 0, v14
	v_cndmask_b32_e64 v7, v7, v47, s11
	v_cmp_eq_u32_e64 s11, 1, v10
	v_and_b32_e32 v47, 1, v15
	s_wait_dscnt 0x1
	s_delay_alu instid0(VALU_DEP_3) | instskip(NEXT) | instid1(VALU_DEP_3)
	v_max_i32_e32 v14, v2, v7
	v_cndmask_b32_e64 v10, v8, 1, s11
	v_cmp_eq_u32_e64 s11, 1, v9
	s_delay_alu instid0(VALU_DEP_1) | instskip(SKIP_1) | instid1(VALU_DEP_1)
	v_cndmask_b32_e64 v9, v10, 1, s11
	v_cmp_eq_u16_e64 s11, 0, v15
	v_cndmask_b32_e64 v2, v2, v14, s11
	v_cmp_eq_u32_e64 s11, 1, v11
	v_and_b32_e32 v14, 1, v43
	s_delay_alu instid0(VALU_DEP_3) | instskip(NEXT) | instid1(VALU_DEP_3)
	v_max_i32_e32 v15, v3, v2
	v_cndmask_b32_e64 v11, v9, 1, s11
	v_cmp_eq_u32_e64 s11, 1, v47
	s_delay_alu instid0(VALU_DEP_1) | instskip(SKIP_1) | instid1(VALU_DEP_1)
	v_cndmask_b32_e64 v47, v11, 1, s11
	v_cmp_eq_u16_e64 s11, 0, v43
	v_cndmask_b32_e64 v3, v3, v15, s11
	v_cmp_eq_u32_e64 s11, 1, v14
	ds_store_2addr_b32 v4, v6, v7 offset0:6 offset1:8
	ds_store_2addr_b32 v4, v2, v3 offset0:10 offset1:12
	v_max_i32_e32 v5, v44, v3
	v_cndmask_b32_e64 v14, v47, 1, s11
	v_cmp_eq_u32_e64 s11, 1, v48
	s_delay_alu instid0(VALU_DEP_1) | instskip(SKIP_1) | instid1(VALU_DEP_1)
	v_cndmask_b32_e64 v15, v14, 1, s11
	v_cmp_eq_u16_e64 s11, 0, v45
	v_cndmask_b32_e64 v2, v44, v5, s11
	ds_store_b8 v4, v8 offset:12
	ds_store_b8 v4, v10 offset:20
	;; [unrolled: 1-line block ×6, first 2 shown]
	ds_store_b32 v4, v2 offset:56
	ds_store_b8 v4, v15 offset:60
.LBB53_81:
	s_or_b32 exec_lo, exec_lo, s13
	v_cmp_eq_u32_e64 s11, 0, v0
	s_mov_b32 s13, exec_lo
	s_wait_dscnt 0x0
	s_barrier_signal -1
	s_barrier_wait -1
	v_cmpx_ne_u32_e32 0, v0
	s_cbranch_execz .LBB53_83
; %bb.82:
	v_add_nc_u32_e32 v2, -1, v0
	s_delay_alu instid0(VALU_DEP_1) | instskip(NEXT) | instid1(VALU_DEP_1)
	v_lshrrev_b32_e32 v3, 2, v2
	v_and_b32_e32 v3, 0x3ffffff8, v3
	s_delay_alu instid0(VALU_DEP_1)
	v_lshl_add_u32 v2, v2, 3, v3
	ds_load_b32 v12, v2
	ds_load_u8 v13, v2 offset:4
.LBB53_83:
	s_or_b32 exec_lo, exec_lo, s13
	s_and_saveexec_b32 s20, vcc_lo
	s_cbranch_execz .LBB53_113
; %bb.84:
	v_mov_b32_e32 v5, 0
	v_mbcnt_lo_u32_b32 v14, -1, 0
	s_mov_b32 s17, 0
	ds_load_b64 v[2:3], v5 offset:2096
	v_cmp_eq_u32_e64 s12, 0, v14
	s_and_saveexec_b32 s13, s12
	s_cbranch_execz .LBB53_86
; %bb.85:
	s_add_co_i32 s16, s24, 32
	v_mov_b32_e32 v4, 1
	s_lshl_b64 s[16:17], s[16:17], 4
	s_delay_alu instid0(SALU_CYCLE_1) | instskip(NEXT) | instid1(SALU_CYCLE_1)
	s_add_nc_u64 s[16:17], s[28:29], s[16:17]
	v_mov_b64_e32 v[6:7], s[16:17]
	s_wait_dscnt 0x0
	;;#ASMSTART
	global_store_b128 v[6:7], v[2:5] off scope:SCOPE_DEV	
s_wait_storecnt 0x0
	;;#ASMEND
.LBB53_86:
	s_or_b32 exec_lo, exec_lo, s13
	v_xad_u32 v8, v14, -1, s24
	s_mov_b32 s13, exec_lo
	s_delay_alu instid0(VALU_DEP_1) | instskip(NEXT) | instid1(VALU_DEP_1)
	v_add_nc_u32_e32 v4, 32, v8
	v_lshl_add_u64 v[10:11], v[4:5], 4, s[28:29]
	;;#ASMSTART
	global_load_b128 v[4:7], v[10:11] off scope:SCOPE_DEV	
s_wait_loadcnt 0x0
	;;#ASMEND
	v_and_b32_e32 v7, 0xff, v6
	v_and_b32_e32 v5, 0xff, v5
	s_delay_alu instid0(VALU_DEP_2)
	v_cmpx_eq_u16_e32 0, v7
	s_cbranch_execz .LBB53_90
; %bb.87:
	s_mov_b32 s16, 0
.LBB53_88:                              ; =>This Inner Loop Header: Depth=1
	;;#ASMSTART
	global_load_b128 v[4:7], v[10:11] off scope:SCOPE_DEV	
s_wait_loadcnt 0x0
	;;#ASMEND
	v_and_b32_e32 v7, 0xff, v6
	s_delay_alu instid0(VALU_DEP_1) | instskip(SKIP_1) | instid1(SALU_CYCLE_1)
	v_cmp_ne_u16_e32 vcc_lo, 0, v7
	s_or_b32 s16, vcc_lo, s16
	s_and_not1_b32 exec_lo, exec_lo, s16
	s_cbranch_execnz .LBB53_88
; %bb.89:
	s_or_b32 exec_lo, exec_lo, s16
	v_and_b32_e32 v5, 0xff, v5
.LBB53_90:
	s_or_b32 exec_lo, exec_lo, s13
	v_cmp_ne_u32_e32 vcc_lo, 31, v14
	v_and_b32_e32 v9, 0xff, v6
	v_lshlrev_b32_e64 v43, v14, -1
	s_mov_b64 s[16:17], 0x100000000
	v_lshl_or_b32 v52, v14, 2, 64
	v_add_co_ci_u32_e64 v7, null, 0, v14, vcc_lo
	v_cmp_eq_u16_e32 vcc_lo, 2, v9
	v_cmp_gt_u64_e64 s13, s[16:17], v[4:5]
	s_delay_alu instid0(VALU_DEP_3) | instskip(SKIP_2) | instid1(VALU_DEP_3)
	v_dual_lshlrev_b32 v15, 2, v7 :: v_dual_bitop2_b32 v10, 1, v5 bitop3:0x40
	v_add_nc_u32_e32 v53, 16, v14
	v_and_or_b32 v9, vcc_lo, v43, 0x80000000
	v_cmp_eq_u32_e32 vcc_lo, 1, v10
	ds_bpermute_b32 v7, v15, v5
	ds_bpermute_b32 v11, v15, v4
	v_ctz_i32_b32_e32 v9, v9
	s_wait_dscnt 0x1
	v_and_b32_e32 v7, 1, v7
	s_wait_dscnt 0x0
	v_max_i32_e32 v11, v4, v11
	s_delay_alu instid0(VALU_DEP_2) | instskip(SKIP_1) | instid1(VALU_DEP_2)
	v_cndmask_b32_e64 v7, v7, 1, vcc_lo
	v_cmp_gt_u32_e32 vcc_lo, 30, v14
	v_and_b32_e32 v45, 0xffff, v7
	v_cndmask_b32_e64 v10, 0, 2, vcc_lo
	v_cmp_lt_u32_e32 vcc_lo, v14, v9
	s_delay_alu instid0(VALU_DEP_2) | instskip(NEXT) | instid1(VALU_DEP_4)
	v_add_lshl_u32 v44, v10, v14, 2
	v_dual_cndmask_b32 v10, v5, v45 :: v_dual_cndmask_b32 v7, v5, v7
	s_and_b32 vcc_lo, vcc_lo, s13
	v_dual_cndmask_b32 v4, v4, v11 :: v_dual_add_nc_u32 v45, 2, v14
	ds_bpermute_b32 v5, v44, v10
	s_wait_dscnt 0x0
	v_and_b32_e32 v5, 1, v5
	v_and_b32_e32 v46, 1, v7
	;; [unrolled: 1-line block ×3, first 2 shown]
	s_delay_alu instid0(VALU_DEP_2) | instskip(NEXT) | instid1(VALU_DEP_2)
	v_cmp_eq_u32_e32 vcc_lo, 1, v46
	v_cmp_eq_u16_e64 s13, 0, v48
	v_cndmask_b32_e64 v5, v5, 1, vcc_lo
	v_cmp_gt_u32_e32 vcc_lo, 28, v14
	s_delay_alu instid0(VALU_DEP_2) | instskip(SKIP_2) | instid1(VALU_DEP_2)
	v_and_b32_e32 v47, 0xffff, v5
	v_cndmask_b32_e64 v46, 0, 4, vcc_lo
	v_cmp_gt_u32_e32 vcc_lo, v45, v9
	v_add_lshl_u32 v46, v46, v14, 2
	s_delay_alu instid0(VALU_DEP_4)
	v_dual_cndmask_b32 v5, v5, v7, vcc_lo :: v_dual_cndmask_b32 v7, v47, v10, vcc_lo
	ds_bpermute_b32 v11, v44, v4
	v_dual_add_nc_u32 v47, 4, v14 :: v_dual_bitop2_b32 v48, 1, v5 bitop3:0x40
	v_and_b32_e32 v49, 0xff, v5
	s_wait_dscnt 0x0
	v_max_i32_e32 v11, v4, v11
	s_delay_alu instid0(VALU_DEP_1)
	v_cndmask_b32_e64 v10, v4, v11, s13
	ds_bpermute_b32 v11, v46, v7
	v_cmp_eq_u16_e64 s13, 0, v49
	v_dual_cndmask_b32 v4, v10, v4 :: v_dual_add_nc_u32 v49, 8, v14
	v_cmp_eq_u32_e32 vcc_lo, 1, v48
	ds_bpermute_b32 v10, v46, v4
	s_wait_dscnt 0x1
	v_and_b32_e32 v11, 1, v11
	s_delay_alu instid0(VALU_DEP_1) | instskip(SKIP_1) | instid1(VALU_DEP_2)
	v_cndmask_b32_e64 v11, v11, 1, vcc_lo
	v_cmp_gt_u32_e32 vcc_lo, 24, v14
	v_and_b32_e32 v50, 0xffff, v11
	v_cndmask_b32_e64 v48, 0, 8, vcc_lo
	v_cmp_gt_u32_e32 vcc_lo, v47, v9
	s_wait_dscnt 0x0
	v_max_i32_e32 v10, v4, v10
	s_delay_alu instid0(VALU_DEP_3) | instskip(NEXT) | instid1(VALU_DEP_2)
	v_add_lshl_u32 v48, v48, v14, 2
	v_dual_cndmask_b32 v5, v11, v5, vcc_lo :: v_dual_cndmask_b32 v10, v4, v10, s13
	s_delay_alu instid0(VALU_DEP_1) | instskip(NEXT) | instid1(VALU_DEP_2)
	v_dual_cndmask_b32 v7, v50, v7, vcc_lo :: v_dual_bitop2_b32 v50, 1, v5 bitop3:0x40
	v_cndmask_b32_e32 v4, v10, v4, vcc_lo
	ds_bpermute_b32 v10, v48, v7
	v_and_b32_e32 v51, 0xff, v5
	v_cmp_eq_u32_e32 vcc_lo, 1, v50
	ds_bpermute_b32 v11, v48, v4
	s_wait_dscnt 0x0
	v_max_i32_e32 v11, v4, v11
	v_and_b32_e32 v10, 1, v10
	s_delay_alu instid0(VALU_DEP_1) | instskip(SKIP_1) | instid1(VALU_DEP_2)
	v_cndmask_b32_e64 v10, v10, 1, vcc_lo
	v_cmp_eq_u16_e32 vcc_lo, 0, v51
	v_and_b32_e32 v50, 0xffff, v10
	v_cndmask_b32_e32 v11, v4, v11, vcc_lo
	v_cmp_gt_u32_e32 vcc_lo, v49, v9
	s_delay_alu instid0(VALU_DEP_2) | instskip(NEXT) | instid1(VALU_DEP_1)
	v_dual_cndmask_b32 v5, v10, v5 :: v_dual_cndmask_b32 v4, v11, v4
	v_and_b32_e32 v11, 0xff, v5
	ds_bpermute_b32 v10, v52, v4
	v_dual_cndmask_b32 v7, v50, v7, vcc_lo :: v_dual_bitop2_b32 v50, 1, v5 bitop3:0x40
	v_cmp_eq_u16_e32 vcc_lo, 0, v11
	s_wait_dscnt 0x0
	v_max_i32_e32 v10, v4, v10
	ds_bpermute_b32 v7, v52, v7
	v_cndmask_b32_e32 v10, v4, v10, vcc_lo
	v_cmp_eq_u32_e32 vcc_lo, 1, v50
	s_wait_dscnt 0x0
	v_and_b32_e32 v7, 1, v7
	s_delay_alu instid0(VALU_DEP_1) | instskip(SKIP_1) | instid1(VALU_DEP_2)
	v_cndmask_b32_e64 v7, v7, 1, vcc_lo
	v_cmp_gt_u32_e32 vcc_lo, v53, v9
	v_dual_mov_b32 v9, 0 :: v_dual_cndmask_b32 v5, v7, v5, vcc_lo
	v_cndmask_b32_e32 v4, v10, v4, vcc_lo
	s_branch .LBB53_94
.LBB53_91:                              ;   in Loop: Header=BB53_94 Depth=1
	s_or_b32 exec_lo, exec_lo, s21
	v_and_b32_e32 v5, 0xff, v5
.LBB53_92:                              ;   in Loop: Header=BB53_94 Depth=1
	s_or_b32 exec_lo, exec_lo, s13
	ds_bpermute_b32 v7, v15, v5
	ds_bpermute_b32 v54, v15, v4
	v_and_b32_e32 v10, 0xff, v6
	v_cmp_gt_u64_e64 s13, s[16:17], v[4:5]
	v_subrev_nc_u32_e32 v8, 32, v8
	s_delay_alu instid0(VALU_DEP_3) | instskip(SKIP_2) | instid1(VALU_DEP_2)
	v_cmp_eq_u16_e32 vcc_lo, 2, v10
	v_and_b32_e32 v10, 1, v5
	v_and_or_b32 v11, vcc_lo, v43, 0x80000000
	v_cmp_eq_u32_e32 vcc_lo, 1, v10
	s_delay_alu instid0(VALU_DEP_2) | instskip(SKIP_3) | instid1(VALU_DEP_1)
	v_ctz_i32_b32_e32 v10, v11
	s_wait_dscnt 0x0
	v_max_i32_e32 v54, v4, v54
	v_and_b32_e32 v7, 1, v7
	v_cndmask_b32_e64 v7, v7, 1, vcc_lo
	v_cmp_lt_u32_e32 vcc_lo, v14, v10
	s_delay_alu instid0(VALU_DEP_2) | instskip(SKIP_1) | instid1(VALU_DEP_2)
	v_and_b32_e32 v11, 0xffff, v7
	v_cndmask_b32_e32 v7, v5, v7, vcc_lo
	v_cndmask_b32_e32 v11, v5, v11, vcc_lo
	s_and_b32 vcc_lo, vcc_lo, s13
	s_delay_alu instid0(VALU_DEP_2)
	v_and_b32_e32 v56, 0xff, v7
	v_cndmask_b32_e32 v4, v4, v54, vcc_lo
	ds_bpermute_b32 v5, v44, v11
	v_cmp_eq_u16_e64 s13, 0, v56
	ds_bpermute_b32 v54, v44, v4
	s_wait_dscnt 0x1
	v_and_b32_e32 v5, 1, v5
	s_wait_dscnt 0x0
	v_max_i32_e32 v54, v4, v54
	v_and_b32_e32 v55, 1, v7
	s_delay_alu instid0(VALU_DEP_1) | instskip(SKIP_2) | instid1(VALU_DEP_2)
	v_cmp_eq_u32_e32 vcc_lo, 1, v55
	v_cndmask_b32_e64 v5, v5, 1, vcc_lo
	v_cmp_gt_u32_e32 vcc_lo, v45, v10
	v_and_b32_e32 v55, 0xffff, v5
	v_cndmask_b32_e32 v5, v5, v7, vcc_lo
	s_delay_alu instid0(VALU_DEP_2) | instskip(NEXT) | instid1(VALU_DEP_2)
	v_dual_cndmask_b32 v7, v55, v11, vcc_lo :: v_dual_cndmask_b32 v11, v4, v54, s13
	v_and_b32_e32 v55, 1, v5
	ds_bpermute_b32 v54, v46, v7
	v_cndmask_b32_e32 v4, v11, v4, vcc_lo
	v_cmp_eq_u32_e32 vcc_lo, 1, v55
	v_and_b32_e32 v55, 0xff, v5
	ds_bpermute_b32 v11, v46, v4
	v_cmp_eq_u16_e64 s13, 0, v55
	s_wait_dscnt 0x0
	v_max_i32_e32 v11, v4, v11
	s_delay_alu instid0(VALU_DEP_1) | instskip(NEXT) | instid1(VALU_DEP_1)
	v_dual_cndmask_b32 v11, v4, v11, s13 :: v_dual_bitop2_b32 v54, 1, v54 bitop3:0x40
	v_cndmask_b32_e64 v54, v54, 1, vcc_lo
	v_cmp_gt_u32_e32 vcc_lo, v47, v10
	s_mov_b32 s13, 0
	s_delay_alu instid0(VALU_DEP_2) | instskip(SKIP_1) | instid1(VALU_DEP_2)
	v_and_b32_e32 v56, 0xffff, v54
	v_dual_cndmask_b32 v4, v11, v4 :: v_dual_cndmask_b32 v5, v54, v5
	v_cndmask_b32_e32 v7, v56, v7, vcc_lo
	ds_bpermute_b32 v54, v48, v4
	v_and_b32_e32 v56, 0xff, v5
	ds_bpermute_b32 v11, v48, v7
	s_wait_dscnt 0x1
	v_max_i32_e32 v54, v4, v54
	v_and_b32_e32 v55, 1, v5
	s_wait_dscnt 0x0
	v_and_b32_e32 v11, 1, v11
	s_delay_alu instid0(VALU_DEP_2) | instskip(NEXT) | instid1(VALU_DEP_2)
	v_cmp_eq_u32_e32 vcc_lo, 1, v55
	v_cndmask_b32_e64 v11, v11, 1, vcc_lo
	v_cmp_eq_u16_e32 vcc_lo, 0, v56
	s_delay_alu instid0(VALU_DEP_2) | instskip(SKIP_2) | instid1(VALU_DEP_2)
	v_and_b32_e32 v55, 0xffff, v11
	v_cndmask_b32_e32 v54, v4, v54, vcc_lo
	v_cmp_gt_u32_e32 vcc_lo, v49, v10
	v_dual_cndmask_b32 v5, v11, v5 :: v_dual_cndmask_b32 v4, v54, v4
	s_delay_alu instid0(VALU_DEP_1)
	v_dual_cndmask_b32 v7, v55, v7, vcc_lo :: v_dual_bitop2_b32 v54, 1, v5 bitop3:0x40
	ds_bpermute_b32 v11, v52, v4
	ds_bpermute_b32 v7, v52, v7
	v_and_b32_e32 v55, 0xff, v5
	v_cmp_eq_u32_e32 vcc_lo, 1, v54
	s_wait_dscnt 0x0
	v_cndmask_b32_e64 v7, v7, 1, vcc_lo
	v_max_i32_e32 v11, v4, v11
	v_cmp_eq_u16_e32 vcc_lo, 0, v55
	s_delay_alu instid0(VALU_DEP_2) | instskip(SKIP_1) | instid1(VALU_DEP_2)
	v_cndmask_b32_e32 v11, v4, v11, vcc_lo
	v_cmp_gt_u32_e32 vcc_lo, v53, v10
	v_dual_cndmask_b32 v4, v11, v4, vcc_lo :: v_dual_bitop2_b32 v10, 1, v50 bitop3:0x40
	v_cndmask_b32_e32 v5, v7, v5, vcc_lo
	v_and_b32_e32 v7, 0xff, v50
	s_delay_alu instid0(VALU_DEP_3) | instskip(NEXT) | instid1(VALU_DEP_2)
	v_max_i32_e32 v4, v51, v4
	v_cmp_eq_u16_e32 vcc_lo, 0, v7
	s_delay_alu instid0(VALU_DEP_2) | instskip(SKIP_1) | instid1(VALU_DEP_2)
	v_dual_cndmask_b32 v4, v51, v4, vcc_lo :: v_dual_bitop2_b32 v5, 1, v5 bitop3:0x40
	v_cmp_eq_u32_e32 vcc_lo, 1, v10
	v_cndmask_b32_e64 v5, v5, 1, vcc_lo
.LBB53_93:                              ;   in Loop: Header=BB53_94 Depth=1
	s_and_b32 vcc_lo, exec_lo, s13
	s_cbranch_vccnz .LBB53_109
.LBB53_94:                              ; =>This Loop Header: Depth=1
                                        ;     Child Loop BB53_97 Depth 2
	v_and_b32_e32 v6, 0xff, v6
	s_delay_alu instid0(VALU_DEP_2) | instskip(SKIP_1) | instid1(VALU_DEP_2)
	v_dual_mov_b32 v50, v5 :: v_dual_mov_b32 v51, v4
	s_mov_b32 s13, -1
                                        ; implicit-def: $vgpr5
                                        ; implicit-def: $vgpr4
	v_cmp_ne_u16_e32 vcc_lo, 2, v6
                                        ; implicit-def: $vgpr6
	s_cmp_lg_u32 vcc_lo, exec_lo
	s_cbranch_scc1 .LBB53_93
; %bb.95:                               ;   in Loop: Header=BB53_94 Depth=1
	v_lshl_add_u64 v[10:11], v[8:9], 4, s[28:29]
	;;#ASMSTART
	global_load_b128 v[4:7], v[10:11] off scope:SCOPE_DEV	
s_wait_loadcnt 0x0
	;;#ASMEND
	v_and_b32_e32 v7, 0xff, v6
	v_and_b32_e32 v5, 0xff, v5
	s_mov_b32 s13, exec_lo
	s_delay_alu instid0(VALU_DEP_2)
	v_cmpx_eq_u16_e32 0, v7
	s_cbranch_execz .LBB53_92
; %bb.96:                               ;   in Loop: Header=BB53_94 Depth=1
	s_mov_b32 s21, 0
.LBB53_97:                              ;   Parent Loop BB53_94 Depth=1
                                        ; =>  This Inner Loop Header: Depth=2
	;;#ASMSTART
	global_load_b128 v[4:7], v[10:11] off scope:SCOPE_DEV	
s_wait_loadcnt 0x0
	;;#ASMEND
	v_and_b32_e32 v7, 0xff, v6
	s_delay_alu instid0(VALU_DEP_1) | instskip(SKIP_1) | instid1(SALU_CYCLE_1)
	v_cmp_ne_u16_e32 vcc_lo, 0, v7
	s_or_b32 s21, vcc_lo, s21
	s_and_not1_b32 exec_lo, exec_lo, s21
	s_cbranch_execnz .LBB53_97
	s_branch .LBB53_91
.LBB53_98:
	s_or_b32 exec_lo, exec_lo, s11
                                        ; implicit-def: $vgpr19
	s_and_saveexec_b32 s11, s0
	s_cbranch_execz .LBB53_29
.LBB53_99:
	v_mov_b32_e32 v3, 0
	s_delay_alu instid0(VALU_DEP_1)
	v_sub_nc_u64_e32 v[22:23], s[12:13], v[2:3]
	flat_load_b32 v19, v[22:23] offset:-1028
	s_wait_xcnt 0x0
	s_or_b32 exec_lo, exec_lo, s11
                                        ; implicit-def: $vgpr21
	s_and_saveexec_b32 s0, s1
	s_cbranch_execnz .LBB53_30
.LBB53_100:
	s_or_b32 exec_lo, exec_lo, s0
                                        ; implicit-def: $vgpr22
	s_and_saveexec_b32 s0, s2
	s_cbranch_execz .LBB53_31
.LBB53_101:
	v_mov_b32_e32 v3, 0
	s_delay_alu instid0(VALU_DEP_1)
	v_sub_nc_u64_e32 v[22:23], s[12:13], v[2:3]
	flat_load_b32 v22, v[22:23] offset:-3076
	s_wait_xcnt 0x0
	s_or_b32 exec_lo, exec_lo, s0
                                        ; implicit-def: $vgpr23
	s_and_saveexec_b32 s0, s3
	s_cbranch_execnz .LBB53_32
.LBB53_102:
	s_or_b32 exec_lo, exec_lo, s0
                                        ; implicit-def: $vgpr24
	s_and_saveexec_b32 s0, s4
	s_cbranch_execz .LBB53_33
.LBB53_103:
	v_mov_b32_e32 v3, 0
	s_delay_alu instid0(VALU_DEP_1)
	v_sub_nc_u64_e32 v[24:25], s[12:13], v[2:3]
	flat_load_b32 v24, v[24:25] offset:-5124
	s_wait_xcnt 0x0
	s_or_b32 exec_lo, exec_lo, s0
                                        ; implicit-def: $vgpr25
	s_and_saveexec_b32 s0, s5
	s_cbranch_execnz .LBB53_34
.LBB53_104:
	s_or_b32 exec_lo, exec_lo, s0
                                        ; implicit-def: $vgpr26
	s_and_saveexec_b32 s0, s6
	s_cbranch_execz .LBB53_35
.LBB53_105:
	v_mov_b32_e32 v3, 0
	s_delay_alu instid0(VALU_DEP_1)
	v_sub_nc_u64_e32 v[26:27], s[12:13], v[2:3]
	flat_load_b32 v26, v[26:27] offset:-7172
	s_wait_xcnt 0x0
	s_or_b32 exec_lo, exec_lo, s0
                                        ; implicit-def: $vgpr27
	s_and_saveexec_b32 s0, s7
	s_cbranch_execnz .LBB53_36
.LBB53_106:
	s_or_b32 exec_lo, exec_lo, s0
                                        ; implicit-def: $vgpr28
	s_and_saveexec_b32 s0, s8
	s_cbranch_execz .LBB53_37
.LBB53_107:
	v_mov_b32_e32 v3, 0
	s_delay_alu instid0(VALU_DEP_1)
	v_sub_nc_u64_e32 v[28:29], s[12:13], v[2:3]
	flat_load_b32 v28, v[28:29] offset:-9220
	s_wait_xcnt 0x0
	s_or_b32 exec_lo, exec_lo, s0
                                        ; implicit-def: $vgpr29
	s_and_saveexec_b32 s0, s9
	s_cbranch_execz .LBB53_39
	s_branch .LBB53_38
.LBB53_108:
                                        ; implicit-def: $vgpr13
                                        ; implicit-def: $vgpr5
                                        ; implicit-def: $vgpr9
                                        ; implicit-def: $vgpr14_vgpr15
	s_cbranch_execnz .LBB53_114
	s_branch .LBB53_131
.LBB53_109:
	s_and_saveexec_b32 s13, s12
	s_cbranch_execz .LBB53_111
; %bb.110:
	v_and_b32_e32 v4, 0xff, v3
	v_max_i32_e32 v5, v2, v51
	s_mov_b32 s17, 0
	s_add_co_i32 s16, s24, 32
	v_and_b32_e32 v6, 1, v50
	v_cmp_eq_u32_e32 vcc_lo, 0, v4
	v_dual_mov_b32 v4, 2 :: v_dual_bitop2_b32 v3, 1, v3 bitop3:0x40
	s_lshl_b64 s[16:17], s[16:17], 4
	s_delay_alu instid0(SALU_CYCLE_1) | instskip(SKIP_1) | instid1(VALU_DEP_2)
	s_add_nc_u64 s[16:17], s[28:29], s[16:17]
	v_cndmask_b32_e32 v2, v2, v5, vcc_lo
	v_cmp_eq_u32_e32 vcc_lo, 1, v3
	v_mov_b32_e32 v5, 0
	v_cndmask_b32_e64 v3, v6, 1, vcc_lo
	v_mov_b64_e32 v[6:7], s[16:17]
	;;#ASMSTART
	global_store_b128 v[6:7], v[2:5] off scope:SCOPE_DEV	
s_wait_storecnt 0x0
	;;#ASMEND
.LBB53_111:
	s_or_b32 exec_lo, exec_lo, s13
	s_delay_alu instid0(SALU_CYCLE_1)
	s_and_b32 exec_lo, exec_lo, s11
	s_cbranch_execz .LBB53_113
; %bb.112:
	v_mov_b32_e32 v2, 0
	ds_store_b32 v2, v51
	ds_store_b8 v2, v50 offset:4
.LBB53_113:
	s_or_b32 exec_lo, exec_lo, s20
	v_dual_mov_b32 v2, 0 :: v_dual_bitop2_b32 v3, 1, v19 bitop3:0x40
	s_wait_dscnt 0x0
	s_barrier_signal -1
	s_barrier_wait -1
	s_delay_alu instid0(VALU_DEP_1) | instskip(SKIP_4) | instid1(VALU_DEP_2)
	v_cmp_eq_u32_e32 vcc_lo, 1, v3
	ds_load_b32 v2, v2
	s_mov_b64 s[12:13], 0x100000000
	v_cndmask_b32_e64 v3, v13, 1, vcc_lo
	v_cmp_gt_u64_e32 vcc_lo, s[12:13], v[18:19]
	v_dual_cndmask_b32 v3, v3, v19, s11 :: v_dual_max_i32 v4, v18, v12
	s_delay_alu instid0(VALU_DEP_1) | instskip(NEXT) | instid1(VALU_DEP_2)
	v_cndmask_b32_e32 v4, v18, v4, vcc_lo
	v_and_b32_e32 v3, 0xff, v3
	s_delay_alu instid0(VALU_DEP_2) | instskip(NEXT) | instid1(VALU_DEP_2)
	v_cndmask_b32_e64 v4, v4, v18, s11
	v_cmp_eq_u16_e32 vcc_lo, 0, v3
	s_wait_dscnt 0x0
	s_delay_alu instid0(VALU_DEP_2) | instskip(NEXT) | instid1(VALU_DEP_1)
	v_max_i32_e32 v2, v4, v2
	v_cndmask_b32_e32 v6, v4, v2, vcc_lo
	s_delay_alu instid0(VALU_DEP_1) | instskip(NEXT) | instid1(VALU_DEP_1)
	v_max_i32_e32 v2, v40, v6
	v_cndmask_b32_e64 v7, v40, v2, s0
	s_delay_alu instid0(VALU_DEP_1) | instskip(NEXT) | instid1(VALU_DEP_1)
	v_max_i32_e32 v2, v38, v7
	v_cndmask_b32_e64 v8, v38, v2, s1
	;; [unrolled: 3-line block ×3, first 2 shown]
	s_delay_alu instid0(VALU_DEP_1) | instskip(SKIP_1) | instid1(VALU_DEP_2)
	v_max_i32_e32 v2, v34, v9
	v_mov_b64_e32 v[14:15], v[6:7]
	v_cndmask_b32_e64 v2, v34, v2, s3
	s_delay_alu instid0(VALU_DEP_1) | instskip(NEXT) | instid1(VALU_DEP_1)
	v_max_i32_e32 v3, v32, v2
	v_cndmask_b32_e64 v3, v32, v3, s4
	s_delay_alu instid0(VALU_DEP_1) | instskip(NEXT) | instid1(VALU_DEP_1)
	v_max_i32_e32 v4, v30, v3
	;; [unrolled: 3-line block ×7, first 2 shown]
	v_cndmask_b32_e64 v13, v16, v13, s10
	s_branch .LBB53_131
.LBB53_114:
	s_cmp_lg_u64 s[36:37], 0
	v_cmp_eq_u32_e32 vcc_lo, 0, v0
	s_cselect_b32 s1, -1, 0
	s_cmp_lg_u64 s[22:23], 0
	v_cmp_ne_u32_e64 s0, 0, v0
	s_cselect_b32 s2, -1, 0
	s_delay_alu instid0(SALU_CYCLE_1) | instskip(NEXT) | instid1(SALU_CYCLE_1)
	s_and_b32 s1, s1, s2
	s_and_b32 s1, vcc_lo, s1
	s_delay_alu instid0(SALU_CYCLE_1)
	s_and_saveexec_b32 s2, s1
	s_cbranch_execz .LBB53_116
; %bb.115:
	v_dual_mov_b32 v2, 0 :: v_dual_bitop2_b32 v3, 1, v19 bitop3:0x40
	s_mov_b64 s[4:5], 0x100000000
	s_clause 0x1
	global_load_b32 v4, v2, s[22:23]
	global_load_u8 v5, v2, s[22:23] offset:4
	v_cmp_gt_u64_e64 s1, s[4:5], v[18:19]
	s_wait_loadcnt 0x0
	v_and_b32_e32 v5, 1, v5
	v_max_i32_e32 v4, v18, v4
	s_delay_alu instid0(VALU_DEP_1) | instskip(SKIP_1) | instid1(VALU_DEP_1)
	v_cndmask_b32_e64 v18, v18, v4, s1
	v_cmp_eq_u64_e64 s1, 0, v[2:3]
	v_cndmask_b32_e64 v19, 1, v5, s1
.LBB53_116:
	s_or_b32 exec_lo, exec_lo, s2
	s_mov_b64 s[12:13], 0x100000000
	v_or3_b32 v12, v42, v31, v33
	v_cmp_gt_u64_e64 s1, s[12:13], v[40:41]
	v_cmp_gt_u64_e64 s6, s[12:13], v[30:31]
	v_max_i32_e32 v2, v40, v18
	v_cmp_gt_u64_e64 s2, s[12:13], v[38:39]
	v_cmp_gt_u64_e64 s7, s[12:13], v[28:29]
	;; [unrolled: 1-line block ×4, first 2 shown]
	v_cndmask_b32_e64 v7, v40, v2, s1
	v_cmp_gt_u64_e64 s4, s[12:13], v[34:35]
	v_cmp_gt_u64_e64 s5, s[12:13], v[32:33]
	;; [unrolled: 1-line block ×4, first 2 shown]
	v_max_i32_e32 v2, v38, v7
	v_cmp_gt_u64_e64 s8, s[12:13], v[16:17]
	s_mov_b32 s16, exec_lo
	v_dual_mov_b32 v14, 0 :: v_dual_cndmask_b32 v8, v38, v2, s2
	s_delay_alu instid0(VALU_DEP_1) | instskip(NEXT) | instid1(VALU_DEP_1)
	v_max_i32_e32 v2, v36, v8
	v_cndmask_b32_e64 v9, v36, v2, s3
	s_delay_alu instid0(VALU_DEP_1) | instskip(NEXT) | instid1(VALU_DEP_1)
	v_max_i32_e32 v2, v34, v9
	v_cndmask_b32_e64 v2, v34, v2, s4
	;; [unrolled: 3-line block ×7, first 2 shown]
	v_or3_b32 v6, v12, v35, v37
	s_delay_alu instid0(VALU_DEP_2) | instskip(NEXT) | instid1(VALU_DEP_2)
	v_max_i32_e32 v12, v22, v11
	v_or3_b32 v6, v6, v39, v41
	s_delay_alu instid0(VALU_DEP_2) | instskip(NEXT) | instid1(VALU_DEP_2)
	v_cndmask_b32_e64 v12, v22, v12, s11
	v_or3_b32 v6, v17, v21, v6
	s_delay_alu instid0(VALU_DEP_2) | instskip(NEXT) | instid1(VALU_DEP_2)
	v_max_i32_e32 v13, v16, v12
	v_and_b32_e32 v15, 0xff, v6
	s_delay_alu instid0(VALU_DEP_2) | instskip(NEXT) | instid1(VALU_DEP_2)
	v_cndmask_b32_e64 v13, v16, v13, s8
	v_cmp_eq_u64_e64 s12, 0, v[14:15]
	s_delay_alu instid0(VALU_DEP_1) | instskip(NEXT) | instid1(VALU_DEP_1)
	v_dual_cndmask_b32 v6, 1, v19, s12 :: v_dual_bitop2_b32 v1, 56, v1 bitop3:0x40
	v_lshl_add_u32 v1, v0, 3, v1
	ds_store_b32 v1, v13
	ds_store_b8 v1, v6 offset:4
	s_wait_dscnt 0x0
	s_barrier_signal -1
	s_barrier_wait -1
	v_cmpx_gt_u32_e32 32, v0
	s_cbranch_execz .LBB53_126
; %bb.117:
	v_dual_lshlrev_b32 v1, 1, v0 :: v_dual_lshlrev_b32 v14, 6, v0
	s_mov_b32 s13, exec_lo
	s_delay_alu instid0(VALU_DEP_1) | instskip(NEXT) | instid1(VALU_DEP_1)
	v_and_b32_e32 v1, 0x1f8, v1
	v_add_nc_u32_e32 v1, v1, v14
	ds_load_2addr_b32 v[42:43], v1 offset0:2 offset1:4
	ds_load_b64 v[14:15], v1
	ds_load_u8 v17, v1 offset:12
	ds_load_2addr_b32 v[44:45], v1 offset0:6 offset1:8
	ds_load_u8 v21, v1 offset:20
	ds_load_u8 v23, v1 offset:28
	;; [unrolled: 1-line block ×5, first 2 shown]
	ds_load_b32 v33, v1 offset:56
	s_wait_dscnt 0x8
	v_max_i32_e32 v31, v42, v14
	s_wait_dscnt 0x7
	v_cmp_eq_u16_e64 s12, 0, v17
	ds_load_u8 v35, v1 offset:60
	s_wait_dscnt 0x6
	v_dual_cndmask_b32 v31, v42, v31, s12 :: v_dual_bitop2_b32 v17, v21, v17 bitop3:0x54
	v_cmp_eq_u16_e64 s12, 0, v21
	s_wait_dscnt 0x4
	s_delay_alu instid0(VALU_DEP_2) | instskip(NEXT) | instid1(VALU_DEP_3)
	v_bitop3_b16 v17, v17, v25, v23 bitop3:0xfe
	v_max_i32_e32 v31, v43, v31
	s_delay_alu instid0(VALU_DEP_1)
	v_cndmask_b32_e64 v31, v43, v31, s12
	ds_load_2addr_b32 v[42:43], v1 offset0:10 offset1:12
	v_cmp_eq_u16_e64 s12, 0, v23
	s_wait_dscnt 0x3
	v_bitop3_b16 v23, v17, v29, v27 bitop3:0xfe
	v_and_b32_e32 v17, 1, v15
	v_max_i32_e32 v31, v44, v31
	s_delay_alu instid0(VALU_DEP_1) | instskip(SKIP_3) | instid1(VALU_DEP_3)
	v_cndmask_b32_e64 v31, v44, v31, s12
	v_cmp_eq_u16_e64 s12, 0, v25
	s_wait_dscnt 0x1
	v_and_b32_e32 v25, 1, v35
	v_max_i32_e32 v31, v45, v31
	s_delay_alu instid0(VALU_DEP_1) | instskip(SKIP_2) | instid1(VALU_DEP_2)
	v_cndmask_b32_e64 v21, v45, v31, s12
	v_cmp_eq_u16_e64 s12, 0, v27
	s_wait_dscnt 0x0
	v_max_i32_e32 v21, v42, v21
	s_delay_alu instid0(VALU_DEP_1) | instskip(SKIP_1) | instid1(VALU_DEP_2)
	v_cndmask_b32_e64 v21, v42, v21, s12
	v_cmp_eq_u16_e64 s12, 0, v23
	v_max_i32_e32 v21, v43, v21
	s_delay_alu instid0(VALU_DEP_2) | instskip(SKIP_1) | instid1(VALU_DEP_1)
	v_cndmask_b32_e64 v23, 1, v17, s12
	v_cmp_eq_u32_e64 s12, 1, v25
	v_cndmask_b32_e64 v27, v23, 1, s12
	v_cmp_eq_u16_e64 s12, 0, v29
	s_delay_alu instid0(VALU_DEP_2) | instskip(NEXT) | instid1(VALU_DEP_2)
	v_and_b32_e32 v25, 0xffff, v27
	v_cndmask_b32_e64 v23, v43, v21, s12
	v_and_b32_e32 v21, 0xffffff00, v15
	v_cmp_eq_u16_e64 s12, 0, v35
	s_delay_alu instid0(VALU_DEP_3) | instskip(SKIP_1) | instid1(VALU_DEP_4)
	v_max_i32_e32 v29, v33, v23
	v_mbcnt_lo_u32_b32 v23, -1, 0
	v_or_b32_e32 v31, v21, v25
	s_delay_alu instid0(VALU_DEP_2) | instskip(NEXT) | instid1(VALU_DEP_2)
	v_dual_cndmask_b32 v25, v33, v29, s12 :: v_dual_bitop2_b32 v29, 15, v23 bitop3:0x40
	v_mov_b32_dpp v35, v31 row_shr:1 row_mask:0xf bank_mask:0xf
	s_delay_alu instid0(VALU_DEP_2) | instskip(NEXT) | instid1(VALU_DEP_3)
	v_mov_b32_dpp v33, v25 row_shr:1 row_mask:0xf bank_mask:0xf
	v_cmpx_ne_u32_e32 0, v29
	s_cbranch_execz .LBB53_119
; %bb.118:
	v_and_b32_e32 v31, 1, v27
	v_and_b32_e32 v35, 1, v35
	s_delay_alu instid0(VALU_DEP_2) | instskip(SKIP_1) | instid1(VALU_DEP_2)
	v_cmp_eq_u32_e64 s12, 1, v31
	v_max_i32_e32 v31, v25, v33
	v_cndmask_b32_e64 v35, v35, 1, s12
	v_cmp_eq_u16_e64 s12, 0, v27
	s_delay_alu instid0(VALU_DEP_2) | instskip(NEXT) | instid1(VALU_DEP_2)
	v_and_b32_e32 v33, 0xffff, v35
	v_dual_cndmask_b32 v25, v25, v31, s12 :: v_dual_mov_b32 v27, v35
	s_delay_alu instid0(VALU_DEP_2)
	v_or_b32_e32 v31, v21, v33
.LBB53_119:
	s_or_b32 exec_lo, exec_lo, s13
	s_delay_alu instid0(VALU_DEP_2) | instskip(NEXT) | instid1(VALU_DEP_2)
	v_mov_b32_dpp v33, v25 row_shr:2 row_mask:0xf bank_mask:0xf
	v_mov_b32_dpp v35, v31 row_shr:2 row_mask:0xf bank_mask:0xf
	s_mov_b32 s13, exec_lo
	v_cmpx_lt_u32_e32 1, v29
	s_cbranch_execz .LBB53_121
; %bb.120:
	v_and_b32_e32 v31, 1, v27
	v_and_b32_e32 v35, 1, v35
	s_delay_alu instid0(VALU_DEP_2) | instskip(SKIP_1) | instid1(VALU_DEP_2)
	v_cmp_eq_u32_e64 s12, 1, v31
	v_max_i32_e32 v31, v25, v33
	v_cndmask_b32_e64 v35, v35, 1, s12
	v_cmp_eq_u16_e64 s12, 0, v27
	s_delay_alu instid0(VALU_DEP_2) | instskip(NEXT) | instid1(VALU_DEP_2)
	v_and_b32_e32 v33, 0xffff, v35
	v_dual_cndmask_b32 v25, v25, v31, s12 :: v_dual_mov_b32 v27, v35
	s_delay_alu instid0(VALU_DEP_2)
	v_or_b32_e32 v31, v21, v33
.LBB53_121:
	s_or_b32 exec_lo, exec_lo, s13
	s_delay_alu instid0(VALU_DEP_2) | instskip(NEXT) | instid1(VALU_DEP_2)
	v_mov_b32_dpp v33, v25 row_shr:4 row_mask:0xf bank_mask:0xf
	v_mov_b32_dpp v35, v31 row_shr:4 row_mask:0xf bank_mask:0xf
	s_mov_b32 s13, exec_lo
	v_cmpx_lt_u32_e32 3, v29
	;; [unrolled: 21-line block ×3, first 2 shown]
	s_cbranch_execz .LBB53_125
; %bb.124:
	v_and_b32_e32 v29, 1, v27
	v_and_b32_e32 v31, 1, v35
	s_delay_alu instid0(VALU_DEP_2) | instskip(NEXT) | instid1(VALU_DEP_1)
	v_cmp_eq_u32_e64 s12, 1, v29
	v_cndmask_b32_e64 v29, v31, 1, s12
	v_max_i32_e32 v31, v25, v33
	v_cmp_eq_u16_e64 s12, 0, v27
	s_delay_alu instid0(VALU_DEP_3) | instskip(SKIP_1) | instid1(VALU_DEP_3)
	v_and_b32_e32 v33, 0xffff, v29
	v_mov_b32_e32 v27, v29
	v_cndmask_b32_e64 v25, v25, v31, s12
	s_delay_alu instid0(VALU_DEP_3)
	v_or_b32_e32 v31, v21, v33
.LBB53_125:
	s_or_b32 exec_lo, exec_lo, s13
	ds_swizzle_b32 v29, v25 offset:swizzle(BROADCAST,32,15)
	ds_swizzle_b32 v31, v31 offset:swizzle(BROADCAST,32,15)
	v_cmp_eq_u16_e64 s12, 0, v27
	v_and_b32_e32 v15, 0xff, v15
	; wave barrier
	s_wait_dscnt 0x1
	v_max_i32_e32 v29, v25, v29
	v_and_b32_e32 v33, 16, v23
	s_wait_dscnt 0x0
	s_delay_alu instid0(VALU_DEP_2) | instskip(NEXT) | instid1(VALU_DEP_2)
	v_dual_cndmask_b32 v29, v25, v29, s12 :: v_dual_bitop2_b32 v31, 1, v31 bitop3:0x40
	v_cmp_eq_u32_e64 s12, 0, v33
	v_and_b32_e32 v35, 1, v27
	s_delay_alu instid0(VALU_DEP_2) | instskip(NEXT) | instid1(VALU_DEP_2)
	v_dual_add_nc_u32 v33, -1, v23 :: v_dual_cndmask_b32 v25, v29, v25, s12
	v_cmp_eq_u32_e64 s13, 1, v35
	s_delay_alu instid0(VALU_DEP_1) | instskip(NEXT) | instid1(VALU_DEP_1)
	v_cndmask_b32_e64 v31, v31, 1, s13
	v_cndmask_b32_e64 v27, v31, v27, s12
	s_delay_alu instid0(VALU_DEP_4) | instskip(NEXT) | instid1(VALU_DEP_2)
	v_cmp_gt_i32_e64 s12, 0, v33
	v_and_b32_e32 v27, 0xffff, v27
	s_delay_alu instid0(VALU_DEP_2) | instskip(SKIP_1) | instid1(VALU_DEP_3)
	v_cndmask_b32_e64 v23, v33, v23, s12
	v_cmp_eq_u16_e64 s12, 0, v15
	v_or_b32_e32 v21, v21, v27
	s_delay_alu instid0(VALU_DEP_3)
	v_lshlrev_b32_e32 v23, 2, v23
	ds_bpermute_b32 v25, v23, v25
	ds_bpermute_b32 v21, v23, v21
	s_wait_dscnt 0x1
	v_max_i32_e32 v23, v14, v25
	s_wait_dscnt 0x0
	s_delay_alu instid0(VALU_DEP_1) | instskip(SKIP_1) | instid1(VALU_DEP_2)
	v_dual_cndmask_b32 v14, v14, v23, s12 :: v_dual_bitop2_b32 v21, 1, v21 bitop3:0x40
	v_cmp_eq_u32_e64 s12, 1, v17
	v_cndmask_b32_e32 v17, v14, v13, vcc_lo
	s_delay_alu instid0(VALU_DEP_2) | instskip(NEXT) | instid1(VALU_DEP_1)
	v_cndmask_b32_e64 v15, v21, 1, s12
	v_cndmask_b32_e32 v6, v15, v6, vcc_lo
	ds_store_b32 v1, v17
	ds_store_b8 v1, v6 offset:4
	; wave barrier
	ds_load_2addr_b32 v[14:15], v1 offset0:2 offset1:4
	ds_load_u8 v21, v1 offset:12
	ds_load_u8 v23, v1 offset:20
	ds_load_2addr_b32 v[42:43], v1 offset0:6 offset1:8
	ds_load_u8 v25, v1 offset:28
	ds_load_u8 v27, v1 offset:36
	;; [unrolled: 1-line block ×4, first 2 shown]
	ds_load_b32 v33, v1 offset:56
	ds_load_u8 v35, v1 offset:60
	s_wait_dscnt 0x9
	v_max_i32_e32 v17, v14, v17
	s_wait_dscnt 0x8
	v_cmp_eq_u16_e64 s12, 0, v21
	v_and_b32_e32 v21, 1, v21
	s_delay_alu instid0(VALU_DEP_2) | instskip(SKIP_2) | instid1(VALU_DEP_2)
	v_cndmask_b32_e64 v17, v14, v17, s12
	s_wait_dscnt 0x7
	v_cmp_eq_u16_e64 s12, 0, v23
	v_max_i32_e32 v14, v15, v17
	s_delay_alu instid0(VALU_DEP_1)
	v_cndmask_b32_e64 v37, v15, v14, s12
	s_wait_dscnt 0x5
	v_cmp_eq_u16_e64 s12, 0, v25
	ds_load_2addr_b32 v[14:15], v1 offset0:10 offset1:12
	v_max_i32_e32 v39, v42, v37
	ds_store_2addr_b32 v1, v17, v37 offset0:2 offset1:4
	v_cndmask_b32_e64 v39, v42, v39, s12
	v_cmp_eq_u32_e64 s12, 1, v21
	v_and_b32_e32 v21, 1, v25
	s_wait_dscnt 0x5
	v_and_b32_e32 v42, 1, v29
	v_max_i32_e32 v41, v43, v39
	v_cndmask_b32_e64 v6, v6, 1, s12
	v_cmp_eq_u16_e64 s12, 0, v27
	s_delay_alu instid0(VALU_DEP_1) | instskip(NEXT) | instid1(VALU_DEP_1)
	v_dual_cndmask_b32 v25, v43, v41, s12 :: v_dual_bitop2_b32 v23, 1, v23 bitop3:0x40
	v_cmp_eq_u32_e64 s12, 1, v23
	s_wait_dscnt 0x2
	v_and_b32_e32 v43, 1, v35
	s_wait_dscnt 0x1
	v_max_i32_e32 v41, v14, v25
	v_cndmask_b32_e64 v23, v6, 1, s12
	v_cmp_eq_u32_e64 s12, 1, v21
	s_delay_alu instid0(VALU_DEP_1) | instskip(SKIP_1) | instid1(VALU_DEP_1)
	v_cndmask_b32_e64 v21, v23, 1, s12
	v_cmp_eq_u16_e64 s12, 0, v29
	v_dual_cndmask_b32 v14, v14, v41, s12 :: v_dual_bitop2_b32 v27, 1, v27 bitop3:0x40
	s_delay_alu instid0(VALU_DEP_1) | instskip(NEXT) | instid1(VALU_DEP_2)
	v_cmp_eq_u32_e64 s12, 1, v27
	v_max_i32_e32 v41, v15, v14
	s_delay_alu instid0(VALU_DEP_2) | instskip(SKIP_1) | instid1(VALU_DEP_1)
	v_cndmask_b32_e64 v27, v21, 1, s12
	v_cmp_eq_u32_e64 s12, 1, v42
	v_cndmask_b32_e64 v42, v27, 1, s12
	v_cmp_eq_u16_e64 s12, 0, v31
	s_delay_alu instid0(VALU_DEP_1) | instskip(NEXT) | instid1(VALU_DEP_1)
	v_dual_cndmask_b32 v15, v15, v41, s12 :: v_dual_bitop2_b32 v29, 1, v31 bitop3:0x40
	v_cmp_eq_u32_e64 s12, 1, v29
	ds_store_2addr_b32 v1, v39, v25 offset0:6 offset1:8
	ds_store_2addr_b32 v1, v14, v15 offset0:10 offset1:12
	v_max_i32_e32 v17, v33, v15
	v_cndmask_b32_e64 v29, v42, 1, s12
	v_cmp_eq_u32_e64 s12, 1, v43
	s_delay_alu instid0(VALU_DEP_1) | instskip(SKIP_1) | instid1(VALU_DEP_1)
	v_cndmask_b32_e64 v31, v29, 1, s12
	v_cmp_eq_u16_e64 s12, 0, v35
	v_cndmask_b32_e64 v14, v33, v17, s12
	ds_store_b8 v1, v6 offset:12
	ds_store_b8 v1, v23 offset:20
	ds_store_b8 v1, v21 offset:28
	ds_store_b8 v1, v27 offset:36
	ds_store_b8 v1, v42 offset:44
	ds_store_b8 v1, v29 offset:52
	ds_store_b32 v1, v14 offset:56
	ds_store_b8 v1, v31 offset:60
.LBB53_126:
	s_or_b32 exec_lo, exec_lo, s16
	v_mov_b32_e32 v6, v18
	s_wait_dscnt 0x0
	s_barrier_signal -1
	s_barrier_wait -1
	s_delay_alu instid0(VALU_DEP_1)
	v_mov_b64_e32 v[14:15], v[6:7]
	s_and_saveexec_b32 s12, s0
	s_cbranch_execz .LBB53_128
; %bb.127:
	v_add_nc_u32_e32 v1, -1, v0
	v_and_b32_e32 v3, 0xff, v19
	s_delay_alu instid0(VALU_DEP_2) | instskip(NEXT) | instid1(VALU_DEP_1)
	v_lshrrev_b32_e32 v2, 2, v1
	v_and_b32_e32 v2, 0x3ffffff8, v2
	s_delay_alu instid0(VALU_DEP_1)
	v_lshl_add_u32 v1, v1, 3, v2
	v_mov_b32_e32 v2, 0
	ds_load_b32 v1, v1
	v_cmp_eq_u64_e64 s0, 0, v[2:3]
	;;#ASMSTART
	;;#ASMEND
	s_wait_dscnt 0x0
	v_max_i32_e32 v1, v18, v1
	s_delay_alu instid0(VALU_DEP_1) | instskip(NEXT) | instid1(VALU_DEP_1)
	v_cndmask_b32_e64 v14, v18, v1, s0
	v_max_i32_e32 v1, v40, v14
	s_delay_alu instid0(VALU_DEP_1) | instskip(NEXT) | instid1(VALU_DEP_1)
	v_dual_cndmask_b32 v15, v40, v1, s1 :: v_dual_mov_b32 v18, v14
	v_dual_mov_b32 v7, v15 :: v_dual_max_i32 v1, v38, v15
	s_delay_alu instid0(VALU_DEP_1) | instskip(NEXT) | instid1(VALU_DEP_1)
	v_cndmask_b32_e64 v8, v38, v1, s2
	v_max_i32_e32 v1, v36, v8
	s_delay_alu instid0(VALU_DEP_1) | instskip(NEXT) | instid1(VALU_DEP_1)
	v_cndmask_b32_e64 v9, v36, v1, s3
	v_max_i32_e32 v1, v34, v9
	;; [unrolled: 3-line block ×9, first 2 shown]
	s_delay_alu instid0(VALU_DEP_1)
	v_cndmask_b32_e64 v13, v16, v1, s8
.LBB53_128:
	s_or_b32 exec_lo, exec_lo, s12
	s_and_saveexec_b32 s0, vcc_lo
	s_cbranch_execz .LBB53_130
; %bb.129:
	v_dual_mov_b32 v25, 0 :: v_dual_mov_b32 v24, 2
	s_add_nc_u64 s[2:3], s[28:29], 0x200
	ds_load_b32 v22, v25 offset:2096
	ds_load_u8 v23, v25 offset:2100
	v_mov_b64_e32 v[16:17], s[2:3]
	s_wait_dscnt 0x0
	;;#ASMSTART
	global_store_b128 v[16:17], v[22:25] off scope:SCOPE_DEV	
s_wait_storecnt 0x0
	;;#ASMEND
.LBB53_130:
	s_or_b32 exec_lo, exec_lo, s0
	v_mov_b32_e32 v6, v18
.LBB53_131:
	s_sub_nc_u64 s[2:3], 0, s[14:15]
	s_sub_nc_u64 s[0:1], 0, s[34:35]
	s_lshl_b64 s[2:3], s[2:3], 2
	s_lshl_b64 s[0:1], s[0:1], 2
	s_add_nc_u64 s[2:3], s[18:19], s[2:3]
	s_and_b32 vcc_lo, exec_lo, s25
	s_add_nc_u64 s[0:1], s[2:3], s[0:1]
	s_cbranch_vccz .LBB53_171
; %bb.132:
	v_mul_u32_u24_e32 v1, 12, v0
	s_add_co_i32 s31, s31, s30
	s_mov_b32 s2, exec_lo
	s_delay_alu instid0(VALU_DEP_1)
	v_cmpx_gt_u32_e64 s31, v1
	s_cbranch_execz .LBB53_148
; %bb.133:
	v_or_b32_e32 v16, 1, v1
	s_mov_b32 s3, exec_lo
	s_delay_alu instid0(VALU_DEP_1)
	v_cmpx_gt_u32_e64 s31, v16
	s_cbranch_execz .LBB53_147
; %bb.134:
	v_or_b32_e32 v16, 2, v1
	;; [unrolled: 6-line block ×3, first 2 shown]
	s_mov_b32 s5, exec_lo
	s_delay_alu instid0(VALU_DEP_1)
	v_cmpx_gt_u32_e64 s31, v16
	s_cbranch_execz .LBB53_145
; %bb.136:
	v_add_nc_u32_e32 v16, 4, v1
	s_mov_b32 s6, exec_lo
	s_delay_alu instid0(VALU_DEP_1)
	v_cmpx_gt_u32_e64 s31, v16
	s_cbranch_execz .LBB53_144
; %bb.137:
	v_add_nc_u32_e32 v16, 5, v1
	;; [unrolled: 6-line block ×4, first 2 shown]
	s_mov_b32 s9, exec_lo
	s_delay_alu instid0(VALU_DEP_1)
	v_cmpx_gt_u32_e64 s31, v16
; %bb.140:
	v_add_nc_u32_e32 v16, 8, v1
	s_mov_b32 s10, exec_lo
	s_delay_alu instid0(VALU_DEP_1)
	v_cmpx_gt_u32_e64 s31, v16
	s_or_b32 exec_lo, exec_lo, s10
; %bb.141:
	s_delay_alu instid0(SALU_CYCLE_1)
	s_or_b32 exec_lo, exec_lo, s9
.LBB53_142:
	s_delay_alu instid0(SALU_CYCLE_1)
	s_or_b32 exec_lo, exec_lo, s8
.LBB53_143:
	s_delay_alu instid0(SALU_CYCLE_1)
	s_or_b32 exec_lo, exec_lo, s7
.LBB53_144:
	s_delay_alu instid0(SALU_CYCLE_1)
	s_or_b32 exec_lo, exec_lo, s6
.LBB53_145:
	s_delay_alu instid0(SALU_CYCLE_1)
	s_or_b32 exec_lo, exec_lo, s5
.LBB53_146:
	s_delay_alu instid0(SALU_CYCLE_1)
	s_or_b32 exec_lo, exec_lo, s4
.LBB53_147:
	s_delay_alu instid0(SALU_CYCLE_1)
	s_or_b32 exec_lo, exec_lo, s3
.LBB53_148:
	s_delay_alu instid0(SALU_CYCLE_1) | instskip(SKIP_3) | instid1(VALU_DEP_1)
	s_or_b32 exec_lo, exec_lo, s2
	v_lshlrev_b32_e32 v30, 2, v1
	s_barrier_signal -1
	s_barrier_wait -1
	v_mad_i32_i24 v1, 0xffffffd4, v0, v30
	ds_store_b128 v30, v[6:9]
	ds_store_b128 v30, v[2:5] offset:16
	ds_store_b128 v30, v[10:13] offset:32
	s_wait_dscnt 0x0
	s_barrier_signal -1
	s_barrier_wait -1
	ds_load_2addr_stride64_b32 v[28:29], v1 offset0:4 offset1:8
	ds_load_2addr_stride64_b32 v[26:27], v1 offset0:12 offset1:16
	;; [unrolled: 1-line block ×5, first 2 shown]
	ds_load_b32 v7, v1 offset:11264
	v_mov_b32_e32 v1, 0
	s_mov_b32 s2, exec_lo
	s_delay_alu instid0(VALU_DEP_1) | instskip(NEXT) | instid1(VALU_DEP_1)
	v_mov_b32_e32 v21, v1
	v_sub_nc_u64_e32 v[18:19], s[0:1], v[20:21]
	v_cmpx_gt_u32_e64 s31, v0
	s_cbranch_execz .LBB53_150
; %bb.149:
	v_mul_i32_i24_e32 v6, 0xffffffd4, v0
	s_delay_alu instid0(VALU_DEP_1)
	v_add_nc_u32_e32 v6, v30, v6
	ds_load_b32 v6, v6
	s_wait_dscnt 0x0
	flat_store_b32 v[18:19], v6 offset:-4
.LBB53_150:
	s_wait_xcnt 0x0
	s_or_b32 exec_lo, exec_lo, s2
	v_or_b32_e32 v6, 0x100, v0
	s_mov_b32 s2, exec_lo
	s_delay_alu instid0(VALU_DEP_1)
	v_cmpx_gt_u32_e64 s31, v6
	s_cbranch_execz .LBB53_152
; %bb.151:
	s_wait_dscnt 0x5
	flat_store_b32 v[18:19], v28 offset:-1028
.LBB53_152:
	s_wait_xcnt 0x0
	s_or_b32 exec_lo, exec_lo, s2
	v_or_b32_e32 v6, 0x200, v0
	s_mov_b32 s2, exec_lo
	s_delay_alu instid0(VALU_DEP_1)
	v_cmpx_gt_u32_e64 s31, v6
	s_cbranch_execz .LBB53_154
; %bb.153:
	s_wait_dscnt 0x5
	flat_store_b32 v[18:19], v29 offset:-2052
.LBB53_154:
	;; [unrolled: 11-line block ×10, first 2 shown]
	s_wait_xcnt 0x0
	s_or_b32 exec_lo, exec_lo, s2
	v_or_b32_e32 v6, 0xb00, v0
	s_wait_dscnt 0x1
	v_sub_nc_u64_e32 v[16:17], 0, v[0:1]
	s_delay_alu instid0(VALU_DEP_2)
	v_cmp_gt_u32_e64 s2, s31, v6
	s_branch .LBB53_173
.LBB53_171:
	s_mov_b32 s2, 0
                                        ; implicit-def: $vgpr7
                                        ; implicit-def: $vgpr16_vgpr17
	s_cbranch_execz .LBB53_173
; %bb.172:
	v_mul_i32_i24_e32 v6, 0xffffffd4, v0
	v_mul_u32_u24_e32 v1, 48, v0
	v_dual_mov_b32 v16, v8 :: v_dual_mov_b32 v17, v9
	s_wait_storecnt_dscnt 0x0
	s_delay_alu instid0(VALU_DEP_3)
	v_mad_u32_u24 v6, v0, 48, v6
	s_barrier_signal -1
	s_barrier_wait -1
	ds_store_b128 v1, v[14:17]
	ds_store_b128 v1, v[2:5] offset:16
	ds_store_b128 v1, v[10:13] offset:32
	s_wait_dscnt 0x0
	s_barrier_signal -1
	s_barrier_wait -1
	ds_load_2addr_stride64_b32 v[2:3], v6 offset1:4
	ds_load_2addr_stride64_b32 v[4:5], v6 offset0:8 offset1:12
	ds_load_2addr_stride64_b32 v[8:9], v6 offset0:16 offset1:20
	;; [unrolled: 1-line block ×5, first 2 shown]
	v_mov_b32_e32 v1, 0
	s_or_b32 s2, s2, exec_lo
	s_delay_alu instid0(VALU_DEP_1) | instskip(SKIP_1) | instid1(VALU_DEP_2)
	v_mov_b32_e32 v21, v1
	v_sub_nc_u64_e32 v[16:17], 0, v[0:1]
	v_sub_nc_u64_e32 v[14:15], s[0:1], v[20:21]
	s_wait_dscnt 0x5
	s_clause 0x1
	flat_store_b32 v[14:15], v2 offset:-4
	flat_store_b32 v[14:15], v3 offset:-1028
	s_wait_dscnt 0x6
	s_clause 0x1
	flat_store_b32 v[14:15], v4 offset:-2052
	flat_store_b32 v[14:15], v5 offset:-3076
	;; [unrolled: 4-line block ×5, first 2 shown]
	s_wait_dscnt 0xa
	flat_store_b32 v[14:15], v6 offset:-10244
.LBB53_173:
	s_wait_xcnt 0x0
	s_delay_alu instid0(VALU_DEP_1)
	s_and_saveexec_b32 s3, s2
	s_cbranch_execz .LBB53_175
; %bb.174:
	s_delay_alu instid0(VALU_DEP_2)
	v_lshl_add_u64 v[0:1], v[16:17], 2, s[0:1]
	s_wait_dscnt 0x0
	flat_store_b32 v[0:1], v7 offset:-11268
	s_endpgm
.LBB53_175:
	s_endpgm
	.section	.rodata,"a",@progbits
	.p2align	6, 0x0
	.amdhsa_kernel _ZN7rocprim17ROCPRIM_400000_NS6detail17trampoline_kernelINS0_14default_configENS1_27scan_by_key_config_selectorIiiEEZZNS1_16scan_by_key_implILNS1_25lookback_scan_determinismE0ELb0ES3_N6thrust23THRUST_200600_302600_NS16reverse_iteratorIPKiEESD_NSA_IPiEEiN6hipcub16HIPCUB_304000_NS3MaxENSH_8EqualityEiEE10hipError_tPvRmT2_T3_T4_T5_mT6_T7_P12ihipStream_tbENKUlT_T0_E_clISt17integral_constantIbLb0EES10_EEDaSV_SW_EUlSV_E_NS1_11comp_targetILNS1_3genE0ELNS1_11target_archE4294967295ELNS1_3gpuE0ELNS1_3repE0EEENS1_30default_config_static_selectorELNS0_4arch9wavefront6targetE0EEEvT1_
		.amdhsa_group_segment_fixed_size 14336
		.amdhsa_private_segment_fixed_size 0
		.amdhsa_kernarg_size 112
		.amdhsa_user_sgpr_count 2
		.amdhsa_user_sgpr_dispatch_ptr 0
		.amdhsa_user_sgpr_queue_ptr 0
		.amdhsa_user_sgpr_kernarg_segment_ptr 1
		.amdhsa_user_sgpr_dispatch_id 0
		.amdhsa_user_sgpr_kernarg_preload_length 0
		.amdhsa_user_sgpr_kernarg_preload_offset 0
		.amdhsa_user_sgpr_private_segment_size 0
		.amdhsa_wavefront_size32 1
		.amdhsa_uses_dynamic_stack 0
		.amdhsa_enable_private_segment 0
		.amdhsa_system_sgpr_workgroup_id_x 1
		.amdhsa_system_sgpr_workgroup_id_y 0
		.amdhsa_system_sgpr_workgroup_id_z 0
		.amdhsa_system_sgpr_workgroup_info 0
		.amdhsa_system_vgpr_workitem_id 0
		.amdhsa_next_free_vgpr 60
		.amdhsa_next_free_sgpr 44
		.amdhsa_named_barrier_count 0
		.amdhsa_reserve_vcc 1
		.amdhsa_float_round_mode_32 0
		.amdhsa_float_round_mode_16_64 0
		.amdhsa_float_denorm_mode_32 3
		.amdhsa_float_denorm_mode_16_64 3
		.amdhsa_fp16_overflow 0
		.amdhsa_memory_ordered 1
		.amdhsa_forward_progress 1
		.amdhsa_inst_pref_size 96
		.amdhsa_round_robin_scheduling 0
		.amdhsa_exception_fp_ieee_invalid_op 0
		.amdhsa_exception_fp_denorm_src 0
		.amdhsa_exception_fp_ieee_div_zero 0
		.amdhsa_exception_fp_ieee_overflow 0
		.amdhsa_exception_fp_ieee_underflow 0
		.amdhsa_exception_fp_ieee_inexact 0
		.amdhsa_exception_int_div_zero 0
	.end_amdhsa_kernel
	.section	.text._ZN7rocprim17ROCPRIM_400000_NS6detail17trampoline_kernelINS0_14default_configENS1_27scan_by_key_config_selectorIiiEEZZNS1_16scan_by_key_implILNS1_25lookback_scan_determinismE0ELb0ES3_N6thrust23THRUST_200600_302600_NS16reverse_iteratorIPKiEESD_NSA_IPiEEiN6hipcub16HIPCUB_304000_NS3MaxENSH_8EqualityEiEE10hipError_tPvRmT2_T3_T4_T5_mT6_T7_P12ihipStream_tbENKUlT_T0_E_clISt17integral_constantIbLb0EES10_EEDaSV_SW_EUlSV_E_NS1_11comp_targetILNS1_3genE0ELNS1_11target_archE4294967295ELNS1_3gpuE0ELNS1_3repE0EEENS1_30default_config_static_selectorELNS0_4arch9wavefront6targetE0EEEvT1_,"axG",@progbits,_ZN7rocprim17ROCPRIM_400000_NS6detail17trampoline_kernelINS0_14default_configENS1_27scan_by_key_config_selectorIiiEEZZNS1_16scan_by_key_implILNS1_25lookback_scan_determinismE0ELb0ES3_N6thrust23THRUST_200600_302600_NS16reverse_iteratorIPKiEESD_NSA_IPiEEiN6hipcub16HIPCUB_304000_NS3MaxENSH_8EqualityEiEE10hipError_tPvRmT2_T3_T4_T5_mT6_T7_P12ihipStream_tbENKUlT_T0_E_clISt17integral_constantIbLb0EES10_EEDaSV_SW_EUlSV_E_NS1_11comp_targetILNS1_3genE0ELNS1_11target_archE4294967295ELNS1_3gpuE0ELNS1_3repE0EEENS1_30default_config_static_selectorELNS0_4arch9wavefront6targetE0EEEvT1_,comdat
.Lfunc_end53:
	.size	_ZN7rocprim17ROCPRIM_400000_NS6detail17trampoline_kernelINS0_14default_configENS1_27scan_by_key_config_selectorIiiEEZZNS1_16scan_by_key_implILNS1_25lookback_scan_determinismE0ELb0ES3_N6thrust23THRUST_200600_302600_NS16reverse_iteratorIPKiEESD_NSA_IPiEEiN6hipcub16HIPCUB_304000_NS3MaxENSH_8EqualityEiEE10hipError_tPvRmT2_T3_T4_T5_mT6_T7_P12ihipStream_tbENKUlT_T0_E_clISt17integral_constantIbLb0EES10_EEDaSV_SW_EUlSV_E_NS1_11comp_targetILNS1_3genE0ELNS1_11target_archE4294967295ELNS1_3gpuE0ELNS1_3repE0EEENS1_30default_config_static_selectorELNS0_4arch9wavefront6targetE0EEEvT1_, .Lfunc_end53-_ZN7rocprim17ROCPRIM_400000_NS6detail17trampoline_kernelINS0_14default_configENS1_27scan_by_key_config_selectorIiiEEZZNS1_16scan_by_key_implILNS1_25lookback_scan_determinismE0ELb0ES3_N6thrust23THRUST_200600_302600_NS16reverse_iteratorIPKiEESD_NSA_IPiEEiN6hipcub16HIPCUB_304000_NS3MaxENSH_8EqualityEiEE10hipError_tPvRmT2_T3_T4_T5_mT6_T7_P12ihipStream_tbENKUlT_T0_E_clISt17integral_constantIbLb0EES10_EEDaSV_SW_EUlSV_E_NS1_11comp_targetILNS1_3genE0ELNS1_11target_archE4294967295ELNS1_3gpuE0ELNS1_3repE0EEENS1_30default_config_static_selectorELNS0_4arch9wavefront6targetE0EEEvT1_
                                        ; -- End function
	.set _ZN7rocprim17ROCPRIM_400000_NS6detail17trampoline_kernelINS0_14default_configENS1_27scan_by_key_config_selectorIiiEEZZNS1_16scan_by_key_implILNS1_25lookback_scan_determinismE0ELb0ES3_N6thrust23THRUST_200600_302600_NS16reverse_iteratorIPKiEESD_NSA_IPiEEiN6hipcub16HIPCUB_304000_NS3MaxENSH_8EqualityEiEE10hipError_tPvRmT2_T3_T4_T5_mT6_T7_P12ihipStream_tbENKUlT_T0_E_clISt17integral_constantIbLb0EES10_EEDaSV_SW_EUlSV_E_NS1_11comp_targetILNS1_3genE0ELNS1_11target_archE4294967295ELNS1_3gpuE0ELNS1_3repE0EEENS1_30default_config_static_selectorELNS0_4arch9wavefront6targetE0EEEvT1_.num_vgpr, 60
	.set _ZN7rocprim17ROCPRIM_400000_NS6detail17trampoline_kernelINS0_14default_configENS1_27scan_by_key_config_selectorIiiEEZZNS1_16scan_by_key_implILNS1_25lookback_scan_determinismE0ELb0ES3_N6thrust23THRUST_200600_302600_NS16reverse_iteratorIPKiEESD_NSA_IPiEEiN6hipcub16HIPCUB_304000_NS3MaxENSH_8EqualityEiEE10hipError_tPvRmT2_T3_T4_T5_mT6_T7_P12ihipStream_tbENKUlT_T0_E_clISt17integral_constantIbLb0EES10_EEDaSV_SW_EUlSV_E_NS1_11comp_targetILNS1_3genE0ELNS1_11target_archE4294967295ELNS1_3gpuE0ELNS1_3repE0EEENS1_30default_config_static_selectorELNS0_4arch9wavefront6targetE0EEEvT1_.num_agpr, 0
	.set _ZN7rocprim17ROCPRIM_400000_NS6detail17trampoline_kernelINS0_14default_configENS1_27scan_by_key_config_selectorIiiEEZZNS1_16scan_by_key_implILNS1_25lookback_scan_determinismE0ELb0ES3_N6thrust23THRUST_200600_302600_NS16reverse_iteratorIPKiEESD_NSA_IPiEEiN6hipcub16HIPCUB_304000_NS3MaxENSH_8EqualityEiEE10hipError_tPvRmT2_T3_T4_T5_mT6_T7_P12ihipStream_tbENKUlT_T0_E_clISt17integral_constantIbLb0EES10_EEDaSV_SW_EUlSV_E_NS1_11comp_targetILNS1_3genE0ELNS1_11target_archE4294967295ELNS1_3gpuE0ELNS1_3repE0EEENS1_30default_config_static_selectorELNS0_4arch9wavefront6targetE0EEEvT1_.numbered_sgpr, 44
	.set _ZN7rocprim17ROCPRIM_400000_NS6detail17trampoline_kernelINS0_14default_configENS1_27scan_by_key_config_selectorIiiEEZZNS1_16scan_by_key_implILNS1_25lookback_scan_determinismE0ELb0ES3_N6thrust23THRUST_200600_302600_NS16reverse_iteratorIPKiEESD_NSA_IPiEEiN6hipcub16HIPCUB_304000_NS3MaxENSH_8EqualityEiEE10hipError_tPvRmT2_T3_T4_T5_mT6_T7_P12ihipStream_tbENKUlT_T0_E_clISt17integral_constantIbLb0EES10_EEDaSV_SW_EUlSV_E_NS1_11comp_targetILNS1_3genE0ELNS1_11target_archE4294967295ELNS1_3gpuE0ELNS1_3repE0EEENS1_30default_config_static_selectorELNS0_4arch9wavefront6targetE0EEEvT1_.num_named_barrier, 0
	.set _ZN7rocprim17ROCPRIM_400000_NS6detail17trampoline_kernelINS0_14default_configENS1_27scan_by_key_config_selectorIiiEEZZNS1_16scan_by_key_implILNS1_25lookback_scan_determinismE0ELb0ES3_N6thrust23THRUST_200600_302600_NS16reverse_iteratorIPKiEESD_NSA_IPiEEiN6hipcub16HIPCUB_304000_NS3MaxENSH_8EqualityEiEE10hipError_tPvRmT2_T3_T4_T5_mT6_T7_P12ihipStream_tbENKUlT_T0_E_clISt17integral_constantIbLb0EES10_EEDaSV_SW_EUlSV_E_NS1_11comp_targetILNS1_3genE0ELNS1_11target_archE4294967295ELNS1_3gpuE0ELNS1_3repE0EEENS1_30default_config_static_selectorELNS0_4arch9wavefront6targetE0EEEvT1_.private_seg_size, 0
	.set _ZN7rocprim17ROCPRIM_400000_NS6detail17trampoline_kernelINS0_14default_configENS1_27scan_by_key_config_selectorIiiEEZZNS1_16scan_by_key_implILNS1_25lookback_scan_determinismE0ELb0ES3_N6thrust23THRUST_200600_302600_NS16reverse_iteratorIPKiEESD_NSA_IPiEEiN6hipcub16HIPCUB_304000_NS3MaxENSH_8EqualityEiEE10hipError_tPvRmT2_T3_T4_T5_mT6_T7_P12ihipStream_tbENKUlT_T0_E_clISt17integral_constantIbLb0EES10_EEDaSV_SW_EUlSV_E_NS1_11comp_targetILNS1_3genE0ELNS1_11target_archE4294967295ELNS1_3gpuE0ELNS1_3repE0EEENS1_30default_config_static_selectorELNS0_4arch9wavefront6targetE0EEEvT1_.uses_vcc, 1
	.set _ZN7rocprim17ROCPRIM_400000_NS6detail17trampoline_kernelINS0_14default_configENS1_27scan_by_key_config_selectorIiiEEZZNS1_16scan_by_key_implILNS1_25lookback_scan_determinismE0ELb0ES3_N6thrust23THRUST_200600_302600_NS16reverse_iteratorIPKiEESD_NSA_IPiEEiN6hipcub16HIPCUB_304000_NS3MaxENSH_8EqualityEiEE10hipError_tPvRmT2_T3_T4_T5_mT6_T7_P12ihipStream_tbENKUlT_T0_E_clISt17integral_constantIbLb0EES10_EEDaSV_SW_EUlSV_E_NS1_11comp_targetILNS1_3genE0ELNS1_11target_archE4294967295ELNS1_3gpuE0ELNS1_3repE0EEENS1_30default_config_static_selectorELNS0_4arch9wavefront6targetE0EEEvT1_.uses_flat_scratch, 1
	.set _ZN7rocprim17ROCPRIM_400000_NS6detail17trampoline_kernelINS0_14default_configENS1_27scan_by_key_config_selectorIiiEEZZNS1_16scan_by_key_implILNS1_25lookback_scan_determinismE0ELb0ES3_N6thrust23THRUST_200600_302600_NS16reverse_iteratorIPKiEESD_NSA_IPiEEiN6hipcub16HIPCUB_304000_NS3MaxENSH_8EqualityEiEE10hipError_tPvRmT2_T3_T4_T5_mT6_T7_P12ihipStream_tbENKUlT_T0_E_clISt17integral_constantIbLb0EES10_EEDaSV_SW_EUlSV_E_NS1_11comp_targetILNS1_3genE0ELNS1_11target_archE4294967295ELNS1_3gpuE0ELNS1_3repE0EEENS1_30default_config_static_selectorELNS0_4arch9wavefront6targetE0EEEvT1_.has_dyn_sized_stack, 0
	.set _ZN7rocprim17ROCPRIM_400000_NS6detail17trampoline_kernelINS0_14default_configENS1_27scan_by_key_config_selectorIiiEEZZNS1_16scan_by_key_implILNS1_25lookback_scan_determinismE0ELb0ES3_N6thrust23THRUST_200600_302600_NS16reverse_iteratorIPKiEESD_NSA_IPiEEiN6hipcub16HIPCUB_304000_NS3MaxENSH_8EqualityEiEE10hipError_tPvRmT2_T3_T4_T5_mT6_T7_P12ihipStream_tbENKUlT_T0_E_clISt17integral_constantIbLb0EES10_EEDaSV_SW_EUlSV_E_NS1_11comp_targetILNS1_3genE0ELNS1_11target_archE4294967295ELNS1_3gpuE0ELNS1_3repE0EEENS1_30default_config_static_selectorELNS0_4arch9wavefront6targetE0EEEvT1_.has_recursion, 0
	.set _ZN7rocprim17ROCPRIM_400000_NS6detail17trampoline_kernelINS0_14default_configENS1_27scan_by_key_config_selectorIiiEEZZNS1_16scan_by_key_implILNS1_25lookback_scan_determinismE0ELb0ES3_N6thrust23THRUST_200600_302600_NS16reverse_iteratorIPKiEESD_NSA_IPiEEiN6hipcub16HIPCUB_304000_NS3MaxENSH_8EqualityEiEE10hipError_tPvRmT2_T3_T4_T5_mT6_T7_P12ihipStream_tbENKUlT_T0_E_clISt17integral_constantIbLb0EES10_EEDaSV_SW_EUlSV_E_NS1_11comp_targetILNS1_3genE0ELNS1_11target_archE4294967295ELNS1_3gpuE0ELNS1_3repE0EEENS1_30default_config_static_selectorELNS0_4arch9wavefront6targetE0EEEvT1_.has_indirect_call, 0
	.section	.AMDGPU.csdata,"",@progbits
; Kernel info:
; codeLenInByte = 12232
; TotalNumSgprs: 46
; NumVgprs: 60
; ScratchSize: 0
; MemoryBound: 0
; FloatMode: 240
; IeeeMode: 1
; LDSByteSize: 14336 bytes/workgroup (compile time only)
; SGPRBlocks: 0
; VGPRBlocks: 3
; NumSGPRsForWavesPerEU: 46
; NumVGPRsForWavesPerEU: 60
; NamedBarCnt: 0
; Occupancy: 16
; WaveLimiterHint : 1
; COMPUTE_PGM_RSRC2:SCRATCH_EN: 0
; COMPUTE_PGM_RSRC2:USER_SGPR: 2
; COMPUTE_PGM_RSRC2:TRAP_HANDLER: 0
; COMPUTE_PGM_RSRC2:TGID_X_EN: 1
; COMPUTE_PGM_RSRC2:TGID_Y_EN: 0
; COMPUTE_PGM_RSRC2:TGID_Z_EN: 0
; COMPUTE_PGM_RSRC2:TIDIG_COMP_CNT: 0
	.section	.text._ZN7rocprim17ROCPRIM_400000_NS6detail17trampoline_kernelINS0_14default_configENS1_27scan_by_key_config_selectorIiiEEZZNS1_16scan_by_key_implILNS1_25lookback_scan_determinismE0ELb0ES3_N6thrust23THRUST_200600_302600_NS16reverse_iteratorIPKiEESD_NSA_IPiEEiN6hipcub16HIPCUB_304000_NS3MaxENSH_8EqualityEiEE10hipError_tPvRmT2_T3_T4_T5_mT6_T7_P12ihipStream_tbENKUlT_T0_E_clISt17integral_constantIbLb0EES10_EEDaSV_SW_EUlSV_E_NS1_11comp_targetILNS1_3genE10ELNS1_11target_archE1201ELNS1_3gpuE5ELNS1_3repE0EEENS1_30default_config_static_selectorELNS0_4arch9wavefront6targetE0EEEvT1_,"axG",@progbits,_ZN7rocprim17ROCPRIM_400000_NS6detail17trampoline_kernelINS0_14default_configENS1_27scan_by_key_config_selectorIiiEEZZNS1_16scan_by_key_implILNS1_25lookback_scan_determinismE0ELb0ES3_N6thrust23THRUST_200600_302600_NS16reverse_iteratorIPKiEESD_NSA_IPiEEiN6hipcub16HIPCUB_304000_NS3MaxENSH_8EqualityEiEE10hipError_tPvRmT2_T3_T4_T5_mT6_T7_P12ihipStream_tbENKUlT_T0_E_clISt17integral_constantIbLb0EES10_EEDaSV_SW_EUlSV_E_NS1_11comp_targetILNS1_3genE10ELNS1_11target_archE1201ELNS1_3gpuE5ELNS1_3repE0EEENS1_30default_config_static_selectorELNS0_4arch9wavefront6targetE0EEEvT1_,comdat
	.protected	_ZN7rocprim17ROCPRIM_400000_NS6detail17trampoline_kernelINS0_14default_configENS1_27scan_by_key_config_selectorIiiEEZZNS1_16scan_by_key_implILNS1_25lookback_scan_determinismE0ELb0ES3_N6thrust23THRUST_200600_302600_NS16reverse_iteratorIPKiEESD_NSA_IPiEEiN6hipcub16HIPCUB_304000_NS3MaxENSH_8EqualityEiEE10hipError_tPvRmT2_T3_T4_T5_mT6_T7_P12ihipStream_tbENKUlT_T0_E_clISt17integral_constantIbLb0EES10_EEDaSV_SW_EUlSV_E_NS1_11comp_targetILNS1_3genE10ELNS1_11target_archE1201ELNS1_3gpuE5ELNS1_3repE0EEENS1_30default_config_static_selectorELNS0_4arch9wavefront6targetE0EEEvT1_ ; -- Begin function _ZN7rocprim17ROCPRIM_400000_NS6detail17trampoline_kernelINS0_14default_configENS1_27scan_by_key_config_selectorIiiEEZZNS1_16scan_by_key_implILNS1_25lookback_scan_determinismE0ELb0ES3_N6thrust23THRUST_200600_302600_NS16reverse_iteratorIPKiEESD_NSA_IPiEEiN6hipcub16HIPCUB_304000_NS3MaxENSH_8EqualityEiEE10hipError_tPvRmT2_T3_T4_T5_mT6_T7_P12ihipStream_tbENKUlT_T0_E_clISt17integral_constantIbLb0EES10_EEDaSV_SW_EUlSV_E_NS1_11comp_targetILNS1_3genE10ELNS1_11target_archE1201ELNS1_3gpuE5ELNS1_3repE0EEENS1_30default_config_static_selectorELNS0_4arch9wavefront6targetE0EEEvT1_
	.globl	_ZN7rocprim17ROCPRIM_400000_NS6detail17trampoline_kernelINS0_14default_configENS1_27scan_by_key_config_selectorIiiEEZZNS1_16scan_by_key_implILNS1_25lookback_scan_determinismE0ELb0ES3_N6thrust23THRUST_200600_302600_NS16reverse_iteratorIPKiEESD_NSA_IPiEEiN6hipcub16HIPCUB_304000_NS3MaxENSH_8EqualityEiEE10hipError_tPvRmT2_T3_T4_T5_mT6_T7_P12ihipStream_tbENKUlT_T0_E_clISt17integral_constantIbLb0EES10_EEDaSV_SW_EUlSV_E_NS1_11comp_targetILNS1_3genE10ELNS1_11target_archE1201ELNS1_3gpuE5ELNS1_3repE0EEENS1_30default_config_static_selectorELNS0_4arch9wavefront6targetE0EEEvT1_
	.p2align	8
	.type	_ZN7rocprim17ROCPRIM_400000_NS6detail17trampoline_kernelINS0_14default_configENS1_27scan_by_key_config_selectorIiiEEZZNS1_16scan_by_key_implILNS1_25lookback_scan_determinismE0ELb0ES3_N6thrust23THRUST_200600_302600_NS16reverse_iteratorIPKiEESD_NSA_IPiEEiN6hipcub16HIPCUB_304000_NS3MaxENSH_8EqualityEiEE10hipError_tPvRmT2_T3_T4_T5_mT6_T7_P12ihipStream_tbENKUlT_T0_E_clISt17integral_constantIbLb0EES10_EEDaSV_SW_EUlSV_E_NS1_11comp_targetILNS1_3genE10ELNS1_11target_archE1201ELNS1_3gpuE5ELNS1_3repE0EEENS1_30default_config_static_selectorELNS0_4arch9wavefront6targetE0EEEvT1_,@function
_ZN7rocprim17ROCPRIM_400000_NS6detail17trampoline_kernelINS0_14default_configENS1_27scan_by_key_config_selectorIiiEEZZNS1_16scan_by_key_implILNS1_25lookback_scan_determinismE0ELb0ES3_N6thrust23THRUST_200600_302600_NS16reverse_iteratorIPKiEESD_NSA_IPiEEiN6hipcub16HIPCUB_304000_NS3MaxENSH_8EqualityEiEE10hipError_tPvRmT2_T3_T4_T5_mT6_T7_P12ihipStream_tbENKUlT_T0_E_clISt17integral_constantIbLb0EES10_EEDaSV_SW_EUlSV_E_NS1_11comp_targetILNS1_3genE10ELNS1_11target_archE1201ELNS1_3gpuE5ELNS1_3repE0EEENS1_30default_config_static_selectorELNS0_4arch9wavefront6targetE0EEEvT1_: ; @_ZN7rocprim17ROCPRIM_400000_NS6detail17trampoline_kernelINS0_14default_configENS1_27scan_by_key_config_selectorIiiEEZZNS1_16scan_by_key_implILNS1_25lookback_scan_determinismE0ELb0ES3_N6thrust23THRUST_200600_302600_NS16reverse_iteratorIPKiEESD_NSA_IPiEEiN6hipcub16HIPCUB_304000_NS3MaxENSH_8EqualityEiEE10hipError_tPvRmT2_T3_T4_T5_mT6_T7_P12ihipStream_tbENKUlT_T0_E_clISt17integral_constantIbLb0EES10_EEDaSV_SW_EUlSV_E_NS1_11comp_targetILNS1_3genE10ELNS1_11target_archE1201ELNS1_3gpuE5ELNS1_3repE0EEENS1_30default_config_static_selectorELNS0_4arch9wavefront6targetE0EEEvT1_
; %bb.0:
	.section	.rodata,"a",@progbits
	.p2align	6, 0x0
	.amdhsa_kernel _ZN7rocprim17ROCPRIM_400000_NS6detail17trampoline_kernelINS0_14default_configENS1_27scan_by_key_config_selectorIiiEEZZNS1_16scan_by_key_implILNS1_25lookback_scan_determinismE0ELb0ES3_N6thrust23THRUST_200600_302600_NS16reverse_iteratorIPKiEESD_NSA_IPiEEiN6hipcub16HIPCUB_304000_NS3MaxENSH_8EqualityEiEE10hipError_tPvRmT2_T3_T4_T5_mT6_T7_P12ihipStream_tbENKUlT_T0_E_clISt17integral_constantIbLb0EES10_EEDaSV_SW_EUlSV_E_NS1_11comp_targetILNS1_3genE10ELNS1_11target_archE1201ELNS1_3gpuE5ELNS1_3repE0EEENS1_30default_config_static_selectorELNS0_4arch9wavefront6targetE0EEEvT1_
		.amdhsa_group_segment_fixed_size 0
		.amdhsa_private_segment_fixed_size 0
		.amdhsa_kernarg_size 112
		.amdhsa_user_sgpr_count 2
		.amdhsa_user_sgpr_dispatch_ptr 0
		.amdhsa_user_sgpr_queue_ptr 0
		.amdhsa_user_sgpr_kernarg_segment_ptr 1
		.amdhsa_user_sgpr_dispatch_id 0
		.amdhsa_user_sgpr_kernarg_preload_length 0
		.amdhsa_user_sgpr_kernarg_preload_offset 0
		.amdhsa_user_sgpr_private_segment_size 0
		.amdhsa_wavefront_size32 1
		.amdhsa_uses_dynamic_stack 0
		.amdhsa_enable_private_segment 0
		.amdhsa_system_sgpr_workgroup_id_x 1
		.amdhsa_system_sgpr_workgroup_id_y 0
		.amdhsa_system_sgpr_workgroup_id_z 0
		.amdhsa_system_sgpr_workgroup_info 0
		.amdhsa_system_vgpr_workitem_id 0
		.amdhsa_next_free_vgpr 1
		.amdhsa_next_free_sgpr 1
		.amdhsa_named_barrier_count 0
		.amdhsa_reserve_vcc 0
		.amdhsa_float_round_mode_32 0
		.amdhsa_float_round_mode_16_64 0
		.amdhsa_float_denorm_mode_32 3
		.amdhsa_float_denorm_mode_16_64 3
		.amdhsa_fp16_overflow 0
		.amdhsa_memory_ordered 1
		.amdhsa_forward_progress 1
		.amdhsa_inst_pref_size 0
		.amdhsa_round_robin_scheduling 0
		.amdhsa_exception_fp_ieee_invalid_op 0
		.amdhsa_exception_fp_denorm_src 0
		.amdhsa_exception_fp_ieee_div_zero 0
		.amdhsa_exception_fp_ieee_overflow 0
		.amdhsa_exception_fp_ieee_underflow 0
		.amdhsa_exception_fp_ieee_inexact 0
		.amdhsa_exception_int_div_zero 0
	.end_amdhsa_kernel
	.section	.text._ZN7rocprim17ROCPRIM_400000_NS6detail17trampoline_kernelINS0_14default_configENS1_27scan_by_key_config_selectorIiiEEZZNS1_16scan_by_key_implILNS1_25lookback_scan_determinismE0ELb0ES3_N6thrust23THRUST_200600_302600_NS16reverse_iteratorIPKiEESD_NSA_IPiEEiN6hipcub16HIPCUB_304000_NS3MaxENSH_8EqualityEiEE10hipError_tPvRmT2_T3_T4_T5_mT6_T7_P12ihipStream_tbENKUlT_T0_E_clISt17integral_constantIbLb0EES10_EEDaSV_SW_EUlSV_E_NS1_11comp_targetILNS1_3genE10ELNS1_11target_archE1201ELNS1_3gpuE5ELNS1_3repE0EEENS1_30default_config_static_selectorELNS0_4arch9wavefront6targetE0EEEvT1_,"axG",@progbits,_ZN7rocprim17ROCPRIM_400000_NS6detail17trampoline_kernelINS0_14default_configENS1_27scan_by_key_config_selectorIiiEEZZNS1_16scan_by_key_implILNS1_25lookback_scan_determinismE0ELb0ES3_N6thrust23THRUST_200600_302600_NS16reverse_iteratorIPKiEESD_NSA_IPiEEiN6hipcub16HIPCUB_304000_NS3MaxENSH_8EqualityEiEE10hipError_tPvRmT2_T3_T4_T5_mT6_T7_P12ihipStream_tbENKUlT_T0_E_clISt17integral_constantIbLb0EES10_EEDaSV_SW_EUlSV_E_NS1_11comp_targetILNS1_3genE10ELNS1_11target_archE1201ELNS1_3gpuE5ELNS1_3repE0EEENS1_30default_config_static_selectorELNS0_4arch9wavefront6targetE0EEEvT1_,comdat
.Lfunc_end54:
	.size	_ZN7rocprim17ROCPRIM_400000_NS6detail17trampoline_kernelINS0_14default_configENS1_27scan_by_key_config_selectorIiiEEZZNS1_16scan_by_key_implILNS1_25lookback_scan_determinismE0ELb0ES3_N6thrust23THRUST_200600_302600_NS16reverse_iteratorIPKiEESD_NSA_IPiEEiN6hipcub16HIPCUB_304000_NS3MaxENSH_8EqualityEiEE10hipError_tPvRmT2_T3_T4_T5_mT6_T7_P12ihipStream_tbENKUlT_T0_E_clISt17integral_constantIbLb0EES10_EEDaSV_SW_EUlSV_E_NS1_11comp_targetILNS1_3genE10ELNS1_11target_archE1201ELNS1_3gpuE5ELNS1_3repE0EEENS1_30default_config_static_selectorELNS0_4arch9wavefront6targetE0EEEvT1_, .Lfunc_end54-_ZN7rocprim17ROCPRIM_400000_NS6detail17trampoline_kernelINS0_14default_configENS1_27scan_by_key_config_selectorIiiEEZZNS1_16scan_by_key_implILNS1_25lookback_scan_determinismE0ELb0ES3_N6thrust23THRUST_200600_302600_NS16reverse_iteratorIPKiEESD_NSA_IPiEEiN6hipcub16HIPCUB_304000_NS3MaxENSH_8EqualityEiEE10hipError_tPvRmT2_T3_T4_T5_mT6_T7_P12ihipStream_tbENKUlT_T0_E_clISt17integral_constantIbLb0EES10_EEDaSV_SW_EUlSV_E_NS1_11comp_targetILNS1_3genE10ELNS1_11target_archE1201ELNS1_3gpuE5ELNS1_3repE0EEENS1_30default_config_static_selectorELNS0_4arch9wavefront6targetE0EEEvT1_
                                        ; -- End function
	.set _ZN7rocprim17ROCPRIM_400000_NS6detail17trampoline_kernelINS0_14default_configENS1_27scan_by_key_config_selectorIiiEEZZNS1_16scan_by_key_implILNS1_25lookback_scan_determinismE0ELb0ES3_N6thrust23THRUST_200600_302600_NS16reverse_iteratorIPKiEESD_NSA_IPiEEiN6hipcub16HIPCUB_304000_NS3MaxENSH_8EqualityEiEE10hipError_tPvRmT2_T3_T4_T5_mT6_T7_P12ihipStream_tbENKUlT_T0_E_clISt17integral_constantIbLb0EES10_EEDaSV_SW_EUlSV_E_NS1_11comp_targetILNS1_3genE10ELNS1_11target_archE1201ELNS1_3gpuE5ELNS1_3repE0EEENS1_30default_config_static_selectorELNS0_4arch9wavefront6targetE0EEEvT1_.num_vgpr, 0
	.set _ZN7rocprim17ROCPRIM_400000_NS6detail17trampoline_kernelINS0_14default_configENS1_27scan_by_key_config_selectorIiiEEZZNS1_16scan_by_key_implILNS1_25lookback_scan_determinismE0ELb0ES3_N6thrust23THRUST_200600_302600_NS16reverse_iteratorIPKiEESD_NSA_IPiEEiN6hipcub16HIPCUB_304000_NS3MaxENSH_8EqualityEiEE10hipError_tPvRmT2_T3_T4_T5_mT6_T7_P12ihipStream_tbENKUlT_T0_E_clISt17integral_constantIbLb0EES10_EEDaSV_SW_EUlSV_E_NS1_11comp_targetILNS1_3genE10ELNS1_11target_archE1201ELNS1_3gpuE5ELNS1_3repE0EEENS1_30default_config_static_selectorELNS0_4arch9wavefront6targetE0EEEvT1_.num_agpr, 0
	.set _ZN7rocprim17ROCPRIM_400000_NS6detail17trampoline_kernelINS0_14default_configENS1_27scan_by_key_config_selectorIiiEEZZNS1_16scan_by_key_implILNS1_25lookback_scan_determinismE0ELb0ES3_N6thrust23THRUST_200600_302600_NS16reverse_iteratorIPKiEESD_NSA_IPiEEiN6hipcub16HIPCUB_304000_NS3MaxENSH_8EqualityEiEE10hipError_tPvRmT2_T3_T4_T5_mT6_T7_P12ihipStream_tbENKUlT_T0_E_clISt17integral_constantIbLb0EES10_EEDaSV_SW_EUlSV_E_NS1_11comp_targetILNS1_3genE10ELNS1_11target_archE1201ELNS1_3gpuE5ELNS1_3repE0EEENS1_30default_config_static_selectorELNS0_4arch9wavefront6targetE0EEEvT1_.numbered_sgpr, 0
	.set _ZN7rocprim17ROCPRIM_400000_NS6detail17trampoline_kernelINS0_14default_configENS1_27scan_by_key_config_selectorIiiEEZZNS1_16scan_by_key_implILNS1_25lookback_scan_determinismE0ELb0ES3_N6thrust23THRUST_200600_302600_NS16reverse_iteratorIPKiEESD_NSA_IPiEEiN6hipcub16HIPCUB_304000_NS3MaxENSH_8EqualityEiEE10hipError_tPvRmT2_T3_T4_T5_mT6_T7_P12ihipStream_tbENKUlT_T0_E_clISt17integral_constantIbLb0EES10_EEDaSV_SW_EUlSV_E_NS1_11comp_targetILNS1_3genE10ELNS1_11target_archE1201ELNS1_3gpuE5ELNS1_3repE0EEENS1_30default_config_static_selectorELNS0_4arch9wavefront6targetE0EEEvT1_.num_named_barrier, 0
	.set _ZN7rocprim17ROCPRIM_400000_NS6detail17trampoline_kernelINS0_14default_configENS1_27scan_by_key_config_selectorIiiEEZZNS1_16scan_by_key_implILNS1_25lookback_scan_determinismE0ELb0ES3_N6thrust23THRUST_200600_302600_NS16reverse_iteratorIPKiEESD_NSA_IPiEEiN6hipcub16HIPCUB_304000_NS3MaxENSH_8EqualityEiEE10hipError_tPvRmT2_T3_T4_T5_mT6_T7_P12ihipStream_tbENKUlT_T0_E_clISt17integral_constantIbLb0EES10_EEDaSV_SW_EUlSV_E_NS1_11comp_targetILNS1_3genE10ELNS1_11target_archE1201ELNS1_3gpuE5ELNS1_3repE0EEENS1_30default_config_static_selectorELNS0_4arch9wavefront6targetE0EEEvT1_.private_seg_size, 0
	.set _ZN7rocprim17ROCPRIM_400000_NS6detail17trampoline_kernelINS0_14default_configENS1_27scan_by_key_config_selectorIiiEEZZNS1_16scan_by_key_implILNS1_25lookback_scan_determinismE0ELb0ES3_N6thrust23THRUST_200600_302600_NS16reverse_iteratorIPKiEESD_NSA_IPiEEiN6hipcub16HIPCUB_304000_NS3MaxENSH_8EqualityEiEE10hipError_tPvRmT2_T3_T4_T5_mT6_T7_P12ihipStream_tbENKUlT_T0_E_clISt17integral_constantIbLb0EES10_EEDaSV_SW_EUlSV_E_NS1_11comp_targetILNS1_3genE10ELNS1_11target_archE1201ELNS1_3gpuE5ELNS1_3repE0EEENS1_30default_config_static_selectorELNS0_4arch9wavefront6targetE0EEEvT1_.uses_vcc, 0
	.set _ZN7rocprim17ROCPRIM_400000_NS6detail17trampoline_kernelINS0_14default_configENS1_27scan_by_key_config_selectorIiiEEZZNS1_16scan_by_key_implILNS1_25lookback_scan_determinismE0ELb0ES3_N6thrust23THRUST_200600_302600_NS16reverse_iteratorIPKiEESD_NSA_IPiEEiN6hipcub16HIPCUB_304000_NS3MaxENSH_8EqualityEiEE10hipError_tPvRmT2_T3_T4_T5_mT6_T7_P12ihipStream_tbENKUlT_T0_E_clISt17integral_constantIbLb0EES10_EEDaSV_SW_EUlSV_E_NS1_11comp_targetILNS1_3genE10ELNS1_11target_archE1201ELNS1_3gpuE5ELNS1_3repE0EEENS1_30default_config_static_selectorELNS0_4arch9wavefront6targetE0EEEvT1_.uses_flat_scratch, 0
	.set _ZN7rocprim17ROCPRIM_400000_NS6detail17trampoline_kernelINS0_14default_configENS1_27scan_by_key_config_selectorIiiEEZZNS1_16scan_by_key_implILNS1_25lookback_scan_determinismE0ELb0ES3_N6thrust23THRUST_200600_302600_NS16reverse_iteratorIPKiEESD_NSA_IPiEEiN6hipcub16HIPCUB_304000_NS3MaxENSH_8EqualityEiEE10hipError_tPvRmT2_T3_T4_T5_mT6_T7_P12ihipStream_tbENKUlT_T0_E_clISt17integral_constantIbLb0EES10_EEDaSV_SW_EUlSV_E_NS1_11comp_targetILNS1_3genE10ELNS1_11target_archE1201ELNS1_3gpuE5ELNS1_3repE0EEENS1_30default_config_static_selectorELNS0_4arch9wavefront6targetE0EEEvT1_.has_dyn_sized_stack, 0
	.set _ZN7rocprim17ROCPRIM_400000_NS6detail17trampoline_kernelINS0_14default_configENS1_27scan_by_key_config_selectorIiiEEZZNS1_16scan_by_key_implILNS1_25lookback_scan_determinismE0ELb0ES3_N6thrust23THRUST_200600_302600_NS16reverse_iteratorIPKiEESD_NSA_IPiEEiN6hipcub16HIPCUB_304000_NS3MaxENSH_8EqualityEiEE10hipError_tPvRmT2_T3_T4_T5_mT6_T7_P12ihipStream_tbENKUlT_T0_E_clISt17integral_constantIbLb0EES10_EEDaSV_SW_EUlSV_E_NS1_11comp_targetILNS1_3genE10ELNS1_11target_archE1201ELNS1_3gpuE5ELNS1_3repE0EEENS1_30default_config_static_selectorELNS0_4arch9wavefront6targetE0EEEvT1_.has_recursion, 0
	.set _ZN7rocprim17ROCPRIM_400000_NS6detail17trampoline_kernelINS0_14default_configENS1_27scan_by_key_config_selectorIiiEEZZNS1_16scan_by_key_implILNS1_25lookback_scan_determinismE0ELb0ES3_N6thrust23THRUST_200600_302600_NS16reverse_iteratorIPKiEESD_NSA_IPiEEiN6hipcub16HIPCUB_304000_NS3MaxENSH_8EqualityEiEE10hipError_tPvRmT2_T3_T4_T5_mT6_T7_P12ihipStream_tbENKUlT_T0_E_clISt17integral_constantIbLb0EES10_EEDaSV_SW_EUlSV_E_NS1_11comp_targetILNS1_3genE10ELNS1_11target_archE1201ELNS1_3gpuE5ELNS1_3repE0EEENS1_30default_config_static_selectorELNS0_4arch9wavefront6targetE0EEEvT1_.has_indirect_call, 0
	.section	.AMDGPU.csdata,"",@progbits
; Kernel info:
; codeLenInByte = 0
; TotalNumSgprs: 0
; NumVgprs: 0
; ScratchSize: 0
; MemoryBound: 0
; FloatMode: 240
; IeeeMode: 1
; LDSByteSize: 0 bytes/workgroup (compile time only)
; SGPRBlocks: 0
; VGPRBlocks: 0
; NumSGPRsForWavesPerEU: 1
; NumVGPRsForWavesPerEU: 1
; NamedBarCnt: 0
; Occupancy: 16
; WaveLimiterHint : 0
; COMPUTE_PGM_RSRC2:SCRATCH_EN: 0
; COMPUTE_PGM_RSRC2:USER_SGPR: 2
; COMPUTE_PGM_RSRC2:TRAP_HANDLER: 0
; COMPUTE_PGM_RSRC2:TGID_X_EN: 1
; COMPUTE_PGM_RSRC2:TGID_Y_EN: 0
; COMPUTE_PGM_RSRC2:TGID_Z_EN: 0
; COMPUTE_PGM_RSRC2:TIDIG_COMP_CNT: 0
	.section	.text._ZN7rocprim17ROCPRIM_400000_NS6detail17trampoline_kernelINS0_14default_configENS1_27scan_by_key_config_selectorIiiEEZZNS1_16scan_by_key_implILNS1_25lookback_scan_determinismE0ELb0ES3_N6thrust23THRUST_200600_302600_NS16reverse_iteratorIPKiEESD_NSA_IPiEEiN6hipcub16HIPCUB_304000_NS3MaxENSH_8EqualityEiEE10hipError_tPvRmT2_T3_T4_T5_mT6_T7_P12ihipStream_tbENKUlT_T0_E_clISt17integral_constantIbLb0EES10_EEDaSV_SW_EUlSV_E_NS1_11comp_targetILNS1_3genE5ELNS1_11target_archE942ELNS1_3gpuE9ELNS1_3repE0EEENS1_30default_config_static_selectorELNS0_4arch9wavefront6targetE0EEEvT1_,"axG",@progbits,_ZN7rocprim17ROCPRIM_400000_NS6detail17trampoline_kernelINS0_14default_configENS1_27scan_by_key_config_selectorIiiEEZZNS1_16scan_by_key_implILNS1_25lookback_scan_determinismE0ELb0ES3_N6thrust23THRUST_200600_302600_NS16reverse_iteratorIPKiEESD_NSA_IPiEEiN6hipcub16HIPCUB_304000_NS3MaxENSH_8EqualityEiEE10hipError_tPvRmT2_T3_T4_T5_mT6_T7_P12ihipStream_tbENKUlT_T0_E_clISt17integral_constantIbLb0EES10_EEDaSV_SW_EUlSV_E_NS1_11comp_targetILNS1_3genE5ELNS1_11target_archE942ELNS1_3gpuE9ELNS1_3repE0EEENS1_30default_config_static_selectorELNS0_4arch9wavefront6targetE0EEEvT1_,comdat
	.protected	_ZN7rocprim17ROCPRIM_400000_NS6detail17trampoline_kernelINS0_14default_configENS1_27scan_by_key_config_selectorIiiEEZZNS1_16scan_by_key_implILNS1_25lookback_scan_determinismE0ELb0ES3_N6thrust23THRUST_200600_302600_NS16reverse_iteratorIPKiEESD_NSA_IPiEEiN6hipcub16HIPCUB_304000_NS3MaxENSH_8EqualityEiEE10hipError_tPvRmT2_T3_T4_T5_mT6_T7_P12ihipStream_tbENKUlT_T0_E_clISt17integral_constantIbLb0EES10_EEDaSV_SW_EUlSV_E_NS1_11comp_targetILNS1_3genE5ELNS1_11target_archE942ELNS1_3gpuE9ELNS1_3repE0EEENS1_30default_config_static_selectorELNS0_4arch9wavefront6targetE0EEEvT1_ ; -- Begin function _ZN7rocprim17ROCPRIM_400000_NS6detail17trampoline_kernelINS0_14default_configENS1_27scan_by_key_config_selectorIiiEEZZNS1_16scan_by_key_implILNS1_25lookback_scan_determinismE0ELb0ES3_N6thrust23THRUST_200600_302600_NS16reverse_iteratorIPKiEESD_NSA_IPiEEiN6hipcub16HIPCUB_304000_NS3MaxENSH_8EqualityEiEE10hipError_tPvRmT2_T3_T4_T5_mT6_T7_P12ihipStream_tbENKUlT_T0_E_clISt17integral_constantIbLb0EES10_EEDaSV_SW_EUlSV_E_NS1_11comp_targetILNS1_3genE5ELNS1_11target_archE942ELNS1_3gpuE9ELNS1_3repE0EEENS1_30default_config_static_selectorELNS0_4arch9wavefront6targetE0EEEvT1_
	.globl	_ZN7rocprim17ROCPRIM_400000_NS6detail17trampoline_kernelINS0_14default_configENS1_27scan_by_key_config_selectorIiiEEZZNS1_16scan_by_key_implILNS1_25lookback_scan_determinismE0ELb0ES3_N6thrust23THRUST_200600_302600_NS16reverse_iteratorIPKiEESD_NSA_IPiEEiN6hipcub16HIPCUB_304000_NS3MaxENSH_8EqualityEiEE10hipError_tPvRmT2_T3_T4_T5_mT6_T7_P12ihipStream_tbENKUlT_T0_E_clISt17integral_constantIbLb0EES10_EEDaSV_SW_EUlSV_E_NS1_11comp_targetILNS1_3genE5ELNS1_11target_archE942ELNS1_3gpuE9ELNS1_3repE0EEENS1_30default_config_static_selectorELNS0_4arch9wavefront6targetE0EEEvT1_
	.p2align	8
	.type	_ZN7rocprim17ROCPRIM_400000_NS6detail17trampoline_kernelINS0_14default_configENS1_27scan_by_key_config_selectorIiiEEZZNS1_16scan_by_key_implILNS1_25lookback_scan_determinismE0ELb0ES3_N6thrust23THRUST_200600_302600_NS16reverse_iteratorIPKiEESD_NSA_IPiEEiN6hipcub16HIPCUB_304000_NS3MaxENSH_8EqualityEiEE10hipError_tPvRmT2_T3_T4_T5_mT6_T7_P12ihipStream_tbENKUlT_T0_E_clISt17integral_constantIbLb0EES10_EEDaSV_SW_EUlSV_E_NS1_11comp_targetILNS1_3genE5ELNS1_11target_archE942ELNS1_3gpuE9ELNS1_3repE0EEENS1_30default_config_static_selectorELNS0_4arch9wavefront6targetE0EEEvT1_,@function
_ZN7rocprim17ROCPRIM_400000_NS6detail17trampoline_kernelINS0_14default_configENS1_27scan_by_key_config_selectorIiiEEZZNS1_16scan_by_key_implILNS1_25lookback_scan_determinismE0ELb0ES3_N6thrust23THRUST_200600_302600_NS16reverse_iteratorIPKiEESD_NSA_IPiEEiN6hipcub16HIPCUB_304000_NS3MaxENSH_8EqualityEiEE10hipError_tPvRmT2_T3_T4_T5_mT6_T7_P12ihipStream_tbENKUlT_T0_E_clISt17integral_constantIbLb0EES10_EEDaSV_SW_EUlSV_E_NS1_11comp_targetILNS1_3genE5ELNS1_11target_archE942ELNS1_3gpuE9ELNS1_3repE0EEENS1_30default_config_static_selectorELNS0_4arch9wavefront6targetE0EEEvT1_: ; @_ZN7rocprim17ROCPRIM_400000_NS6detail17trampoline_kernelINS0_14default_configENS1_27scan_by_key_config_selectorIiiEEZZNS1_16scan_by_key_implILNS1_25lookback_scan_determinismE0ELb0ES3_N6thrust23THRUST_200600_302600_NS16reverse_iteratorIPKiEESD_NSA_IPiEEiN6hipcub16HIPCUB_304000_NS3MaxENSH_8EqualityEiEE10hipError_tPvRmT2_T3_T4_T5_mT6_T7_P12ihipStream_tbENKUlT_T0_E_clISt17integral_constantIbLb0EES10_EEDaSV_SW_EUlSV_E_NS1_11comp_targetILNS1_3genE5ELNS1_11target_archE942ELNS1_3gpuE9ELNS1_3repE0EEENS1_30default_config_static_selectorELNS0_4arch9wavefront6targetE0EEEvT1_
; %bb.0:
	.section	.rodata,"a",@progbits
	.p2align	6, 0x0
	.amdhsa_kernel _ZN7rocprim17ROCPRIM_400000_NS6detail17trampoline_kernelINS0_14default_configENS1_27scan_by_key_config_selectorIiiEEZZNS1_16scan_by_key_implILNS1_25lookback_scan_determinismE0ELb0ES3_N6thrust23THRUST_200600_302600_NS16reverse_iteratorIPKiEESD_NSA_IPiEEiN6hipcub16HIPCUB_304000_NS3MaxENSH_8EqualityEiEE10hipError_tPvRmT2_T3_T4_T5_mT6_T7_P12ihipStream_tbENKUlT_T0_E_clISt17integral_constantIbLb0EES10_EEDaSV_SW_EUlSV_E_NS1_11comp_targetILNS1_3genE5ELNS1_11target_archE942ELNS1_3gpuE9ELNS1_3repE0EEENS1_30default_config_static_selectorELNS0_4arch9wavefront6targetE0EEEvT1_
		.amdhsa_group_segment_fixed_size 0
		.amdhsa_private_segment_fixed_size 0
		.amdhsa_kernarg_size 112
		.amdhsa_user_sgpr_count 2
		.amdhsa_user_sgpr_dispatch_ptr 0
		.amdhsa_user_sgpr_queue_ptr 0
		.amdhsa_user_sgpr_kernarg_segment_ptr 1
		.amdhsa_user_sgpr_dispatch_id 0
		.amdhsa_user_sgpr_kernarg_preload_length 0
		.amdhsa_user_sgpr_kernarg_preload_offset 0
		.amdhsa_user_sgpr_private_segment_size 0
		.amdhsa_wavefront_size32 1
		.amdhsa_uses_dynamic_stack 0
		.amdhsa_enable_private_segment 0
		.amdhsa_system_sgpr_workgroup_id_x 1
		.amdhsa_system_sgpr_workgroup_id_y 0
		.amdhsa_system_sgpr_workgroup_id_z 0
		.amdhsa_system_sgpr_workgroup_info 0
		.amdhsa_system_vgpr_workitem_id 0
		.amdhsa_next_free_vgpr 1
		.amdhsa_next_free_sgpr 1
		.amdhsa_named_barrier_count 0
		.amdhsa_reserve_vcc 0
		.amdhsa_float_round_mode_32 0
		.amdhsa_float_round_mode_16_64 0
		.amdhsa_float_denorm_mode_32 3
		.amdhsa_float_denorm_mode_16_64 3
		.amdhsa_fp16_overflow 0
		.amdhsa_memory_ordered 1
		.amdhsa_forward_progress 1
		.amdhsa_inst_pref_size 0
		.amdhsa_round_robin_scheduling 0
		.amdhsa_exception_fp_ieee_invalid_op 0
		.amdhsa_exception_fp_denorm_src 0
		.amdhsa_exception_fp_ieee_div_zero 0
		.amdhsa_exception_fp_ieee_overflow 0
		.amdhsa_exception_fp_ieee_underflow 0
		.amdhsa_exception_fp_ieee_inexact 0
		.amdhsa_exception_int_div_zero 0
	.end_amdhsa_kernel
	.section	.text._ZN7rocprim17ROCPRIM_400000_NS6detail17trampoline_kernelINS0_14default_configENS1_27scan_by_key_config_selectorIiiEEZZNS1_16scan_by_key_implILNS1_25lookback_scan_determinismE0ELb0ES3_N6thrust23THRUST_200600_302600_NS16reverse_iteratorIPKiEESD_NSA_IPiEEiN6hipcub16HIPCUB_304000_NS3MaxENSH_8EqualityEiEE10hipError_tPvRmT2_T3_T4_T5_mT6_T7_P12ihipStream_tbENKUlT_T0_E_clISt17integral_constantIbLb0EES10_EEDaSV_SW_EUlSV_E_NS1_11comp_targetILNS1_3genE5ELNS1_11target_archE942ELNS1_3gpuE9ELNS1_3repE0EEENS1_30default_config_static_selectorELNS0_4arch9wavefront6targetE0EEEvT1_,"axG",@progbits,_ZN7rocprim17ROCPRIM_400000_NS6detail17trampoline_kernelINS0_14default_configENS1_27scan_by_key_config_selectorIiiEEZZNS1_16scan_by_key_implILNS1_25lookback_scan_determinismE0ELb0ES3_N6thrust23THRUST_200600_302600_NS16reverse_iteratorIPKiEESD_NSA_IPiEEiN6hipcub16HIPCUB_304000_NS3MaxENSH_8EqualityEiEE10hipError_tPvRmT2_T3_T4_T5_mT6_T7_P12ihipStream_tbENKUlT_T0_E_clISt17integral_constantIbLb0EES10_EEDaSV_SW_EUlSV_E_NS1_11comp_targetILNS1_3genE5ELNS1_11target_archE942ELNS1_3gpuE9ELNS1_3repE0EEENS1_30default_config_static_selectorELNS0_4arch9wavefront6targetE0EEEvT1_,comdat
.Lfunc_end55:
	.size	_ZN7rocprim17ROCPRIM_400000_NS6detail17trampoline_kernelINS0_14default_configENS1_27scan_by_key_config_selectorIiiEEZZNS1_16scan_by_key_implILNS1_25lookback_scan_determinismE0ELb0ES3_N6thrust23THRUST_200600_302600_NS16reverse_iteratorIPKiEESD_NSA_IPiEEiN6hipcub16HIPCUB_304000_NS3MaxENSH_8EqualityEiEE10hipError_tPvRmT2_T3_T4_T5_mT6_T7_P12ihipStream_tbENKUlT_T0_E_clISt17integral_constantIbLb0EES10_EEDaSV_SW_EUlSV_E_NS1_11comp_targetILNS1_3genE5ELNS1_11target_archE942ELNS1_3gpuE9ELNS1_3repE0EEENS1_30default_config_static_selectorELNS0_4arch9wavefront6targetE0EEEvT1_, .Lfunc_end55-_ZN7rocprim17ROCPRIM_400000_NS6detail17trampoline_kernelINS0_14default_configENS1_27scan_by_key_config_selectorIiiEEZZNS1_16scan_by_key_implILNS1_25lookback_scan_determinismE0ELb0ES3_N6thrust23THRUST_200600_302600_NS16reverse_iteratorIPKiEESD_NSA_IPiEEiN6hipcub16HIPCUB_304000_NS3MaxENSH_8EqualityEiEE10hipError_tPvRmT2_T3_T4_T5_mT6_T7_P12ihipStream_tbENKUlT_T0_E_clISt17integral_constantIbLb0EES10_EEDaSV_SW_EUlSV_E_NS1_11comp_targetILNS1_3genE5ELNS1_11target_archE942ELNS1_3gpuE9ELNS1_3repE0EEENS1_30default_config_static_selectorELNS0_4arch9wavefront6targetE0EEEvT1_
                                        ; -- End function
	.set _ZN7rocprim17ROCPRIM_400000_NS6detail17trampoline_kernelINS0_14default_configENS1_27scan_by_key_config_selectorIiiEEZZNS1_16scan_by_key_implILNS1_25lookback_scan_determinismE0ELb0ES3_N6thrust23THRUST_200600_302600_NS16reverse_iteratorIPKiEESD_NSA_IPiEEiN6hipcub16HIPCUB_304000_NS3MaxENSH_8EqualityEiEE10hipError_tPvRmT2_T3_T4_T5_mT6_T7_P12ihipStream_tbENKUlT_T0_E_clISt17integral_constantIbLb0EES10_EEDaSV_SW_EUlSV_E_NS1_11comp_targetILNS1_3genE5ELNS1_11target_archE942ELNS1_3gpuE9ELNS1_3repE0EEENS1_30default_config_static_selectorELNS0_4arch9wavefront6targetE0EEEvT1_.num_vgpr, 0
	.set _ZN7rocprim17ROCPRIM_400000_NS6detail17trampoline_kernelINS0_14default_configENS1_27scan_by_key_config_selectorIiiEEZZNS1_16scan_by_key_implILNS1_25lookback_scan_determinismE0ELb0ES3_N6thrust23THRUST_200600_302600_NS16reverse_iteratorIPKiEESD_NSA_IPiEEiN6hipcub16HIPCUB_304000_NS3MaxENSH_8EqualityEiEE10hipError_tPvRmT2_T3_T4_T5_mT6_T7_P12ihipStream_tbENKUlT_T0_E_clISt17integral_constantIbLb0EES10_EEDaSV_SW_EUlSV_E_NS1_11comp_targetILNS1_3genE5ELNS1_11target_archE942ELNS1_3gpuE9ELNS1_3repE0EEENS1_30default_config_static_selectorELNS0_4arch9wavefront6targetE0EEEvT1_.num_agpr, 0
	.set _ZN7rocprim17ROCPRIM_400000_NS6detail17trampoline_kernelINS0_14default_configENS1_27scan_by_key_config_selectorIiiEEZZNS1_16scan_by_key_implILNS1_25lookback_scan_determinismE0ELb0ES3_N6thrust23THRUST_200600_302600_NS16reverse_iteratorIPKiEESD_NSA_IPiEEiN6hipcub16HIPCUB_304000_NS3MaxENSH_8EqualityEiEE10hipError_tPvRmT2_T3_T4_T5_mT6_T7_P12ihipStream_tbENKUlT_T0_E_clISt17integral_constantIbLb0EES10_EEDaSV_SW_EUlSV_E_NS1_11comp_targetILNS1_3genE5ELNS1_11target_archE942ELNS1_3gpuE9ELNS1_3repE0EEENS1_30default_config_static_selectorELNS0_4arch9wavefront6targetE0EEEvT1_.numbered_sgpr, 0
	.set _ZN7rocprim17ROCPRIM_400000_NS6detail17trampoline_kernelINS0_14default_configENS1_27scan_by_key_config_selectorIiiEEZZNS1_16scan_by_key_implILNS1_25lookback_scan_determinismE0ELb0ES3_N6thrust23THRUST_200600_302600_NS16reverse_iteratorIPKiEESD_NSA_IPiEEiN6hipcub16HIPCUB_304000_NS3MaxENSH_8EqualityEiEE10hipError_tPvRmT2_T3_T4_T5_mT6_T7_P12ihipStream_tbENKUlT_T0_E_clISt17integral_constantIbLb0EES10_EEDaSV_SW_EUlSV_E_NS1_11comp_targetILNS1_3genE5ELNS1_11target_archE942ELNS1_3gpuE9ELNS1_3repE0EEENS1_30default_config_static_selectorELNS0_4arch9wavefront6targetE0EEEvT1_.num_named_barrier, 0
	.set _ZN7rocprim17ROCPRIM_400000_NS6detail17trampoline_kernelINS0_14default_configENS1_27scan_by_key_config_selectorIiiEEZZNS1_16scan_by_key_implILNS1_25lookback_scan_determinismE0ELb0ES3_N6thrust23THRUST_200600_302600_NS16reverse_iteratorIPKiEESD_NSA_IPiEEiN6hipcub16HIPCUB_304000_NS3MaxENSH_8EqualityEiEE10hipError_tPvRmT2_T3_T4_T5_mT6_T7_P12ihipStream_tbENKUlT_T0_E_clISt17integral_constantIbLb0EES10_EEDaSV_SW_EUlSV_E_NS1_11comp_targetILNS1_3genE5ELNS1_11target_archE942ELNS1_3gpuE9ELNS1_3repE0EEENS1_30default_config_static_selectorELNS0_4arch9wavefront6targetE0EEEvT1_.private_seg_size, 0
	.set _ZN7rocprim17ROCPRIM_400000_NS6detail17trampoline_kernelINS0_14default_configENS1_27scan_by_key_config_selectorIiiEEZZNS1_16scan_by_key_implILNS1_25lookback_scan_determinismE0ELb0ES3_N6thrust23THRUST_200600_302600_NS16reverse_iteratorIPKiEESD_NSA_IPiEEiN6hipcub16HIPCUB_304000_NS3MaxENSH_8EqualityEiEE10hipError_tPvRmT2_T3_T4_T5_mT6_T7_P12ihipStream_tbENKUlT_T0_E_clISt17integral_constantIbLb0EES10_EEDaSV_SW_EUlSV_E_NS1_11comp_targetILNS1_3genE5ELNS1_11target_archE942ELNS1_3gpuE9ELNS1_3repE0EEENS1_30default_config_static_selectorELNS0_4arch9wavefront6targetE0EEEvT1_.uses_vcc, 0
	.set _ZN7rocprim17ROCPRIM_400000_NS6detail17trampoline_kernelINS0_14default_configENS1_27scan_by_key_config_selectorIiiEEZZNS1_16scan_by_key_implILNS1_25lookback_scan_determinismE0ELb0ES3_N6thrust23THRUST_200600_302600_NS16reverse_iteratorIPKiEESD_NSA_IPiEEiN6hipcub16HIPCUB_304000_NS3MaxENSH_8EqualityEiEE10hipError_tPvRmT2_T3_T4_T5_mT6_T7_P12ihipStream_tbENKUlT_T0_E_clISt17integral_constantIbLb0EES10_EEDaSV_SW_EUlSV_E_NS1_11comp_targetILNS1_3genE5ELNS1_11target_archE942ELNS1_3gpuE9ELNS1_3repE0EEENS1_30default_config_static_selectorELNS0_4arch9wavefront6targetE0EEEvT1_.uses_flat_scratch, 0
	.set _ZN7rocprim17ROCPRIM_400000_NS6detail17trampoline_kernelINS0_14default_configENS1_27scan_by_key_config_selectorIiiEEZZNS1_16scan_by_key_implILNS1_25lookback_scan_determinismE0ELb0ES3_N6thrust23THRUST_200600_302600_NS16reverse_iteratorIPKiEESD_NSA_IPiEEiN6hipcub16HIPCUB_304000_NS3MaxENSH_8EqualityEiEE10hipError_tPvRmT2_T3_T4_T5_mT6_T7_P12ihipStream_tbENKUlT_T0_E_clISt17integral_constantIbLb0EES10_EEDaSV_SW_EUlSV_E_NS1_11comp_targetILNS1_3genE5ELNS1_11target_archE942ELNS1_3gpuE9ELNS1_3repE0EEENS1_30default_config_static_selectorELNS0_4arch9wavefront6targetE0EEEvT1_.has_dyn_sized_stack, 0
	.set _ZN7rocprim17ROCPRIM_400000_NS6detail17trampoline_kernelINS0_14default_configENS1_27scan_by_key_config_selectorIiiEEZZNS1_16scan_by_key_implILNS1_25lookback_scan_determinismE0ELb0ES3_N6thrust23THRUST_200600_302600_NS16reverse_iteratorIPKiEESD_NSA_IPiEEiN6hipcub16HIPCUB_304000_NS3MaxENSH_8EqualityEiEE10hipError_tPvRmT2_T3_T4_T5_mT6_T7_P12ihipStream_tbENKUlT_T0_E_clISt17integral_constantIbLb0EES10_EEDaSV_SW_EUlSV_E_NS1_11comp_targetILNS1_3genE5ELNS1_11target_archE942ELNS1_3gpuE9ELNS1_3repE0EEENS1_30default_config_static_selectorELNS0_4arch9wavefront6targetE0EEEvT1_.has_recursion, 0
	.set _ZN7rocprim17ROCPRIM_400000_NS6detail17trampoline_kernelINS0_14default_configENS1_27scan_by_key_config_selectorIiiEEZZNS1_16scan_by_key_implILNS1_25lookback_scan_determinismE0ELb0ES3_N6thrust23THRUST_200600_302600_NS16reverse_iteratorIPKiEESD_NSA_IPiEEiN6hipcub16HIPCUB_304000_NS3MaxENSH_8EqualityEiEE10hipError_tPvRmT2_T3_T4_T5_mT6_T7_P12ihipStream_tbENKUlT_T0_E_clISt17integral_constantIbLb0EES10_EEDaSV_SW_EUlSV_E_NS1_11comp_targetILNS1_3genE5ELNS1_11target_archE942ELNS1_3gpuE9ELNS1_3repE0EEENS1_30default_config_static_selectorELNS0_4arch9wavefront6targetE0EEEvT1_.has_indirect_call, 0
	.section	.AMDGPU.csdata,"",@progbits
; Kernel info:
; codeLenInByte = 0
; TotalNumSgprs: 0
; NumVgprs: 0
; ScratchSize: 0
; MemoryBound: 0
; FloatMode: 240
; IeeeMode: 1
; LDSByteSize: 0 bytes/workgroup (compile time only)
; SGPRBlocks: 0
; VGPRBlocks: 0
; NumSGPRsForWavesPerEU: 1
; NumVGPRsForWavesPerEU: 1
; NamedBarCnt: 0
; Occupancy: 16
; WaveLimiterHint : 0
; COMPUTE_PGM_RSRC2:SCRATCH_EN: 0
; COMPUTE_PGM_RSRC2:USER_SGPR: 2
; COMPUTE_PGM_RSRC2:TRAP_HANDLER: 0
; COMPUTE_PGM_RSRC2:TGID_X_EN: 1
; COMPUTE_PGM_RSRC2:TGID_Y_EN: 0
; COMPUTE_PGM_RSRC2:TGID_Z_EN: 0
; COMPUTE_PGM_RSRC2:TIDIG_COMP_CNT: 0
	.section	.text._ZN7rocprim17ROCPRIM_400000_NS6detail17trampoline_kernelINS0_14default_configENS1_27scan_by_key_config_selectorIiiEEZZNS1_16scan_by_key_implILNS1_25lookback_scan_determinismE0ELb0ES3_N6thrust23THRUST_200600_302600_NS16reverse_iteratorIPKiEESD_NSA_IPiEEiN6hipcub16HIPCUB_304000_NS3MaxENSH_8EqualityEiEE10hipError_tPvRmT2_T3_T4_T5_mT6_T7_P12ihipStream_tbENKUlT_T0_E_clISt17integral_constantIbLb0EES10_EEDaSV_SW_EUlSV_E_NS1_11comp_targetILNS1_3genE4ELNS1_11target_archE910ELNS1_3gpuE8ELNS1_3repE0EEENS1_30default_config_static_selectorELNS0_4arch9wavefront6targetE0EEEvT1_,"axG",@progbits,_ZN7rocprim17ROCPRIM_400000_NS6detail17trampoline_kernelINS0_14default_configENS1_27scan_by_key_config_selectorIiiEEZZNS1_16scan_by_key_implILNS1_25lookback_scan_determinismE0ELb0ES3_N6thrust23THRUST_200600_302600_NS16reverse_iteratorIPKiEESD_NSA_IPiEEiN6hipcub16HIPCUB_304000_NS3MaxENSH_8EqualityEiEE10hipError_tPvRmT2_T3_T4_T5_mT6_T7_P12ihipStream_tbENKUlT_T0_E_clISt17integral_constantIbLb0EES10_EEDaSV_SW_EUlSV_E_NS1_11comp_targetILNS1_3genE4ELNS1_11target_archE910ELNS1_3gpuE8ELNS1_3repE0EEENS1_30default_config_static_selectorELNS0_4arch9wavefront6targetE0EEEvT1_,comdat
	.protected	_ZN7rocprim17ROCPRIM_400000_NS6detail17trampoline_kernelINS0_14default_configENS1_27scan_by_key_config_selectorIiiEEZZNS1_16scan_by_key_implILNS1_25lookback_scan_determinismE0ELb0ES3_N6thrust23THRUST_200600_302600_NS16reverse_iteratorIPKiEESD_NSA_IPiEEiN6hipcub16HIPCUB_304000_NS3MaxENSH_8EqualityEiEE10hipError_tPvRmT2_T3_T4_T5_mT6_T7_P12ihipStream_tbENKUlT_T0_E_clISt17integral_constantIbLb0EES10_EEDaSV_SW_EUlSV_E_NS1_11comp_targetILNS1_3genE4ELNS1_11target_archE910ELNS1_3gpuE8ELNS1_3repE0EEENS1_30default_config_static_selectorELNS0_4arch9wavefront6targetE0EEEvT1_ ; -- Begin function _ZN7rocprim17ROCPRIM_400000_NS6detail17trampoline_kernelINS0_14default_configENS1_27scan_by_key_config_selectorIiiEEZZNS1_16scan_by_key_implILNS1_25lookback_scan_determinismE0ELb0ES3_N6thrust23THRUST_200600_302600_NS16reverse_iteratorIPKiEESD_NSA_IPiEEiN6hipcub16HIPCUB_304000_NS3MaxENSH_8EqualityEiEE10hipError_tPvRmT2_T3_T4_T5_mT6_T7_P12ihipStream_tbENKUlT_T0_E_clISt17integral_constantIbLb0EES10_EEDaSV_SW_EUlSV_E_NS1_11comp_targetILNS1_3genE4ELNS1_11target_archE910ELNS1_3gpuE8ELNS1_3repE0EEENS1_30default_config_static_selectorELNS0_4arch9wavefront6targetE0EEEvT1_
	.globl	_ZN7rocprim17ROCPRIM_400000_NS6detail17trampoline_kernelINS0_14default_configENS1_27scan_by_key_config_selectorIiiEEZZNS1_16scan_by_key_implILNS1_25lookback_scan_determinismE0ELb0ES3_N6thrust23THRUST_200600_302600_NS16reverse_iteratorIPKiEESD_NSA_IPiEEiN6hipcub16HIPCUB_304000_NS3MaxENSH_8EqualityEiEE10hipError_tPvRmT2_T3_T4_T5_mT6_T7_P12ihipStream_tbENKUlT_T0_E_clISt17integral_constantIbLb0EES10_EEDaSV_SW_EUlSV_E_NS1_11comp_targetILNS1_3genE4ELNS1_11target_archE910ELNS1_3gpuE8ELNS1_3repE0EEENS1_30default_config_static_selectorELNS0_4arch9wavefront6targetE0EEEvT1_
	.p2align	8
	.type	_ZN7rocprim17ROCPRIM_400000_NS6detail17trampoline_kernelINS0_14default_configENS1_27scan_by_key_config_selectorIiiEEZZNS1_16scan_by_key_implILNS1_25lookback_scan_determinismE0ELb0ES3_N6thrust23THRUST_200600_302600_NS16reverse_iteratorIPKiEESD_NSA_IPiEEiN6hipcub16HIPCUB_304000_NS3MaxENSH_8EqualityEiEE10hipError_tPvRmT2_T3_T4_T5_mT6_T7_P12ihipStream_tbENKUlT_T0_E_clISt17integral_constantIbLb0EES10_EEDaSV_SW_EUlSV_E_NS1_11comp_targetILNS1_3genE4ELNS1_11target_archE910ELNS1_3gpuE8ELNS1_3repE0EEENS1_30default_config_static_selectorELNS0_4arch9wavefront6targetE0EEEvT1_,@function
_ZN7rocprim17ROCPRIM_400000_NS6detail17trampoline_kernelINS0_14default_configENS1_27scan_by_key_config_selectorIiiEEZZNS1_16scan_by_key_implILNS1_25lookback_scan_determinismE0ELb0ES3_N6thrust23THRUST_200600_302600_NS16reverse_iteratorIPKiEESD_NSA_IPiEEiN6hipcub16HIPCUB_304000_NS3MaxENSH_8EqualityEiEE10hipError_tPvRmT2_T3_T4_T5_mT6_T7_P12ihipStream_tbENKUlT_T0_E_clISt17integral_constantIbLb0EES10_EEDaSV_SW_EUlSV_E_NS1_11comp_targetILNS1_3genE4ELNS1_11target_archE910ELNS1_3gpuE8ELNS1_3repE0EEENS1_30default_config_static_selectorELNS0_4arch9wavefront6targetE0EEEvT1_: ; @_ZN7rocprim17ROCPRIM_400000_NS6detail17trampoline_kernelINS0_14default_configENS1_27scan_by_key_config_selectorIiiEEZZNS1_16scan_by_key_implILNS1_25lookback_scan_determinismE0ELb0ES3_N6thrust23THRUST_200600_302600_NS16reverse_iteratorIPKiEESD_NSA_IPiEEiN6hipcub16HIPCUB_304000_NS3MaxENSH_8EqualityEiEE10hipError_tPvRmT2_T3_T4_T5_mT6_T7_P12ihipStream_tbENKUlT_T0_E_clISt17integral_constantIbLb0EES10_EEDaSV_SW_EUlSV_E_NS1_11comp_targetILNS1_3genE4ELNS1_11target_archE910ELNS1_3gpuE8ELNS1_3repE0EEENS1_30default_config_static_selectorELNS0_4arch9wavefront6targetE0EEEvT1_
; %bb.0:
	.section	.rodata,"a",@progbits
	.p2align	6, 0x0
	.amdhsa_kernel _ZN7rocprim17ROCPRIM_400000_NS6detail17trampoline_kernelINS0_14default_configENS1_27scan_by_key_config_selectorIiiEEZZNS1_16scan_by_key_implILNS1_25lookback_scan_determinismE0ELb0ES3_N6thrust23THRUST_200600_302600_NS16reverse_iteratorIPKiEESD_NSA_IPiEEiN6hipcub16HIPCUB_304000_NS3MaxENSH_8EqualityEiEE10hipError_tPvRmT2_T3_T4_T5_mT6_T7_P12ihipStream_tbENKUlT_T0_E_clISt17integral_constantIbLb0EES10_EEDaSV_SW_EUlSV_E_NS1_11comp_targetILNS1_3genE4ELNS1_11target_archE910ELNS1_3gpuE8ELNS1_3repE0EEENS1_30default_config_static_selectorELNS0_4arch9wavefront6targetE0EEEvT1_
		.amdhsa_group_segment_fixed_size 0
		.amdhsa_private_segment_fixed_size 0
		.amdhsa_kernarg_size 112
		.amdhsa_user_sgpr_count 2
		.amdhsa_user_sgpr_dispatch_ptr 0
		.amdhsa_user_sgpr_queue_ptr 0
		.amdhsa_user_sgpr_kernarg_segment_ptr 1
		.amdhsa_user_sgpr_dispatch_id 0
		.amdhsa_user_sgpr_kernarg_preload_length 0
		.amdhsa_user_sgpr_kernarg_preload_offset 0
		.amdhsa_user_sgpr_private_segment_size 0
		.amdhsa_wavefront_size32 1
		.amdhsa_uses_dynamic_stack 0
		.amdhsa_enable_private_segment 0
		.amdhsa_system_sgpr_workgroup_id_x 1
		.amdhsa_system_sgpr_workgroup_id_y 0
		.amdhsa_system_sgpr_workgroup_id_z 0
		.amdhsa_system_sgpr_workgroup_info 0
		.amdhsa_system_vgpr_workitem_id 0
		.amdhsa_next_free_vgpr 1
		.amdhsa_next_free_sgpr 1
		.amdhsa_named_barrier_count 0
		.amdhsa_reserve_vcc 0
		.amdhsa_float_round_mode_32 0
		.amdhsa_float_round_mode_16_64 0
		.amdhsa_float_denorm_mode_32 3
		.amdhsa_float_denorm_mode_16_64 3
		.amdhsa_fp16_overflow 0
		.amdhsa_memory_ordered 1
		.amdhsa_forward_progress 1
		.amdhsa_inst_pref_size 0
		.amdhsa_round_robin_scheduling 0
		.amdhsa_exception_fp_ieee_invalid_op 0
		.amdhsa_exception_fp_denorm_src 0
		.amdhsa_exception_fp_ieee_div_zero 0
		.amdhsa_exception_fp_ieee_overflow 0
		.amdhsa_exception_fp_ieee_underflow 0
		.amdhsa_exception_fp_ieee_inexact 0
		.amdhsa_exception_int_div_zero 0
	.end_amdhsa_kernel
	.section	.text._ZN7rocprim17ROCPRIM_400000_NS6detail17trampoline_kernelINS0_14default_configENS1_27scan_by_key_config_selectorIiiEEZZNS1_16scan_by_key_implILNS1_25lookback_scan_determinismE0ELb0ES3_N6thrust23THRUST_200600_302600_NS16reverse_iteratorIPKiEESD_NSA_IPiEEiN6hipcub16HIPCUB_304000_NS3MaxENSH_8EqualityEiEE10hipError_tPvRmT2_T3_T4_T5_mT6_T7_P12ihipStream_tbENKUlT_T0_E_clISt17integral_constantIbLb0EES10_EEDaSV_SW_EUlSV_E_NS1_11comp_targetILNS1_3genE4ELNS1_11target_archE910ELNS1_3gpuE8ELNS1_3repE0EEENS1_30default_config_static_selectorELNS0_4arch9wavefront6targetE0EEEvT1_,"axG",@progbits,_ZN7rocprim17ROCPRIM_400000_NS6detail17trampoline_kernelINS0_14default_configENS1_27scan_by_key_config_selectorIiiEEZZNS1_16scan_by_key_implILNS1_25lookback_scan_determinismE0ELb0ES3_N6thrust23THRUST_200600_302600_NS16reverse_iteratorIPKiEESD_NSA_IPiEEiN6hipcub16HIPCUB_304000_NS3MaxENSH_8EqualityEiEE10hipError_tPvRmT2_T3_T4_T5_mT6_T7_P12ihipStream_tbENKUlT_T0_E_clISt17integral_constantIbLb0EES10_EEDaSV_SW_EUlSV_E_NS1_11comp_targetILNS1_3genE4ELNS1_11target_archE910ELNS1_3gpuE8ELNS1_3repE0EEENS1_30default_config_static_selectorELNS0_4arch9wavefront6targetE0EEEvT1_,comdat
.Lfunc_end56:
	.size	_ZN7rocprim17ROCPRIM_400000_NS6detail17trampoline_kernelINS0_14default_configENS1_27scan_by_key_config_selectorIiiEEZZNS1_16scan_by_key_implILNS1_25lookback_scan_determinismE0ELb0ES3_N6thrust23THRUST_200600_302600_NS16reverse_iteratorIPKiEESD_NSA_IPiEEiN6hipcub16HIPCUB_304000_NS3MaxENSH_8EqualityEiEE10hipError_tPvRmT2_T3_T4_T5_mT6_T7_P12ihipStream_tbENKUlT_T0_E_clISt17integral_constantIbLb0EES10_EEDaSV_SW_EUlSV_E_NS1_11comp_targetILNS1_3genE4ELNS1_11target_archE910ELNS1_3gpuE8ELNS1_3repE0EEENS1_30default_config_static_selectorELNS0_4arch9wavefront6targetE0EEEvT1_, .Lfunc_end56-_ZN7rocprim17ROCPRIM_400000_NS6detail17trampoline_kernelINS0_14default_configENS1_27scan_by_key_config_selectorIiiEEZZNS1_16scan_by_key_implILNS1_25lookback_scan_determinismE0ELb0ES3_N6thrust23THRUST_200600_302600_NS16reverse_iteratorIPKiEESD_NSA_IPiEEiN6hipcub16HIPCUB_304000_NS3MaxENSH_8EqualityEiEE10hipError_tPvRmT2_T3_T4_T5_mT6_T7_P12ihipStream_tbENKUlT_T0_E_clISt17integral_constantIbLb0EES10_EEDaSV_SW_EUlSV_E_NS1_11comp_targetILNS1_3genE4ELNS1_11target_archE910ELNS1_3gpuE8ELNS1_3repE0EEENS1_30default_config_static_selectorELNS0_4arch9wavefront6targetE0EEEvT1_
                                        ; -- End function
	.set _ZN7rocprim17ROCPRIM_400000_NS6detail17trampoline_kernelINS0_14default_configENS1_27scan_by_key_config_selectorIiiEEZZNS1_16scan_by_key_implILNS1_25lookback_scan_determinismE0ELb0ES3_N6thrust23THRUST_200600_302600_NS16reverse_iteratorIPKiEESD_NSA_IPiEEiN6hipcub16HIPCUB_304000_NS3MaxENSH_8EqualityEiEE10hipError_tPvRmT2_T3_T4_T5_mT6_T7_P12ihipStream_tbENKUlT_T0_E_clISt17integral_constantIbLb0EES10_EEDaSV_SW_EUlSV_E_NS1_11comp_targetILNS1_3genE4ELNS1_11target_archE910ELNS1_3gpuE8ELNS1_3repE0EEENS1_30default_config_static_selectorELNS0_4arch9wavefront6targetE0EEEvT1_.num_vgpr, 0
	.set _ZN7rocprim17ROCPRIM_400000_NS6detail17trampoline_kernelINS0_14default_configENS1_27scan_by_key_config_selectorIiiEEZZNS1_16scan_by_key_implILNS1_25lookback_scan_determinismE0ELb0ES3_N6thrust23THRUST_200600_302600_NS16reverse_iteratorIPKiEESD_NSA_IPiEEiN6hipcub16HIPCUB_304000_NS3MaxENSH_8EqualityEiEE10hipError_tPvRmT2_T3_T4_T5_mT6_T7_P12ihipStream_tbENKUlT_T0_E_clISt17integral_constantIbLb0EES10_EEDaSV_SW_EUlSV_E_NS1_11comp_targetILNS1_3genE4ELNS1_11target_archE910ELNS1_3gpuE8ELNS1_3repE0EEENS1_30default_config_static_selectorELNS0_4arch9wavefront6targetE0EEEvT1_.num_agpr, 0
	.set _ZN7rocprim17ROCPRIM_400000_NS6detail17trampoline_kernelINS0_14default_configENS1_27scan_by_key_config_selectorIiiEEZZNS1_16scan_by_key_implILNS1_25lookback_scan_determinismE0ELb0ES3_N6thrust23THRUST_200600_302600_NS16reverse_iteratorIPKiEESD_NSA_IPiEEiN6hipcub16HIPCUB_304000_NS3MaxENSH_8EqualityEiEE10hipError_tPvRmT2_T3_T4_T5_mT6_T7_P12ihipStream_tbENKUlT_T0_E_clISt17integral_constantIbLb0EES10_EEDaSV_SW_EUlSV_E_NS1_11comp_targetILNS1_3genE4ELNS1_11target_archE910ELNS1_3gpuE8ELNS1_3repE0EEENS1_30default_config_static_selectorELNS0_4arch9wavefront6targetE0EEEvT1_.numbered_sgpr, 0
	.set _ZN7rocprim17ROCPRIM_400000_NS6detail17trampoline_kernelINS0_14default_configENS1_27scan_by_key_config_selectorIiiEEZZNS1_16scan_by_key_implILNS1_25lookback_scan_determinismE0ELb0ES3_N6thrust23THRUST_200600_302600_NS16reverse_iteratorIPKiEESD_NSA_IPiEEiN6hipcub16HIPCUB_304000_NS3MaxENSH_8EqualityEiEE10hipError_tPvRmT2_T3_T4_T5_mT6_T7_P12ihipStream_tbENKUlT_T0_E_clISt17integral_constantIbLb0EES10_EEDaSV_SW_EUlSV_E_NS1_11comp_targetILNS1_3genE4ELNS1_11target_archE910ELNS1_3gpuE8ELNS1_3repE0EEENS1_30default_config_static_selectorELNS0_4arch9wavefront6targetE0EEEvT1_.num_named_barrier, 0
	.set _ZN7rocprim17ROCPRIM_400000_NS6detail17trampoline_kernelINS0_14default_configENS1_27scan_by_key_config_selectorIiiEEZZNS1_16scan_by_key_implILNS1_25lookback_scan_determinismE0ELb0ES3_N6thrust23THRUST_200600_302600_NS16reverse_iteratorIPKiEESD_NSA_IPiEEiN6hipcub16HIPCUB_304000_NS3MaxENSH_8EqualityEiEE10hipError_tPvRmT2_T3_T4_T5_mT6_T7_P12ihipStream_tbENKUlT_T0_E_clISt17integral_constantIbLb0EES10_EEDaSV_SW_EUlSV_E_NS1_11comp_targetILNS1_3genE4ELNS1_11target_archE910ELNS1_3gpuE8ELNS1_3repE0EEENS1_30default_config_static_selectorELNS0_4arch9wavefront6targetE0EEEvT1_.private_seg_size, 0
	.set _ZN7rocprim17ROCPRIM_400000_NS6detail17trampoline_kernelINS0_14default_configENS1_27scan_by_key_config_selectorIiiEEZZNS1_16scan_by_key_implILNS1_25lookback_scan_determinismE0ELb0ES3_N6thrust23THRUST_200600_302600_NS16reverse_iteratorIPKiEESD_NSA_IPiEEiN6hipcub16HIPCUB_304000_NS3MaxENSH_8EqualityEiEE10hipError_tPvRmT2_T3_T4_T5_mT6_T7_P12ihipStream_tbENKUlT_T0_E_clISt17integral_constantIbLb0EES10_EEDaSV_SW_EUlSV_E_NS1_11comp_targetILNS1_3genE4ELNS1_11target_archE910ELNS1_3gpuE8ELNS1_3repE0EEENS1_30default_config_static_selectorELNS0_4arch9wavefront6targetE0EEEvT1_.uses_vcc, 0
	.set _ZN7rocprim17ROCPRIM_400000_NS6detail17trampoline_kernelINS0_14default_configENS1_27scan_by_key_config_selectorIiiEEZZNS1_16scan_by_key_implILNS1_25lookback_scan_determinismE0ELb0ES3_N6thrust23THRUST_200600_302600_NS16reverse_iteratorIPKiEESD_NSA_IPiEEiN6hipcub16HIPCUB_304000_NS3MaxENSH_8EqualityEiEE10hipError_tPvRmT2_T3_T4_T5_mT6_T7_P12ihipStream_tbENKUlT_T0_E_clISt17integral_constantIbLb0EES10_EEDaSV_SW_EUlSV_E_NS1_11comp_targetILNS1_3genE4ELNS1_11target_archE910ELNS1_3gpuE8ELNS1_3repE0EEENS1_30default_config_static_selectorELNS0_4arch9wavefront6targetE0EEEvT1_.uses_flat_scratch, 0
	.set _ZN7rocprim17ROCPRIM_400000_NS6detail17trampoline_kernelINS0_14default_configENS1_27scan_by_key_config_selectorIiiEEZZNS1_16scan_by_key_implILNS1_25lookback_scan_determinismE0ELb0ES3_N6thrust23THRUST_200600_302600_NS16reverse_iteratorIPKiEESD_NSA_IPiEEiN6hipcub16HIPCUB_304000_NS3MaxENSH_8EqualityEiEE10hipError_tPvRmT2_T3_T4_T5_mT6_T7_P12ihipStream_tbENKUlT_T0_E_clISt17integral_constantIbLb0EES10_EEDaSV_SW_EUlSV_E_NS1_11comp_targetILNS1_3genE4ELNS1_11target_archE910ELNS1_3gpuE8ELNS1_3repE0EEENS1_30default_config_static_selectorELNS0_4arch9wavefront6targetE0EEEvT1_.has_dyn_sized_stack, 0
	.set _ZN7rocprim17ROCPRIM_400000_NS6detail17trampoline_kernelINS0_14default_configENS1_27scan_by_key_config_selectorIiiEEZZNS1_16scan_by_key_implILNS1_25lookback_scan_determinismE0ELb0ES3_N6thrust23THRUST_200600_302600_NS16reverse_iteratorIPKiEESD_NSA_IPiEEiN6hipcub16HIPCUB_304000_NS3MaxENSH_8EqualityEiEE10hipError_tPvRmT2_T3_T4_T5_mT6_T7_P12ihipStream_tbENKUlT_T0_E_clISt17integral_constantIbLb0EES10_EEDaSV_SW_EUlSV_E_NS1_11comp_targetILNS1_3genE4ELNS1_11target_archE910ELNS1_3gpuE8ELNS1_3repE0EEENS1_30default_config_static_selectorELNS0_4arch9wavefront6targetE0EEEvT1_.has_recursion, 0
	.set _ZN7rocprim17ROCPRIM_400000_NS6detail17trampoline_kernelINS0_14default_configENS1_27scan_by_key_config_selectorIiiEEZZNS1_16scan_by_key_implILNS1_25lookback_scan_determinismE0ELb0ES3_N6thrust23THRUST_200600_302600_NS16reverse_iteratorIPKiEESD_NSA_IPiEEiN6hipcub16HIPCUB_304000_NS3MaxENSH_8EqualityEiEE10hipError_tPvRmT2_T3_T4_T5_mT6_T7_P12ihipStream_tbENKUlT_T0_E_clISt17integral_constantIbLb0EES10_EEDaSV_SW_EUlSV_E_NS1_11comp_targetILNS1_3genE4ELNS1_11target_archE910ELNS1_3gpuE8ELNS1_3repE0EEENS1_30default_config_static_selectorELNS0_4arch9wavefront6targetE0EEEvT1_.has_indirect_call, 0
	.section	.AMDGPU.csdata,"",@progbits
; Kernel info:
; codeLenInByte = 0
; TotalNumSgprs: 0
; NumVgprs: 0
; ScratchSize: 0
; MemoryBound: 0
; FloatMode: 240
; IeeeMode: 1
; LDSByteSize: 0 bytes/workgroup (compile time only)
; SGPRBlocks: 0
; VGPRBlocks: 0
; NumSGPRsForWavesPerEU: 1
; NumVGPRsForWavesPerEU: 1
; NamedBarCnt: 0
; Occupancy: 16
; WaveLimiterHint : 0
; COMPUTE_PGM_RSRC2:SCRATCH_EN: 0
; COMPUTE_PGM_RSRC2:USER_SGPR: 2
; COMPUTE_PGM_RSRC2:TRAP_HANDLER: 0
; COMPUTE_PGM_RSRC2:TGID_X_EN: 1
; COMPUTE_PGM_RSRC2:TGID_Y_EN: 0
; COMPUTE_PGM_RSRC2:TGID_Z_EN: 0
; COMPUTE_PGM_RSRC2:TIDIG_COMP_CNT: 0
	.section	.text._ZN7rocprim17ROCPRIM_400000_NS6detail17trampoline_kernelINS0_14default_configENS1_27scan_by_key_config_selectorIiiEEZZNS1_16scan_by_key_implILNS1_25lookback_scan_determinismE0ELb0ES3_N6thrust23THRUST_200600_302600_NS16reverse_iteratorIPKiEESD_NSA_IPiEEiN6hipcub16HIPCUB_304000_NS3MaxENSH_8EqualityEiEE10hipError_tPvRmT2_T3_T4_T5_mT6_T7_P12ihipStream_tbENKUlT_T0_E_clISt17integral_constantIbLb0EES10_EEDaSV_SW_EUlSV_E_NS1_11comp_targetILNS1_3genE3ELNS1_11target_archE908ELNS1_3gpuE7ELNS1_3repE0EEENS1_30default_config_static_selectorELNS0_4arch9wavefront6targetE0EEEvT1_,"axG",@progbits,_ZN7rocprim17ROCPRIM_400000_NS6detail17trampoline_kernelINS0_14default_configENS1_27scan_by_key_config_selectorIiiEEZZNS1_16scan_by_key_implILNS1_25lookback_scan_determinismE0ELb0ES3_N6thrust23THRUST_200600_302600_NS16reverse_iteratorIPKiEESD_NSA_IPiEEiN6hipcub16HIPCUB_304000_NS3MaxENSH_8EqualityEiEE10hipError_tPvRmT2_T3_T4_T5_mT6_T7_P12ihipStream_tbENKUlT_T0_E_clISt17integral_constantIbLb0EES10_EEDaSV_SW_EUlSV_E_NS1_11comp_targetILNS1_3genE3ELNS1_11target_archE908ELNS1_3gpuE7ELNS1_3repE0EEENS1_30default_config_static_selectorELNS0_4arch9wavefront6targetE0EEEvT1_,comdat
	.protected	_ZN7rocprim17ROCPRIM_400000_NS6detail17trampoline_kernelINS0_14default_configENS1_27scan_by_key_config_selectorIiiEEZZNS1_16scan_by_key_implILNS1_25lookback_scan_determinismE0ELb0ES3_N6thrust23THRUST_200600_302600_NS16reverse_iteratorIPKiEESD_NSA_IPiEEiN6hipcub16HIPCUB_304000_NS3MaxENSH_8EqualityEiEE10hipError_tPvRmT2_T3_T4_T5_mT6_T7_P12ihipStream_tbENKUlT_T0_E_clISt17integral_constantIbLb0EES10_EEDaSV_SW_EUlSV_E_NS1_11comp_targetILNS1_3genE3ELNS1_11target_archE908ELNS1_3gpuE7ELNS1_3repE0EEENS1_30default_config_static_selectorELNS0_4arch9wavefront6targetE0EEEvT1_ ; -- Begin function _ZN7rocprim17ROCPRIM_400000_NS6detail17trampoline_kernelINS0_14default_configENS1_27scan_by_key_config_selectorIiiEEZZNS1_16scan_by_key_implILNS1_25lookback_scan_determinismE0ELb0ES3_N6thrust23THRUST_200600_302600_NS16reverse_iteratorIPKiEESD_NSA_IPiEEiN6hipcub16HIPCUB_304000_NS3MaxENSH_8EqualityEiEE10hipError_tPvRmT2_T3_T4_T5_mT6_T7_P12ihipStream_tbENKUlT_T0_E_clISt17integral_constantIbLb0EES10_EEDaSV_SW_EUlSV_E_NS1_11comp_targetILNS1_3genE3ELNS1_11target_archE908ELNS1_3gpuE7ELNS1_3repE0EEENS1_30default_config_static_selectorELNS0_4arch9wavefront6targetE0EEEvT1_
	.globl	_ZN7rocprim17ROCPRIM_400000_NS6detail17trampoline_kernelINS0_14default_configENS1_27scan_by_key_config_selectorIiiEEZZNS1_16scan_by_key_implILNS1_25lookback_scan_determinismE0ELb0ES3_N6thrust23THRUST_200600_302600_NS16reverse_iteratorIPKiEESD_NSA_IPiEEiN6hipcub16HIPCUB_304000_NS3MaxENSH_8EqualityEiEE10hipError_tPvRmT2_T3_T4_T5_mT6_T7_P12ihipStream_tbENKUlT_T0_E_clISt17integral_constantIbLb0EES10_EEDaSV_SW_EUlSV_E_NS1_11comp_targetILNS1_3genE3ELNS1_11target_archE908ELNS1_3gpuE7ELNS1_3repE0EEENS1_30default_config_static_selectorELNS0_4arch9wavefront6targetE0EEEvT1_
	.p2align	8
	.type	_ZN7rocprim17ROCPRIM_400000_NS6detail17trampoline_kernelINS0_14default_configENS1_27scan_by_key_config_selectorIiiEEZZNS1_16scan_by_key_implILNS1_25lookback_scan_determinismE0ELb0ES3_N6thrust23THRUST_200600_302600_NS16reverse_iteratorIPKiEESD_NSA_IPiEEiN6hipcub16HIPCUB_304000_NS3MaxENSH_8EqualityEiEE10hipError_tPvRmT2_T3_T4_T5_mT6_T7_P12ihipStream_tbENKUlT_T0_E_clISt17integral_constantIbLb0EES10_EEDaSV_SW_EUlSV_E_NS1_11comp_targetILNS1_3genE3ELNS1_11target_archE908ELNS1_3gpuE7ELNS1_3repE0EEENS1_30default_config_static_selectorELNS0_4arch9wavefront6targetE0EEEvT1_,@function
_ZN7rocprim17ROCPRIM_400000_NS6detail17trampoline_kernelINS0_14default_configENS1_27scan_by_key_config_selectorIiiEEZZNS1_16scan_by_key_implILNS1_25lookback_scan_determinismE0ELb0ES3_N6thrust23THRUST_200600_302600_NS16reverse_iteratorIPKiEESD_NSA_IPiEEiN6hipcub16HIPCUB_304000_NS3MaxENSH_8EqualityEiEE10hipError_tPvRmT2_T3_T4_T5_mT6_T7_P12ihipStream_tbENKUlT_T0_E_clISt17integral_constantIbLb0EES10_EEDaSV_SW_EUlSV_E_NS1_11comp_targetILNS1_3genE3ELNS1_11target_archE908ELNS1_3gpuE7ELNS1_3repE0EEENS1_30default_config_static_selectorELNS0_4arch9wavefront6targetE0EEEvT1_: ; @_ZN7rocprim17ROCPRIM_400000_NS6detail17trampoline_kernelINS0_14default_configENS1_27scan_by_key_config_selectorIiiEEZZNS1_16scan_by_key_implILNS1_25lookback_scan_determinismE0ELb0ES3_N6thrust23THRUST_200600_302600_NS16reverse_iteratorIPKiEESD_NSA_IPiEEiN6hipcub16HIPCUB_304000_NS3MaxENSH_8EqualityEiEE10hipError_tPvRmT2_T3_T4_T5_mT6_T7_P12ihipStream_tbENKUlT_T0_E_clISt17integral_constantIbLb0EES10_EEDaSV_SW_EUlSV_E_NS1_11comp_targetILNS1_3genE3ELNS1_11target_archE908ELNS1_3gpuE7ELNS1_3repE0EEENS1_30default_config_static_selectorELNS0_4arch9wavefront6targetE0EEEvT1_
; %bb.0:
	.section	.rodata,"a",@progbits
	.p2align	6, 0x0
	.amdhsa_kernel _ZN7rocprim17ROCPRIM_400000_NS6detail17trampoline_kernelINS0_14default_configENS1_27scan_by_key_config_selectorIiiEEZZNS1_16scan_by_key_implILNS1_25lookback_scan_determinismE0ELb0ES3_N6thrust23THRUST_200600_302600_NS16reverse_iteratorIPKiEESD_NSA_IPiEEiN6hipcub16HIPCUB_304000_NS3MaxENSH_8EqualityEiEE10hipError_tPvRmT2_T3_T4_T5_mT6_T7_P12ihipStream_tbENKUlT_T0_E_clISt17integral_constantIbLb0EES10_EEDaSV_SW_EUlSV_E_NS1_11comp_targetILNS1_3genE3ELNS1_11target_archE908ELNS1_3gpuE7ELNS1_3repE0EEENS1_30default_config_static_selectorELNS0_4arch9wavefront6targetE0EEEvT1_
		.amdhsa_group_segment_fixed_size 0
		.amdhsa_private_segment_fixed_size 0
		.amdhsa_kernarg_size 112
		.amdhsa_user_sgpr_count 2
		.amdhsa_user_sgpr_dispatch_ptr 0
		.amdhsa_user_sgpr_queue_ptr 0
		.amdhsa_user_sgpr_kernarg_segment_ptr 1
		.amdhsa_user_sgpr_dispatch_id 0
		.amdhsa_user_sgpr_kernarg_preload_length 0
		.amdhsa_user_sgpr_kernarg_preload_offset 0
		.amdhsa_user_sgpr_private_segment_size 0
		.amdhsa_wavefront_size32 1
		.amdhsa_uses_dynamic_stack 0
		.amdhsa_enable_private_segment 0
		.amdhsa_system_sgpr_workgroup_id_x 1
		.amdhsa_system_sgpr_workgroup_id_y 0
		.amdhsa_system_sgpr_workgroup_id_z 0
		.amdhsa_system_sgpr_workgroup_info 0
		.amdhsa_system_vgpr_workitem_id 0
		.amdhsa_next_free_vgpr 1
		.amdhsa_next_free_sgpr 1
		.amdhsa_named_barrier_count 0
		.amdhsa_reserve_vcc 0
		.amdhsa_float_round_mode_32 0
		.amdhsa_float_round_mode_16_64 0
		.amdhsa_float_denorm_mode_32 3
		.amdhsa_float_denorm_mode_16_64 3
		.amdhsa_fp16_overflow 0
		.amdhsa_memory_ordered 1
		.amdhsa_forward_progress 1
		.amdhsa_inst_pref_size 0
		.amdhsa_round_robin_scheduling 0
		.amdhsa_exception_fp_ieee_invalid_op 0
		.amdhsa_exception_fp_denorm_src 0
		.amdhsa_exception_fp_ieee_div_zero 0
		.amdhsa_exception_fp_ieee_overflow 0
		.amdhsa_exception_fp_ieee_underflow 0
		.amdhsa_exception_fp_ieee_inexact 0
		.amdhsa_exception_int_div_zero 0
	.end_amdhsa_kernel
	.section	.text._ZN7rocprim17ROCPRIM_400000_NS6detail17trampoline_kernelINS0_14default_configENS1_27scan_by_key_config_selectorIiiEEZZNS1_16scan_by_key_implILNS1_25lookback_scan_determinismE0ELb0ES3_N6thrust23THRUST_200600_302600_NS16reverse_iteratorIPKiEESD_NSA_IPiEEiN6hipcub16HIPCUB_304000_NS3MaxENSH_8EqualityEiEE10hipError_tPvRmT2_T3_T4_T5_mT6_T7_P12ihipStream_tbENKUlT_T0_E_clISt17integral_constantIbLb0EES10_EEDaSV_SW_EUlSV_E_NS1_11comp_targetILNS1_3genE3ELNS1_11target_archE908ELNS1_3gpuE7ELNS1_3repE0EEENS1_30default_config_static_selectorELNS0_4arch9wavefront6targetE0EEEvT1_,"axG",@progbits,_ZN7rocprim17ROCPRIM_400000_NS6detail17trampoline_kernelINS0_14default_configENS1_27scan_by_key_config_selectorIiiEEZZNS1_16scan_by_key_implILNS1_25lookback_scan_determinismE0ELb0ES3_N6thrust23THRUST_200600_302600_NS16reverse_iteratorIPKiEESD_NSA_IPiEEiN6hipcub16HIPCUB_304000_NS3MaxENSH_8EqualityEiEE10hipError_tPvRmT2_T3_T4_T5_mT6_T7_P12ihipStream_tbENKUlT_T0_E_clISt17integral_constantIbLb0EES10_EEDaSV_SW_EUlSV_E_NS1_11comp_targetILNS1_3genE3ELNS1_11target_archE908ELNS1_3gpuE7ELNS1_3repE0EEENS1_30default_config_static_selectorELNS0_4arch9wavefront6targetE0EEEvT1_,comdat
.Lfunc_end57:
	.size	_ZN7rocprim17ROCPRIM_400000_NS6detail17trampoline_kernelINS0_14default_configENS1_27scan_by_key_config_selectorIiiEEZZNS1_16scan_by_key_implILNS1_25lookback_scan_determinismE0ELb0ES3_N6thrust23THRUST_200600_302600_NS16reverse_iteratorIPKiEESD_NSA_IPiEEiN6hipcub16HIPCUB_304000_NS3MaxENSH_8EqualityEiEE10hipError_tPvRmT2_T3_T4_T5_mT6_T7_P12ihipStream_tbENKUlT_T0_E_clISt17integral_constantIbLb0EES10_EEDaSV_SW_EUlSV_E_NS1_11comp_targetILNS1_3genE3ELNS1_11target_archE908ELNS1_3gpuE7ELNS1_3repE0EEENS1_30default_config_static_selectorELNS0_4arch9wavefront6targetE0EEEvT1_, .Lfunc_end57-_ZN7rocprim17ROCPRIM_400000_NS6detail17trampoline_kernelINS0_14default_configENS1_27scan_by_key_config_selectorIiiEEZZNS1_16scan_by_key_implILNS1_25lookback_scan_determinismE0ELb0ES3_N6thrust23THRUST_200600_302600_NS16reverse_iteratorIPKiEESD_NSA_IPiEEiN6hipcub16HIPCUB_304000_NS3MaxENSH_8EqualityEiEE10hipError_tPvRmT2_T3_T4_T5_mT6_T7_P12ihipStream_tbENKUlT_T0_E_clISt17integral_constantIbLb0EES10_EEDaSV_SW_EUlSV_E_NS1_11comp_targetILNS1_3genE3ELNS1_11target_archE908ELNS1_3gpuE7ELNS1_3repE0EEENS1_30default_config_static_selectorELNS0_4arch9wavefront6targetE0EEEvT1_
                                        ; -- End function
	.set _ZN7rocprim17ROCPRIM_400000_NS6detail17trampoline_kernelINS0_14default_configENS1_27scan_by_key_config_selectorIiiEEZZNS1_16scan_by_key_implILNS1_25lookback_scan_determinismE0ELb0ES3_N6thrust23THRUST_200600_302600_NS16reverse_iteratorIPKiEESD_NSA_IPiEEiN6hipcub16HIPCUB_304000_NS3MaxENSH_8EqualityEiEE10hipError_tPvRmT2_T3_T4_T5_mT6_T7_P12ihipStream_tbENKUlT_T0_E_clISt17integral_constantIbLb0EES10_EEDaSV_SW_EUlSV_E_NS1_11comp_targetILNS1_3genE3ELNS1_11target_archE908ELNS1_3gpuE7ELNS1_3repE0EEENS1_30default_config_static_selectorELNS0_4arch9wavefront6targetE0EEEvT1_.num_vgpr, 0
	.set _ZN7rocprim17ROCPRIM_400000_NS6detail17trampoline_kernelINS0_14default_configENS1_27scan_by_key_config_selectorIiiEEZZNS1_16scan_by_key_implILNS1_25lookback_scan_determinismE0ELb0ES3_N6thrust23THRUST_200600_302600_NS16reverse_iteratorIPKiEESD_NSA_IPiEEiN6hipcub16HIPCUB_304000_NS3MaxENSH_8EqualityEiEE10hipError_tPvRmT2_T3_T4_T5_mT6_T7_P12ihipStream_tbENKUlT_T0_E_clISt17integral_constantIbLb0EES10_EEDaSV_SW_EUlSV_E_NS1_11comp_targetILNS1_3genE3ELNS1_11target_archE908ELNS1_3gpuE7ELNS1_3repE0EEENS1_30default_config_static_selectorELNS0_4arch9wavefront6targetE0EEEvT1_.num_agpr, 0
	.set _ZN7rocprim17ROCPRIM_400000_NS6detail17trampoline_kernelINS0_14default_configENS1_27scan_by_key_config_selectorIiiEEZZNS1_16scan_by_key_implILNS1_25lookback_scan_determinismE0ELb0ES3_N6thrust23THRUST_200600_302600_NS16reverse_iteratorIPKiEESD_NSA_IPiEEiN6hipcub16HIPCUB_304000_NS3MaxENSH_8EqualityEiEE10hipError_tPvRmT2_T3_T4_T5_mT6_T7_P12ihipStream_tbENKUlT_T0_E_clISt17integral_constantIbLb0EES10_EEDaSV_SW_EUlSV_E_NS1_11comp_targetILNS1_3genE3ELNS1_11target_archE908ELNS1_3gpuE7ELNS1_3repE0EEENS1_30default_config_static_selectorELNS0_4arch9wavefront6targetE0EEEvT1_.numbered_sgpr, 0
	.set _ZN7rocprim17ROCPRIM_400000_NS6detail17trampoline_kernelINS0_14default_configENS1_27scan_by_key_config_selectorIiiEEZZNS1_16scan_by_key_implILNS1_25lookback_scan_determinismE0ELb0ES3_N6thrust23THRUST_200600_302600_NS16reverse_iteratorIPKiEESD_NSA_IPiEEiN6hipcub16HIPCUB_304000_NS3MaxENSH_8EqualityEiEE10hipError_tPvRmT2_T3_T4_T5_mT6_T7_P12ihipStream_tbENKUlT_T0_E_clISt17integral_constantIbLb0EES10_EEDaSV_SW_EUlSV_E_NS1_11comp_targetILNS1_3genE3ELNS1_11target_archE908ELNS1_3gpuE7ELNS1_3repE0EEENS1_30default_config_static_selectorELNS0_4arch9wavefront6targetE0EEEvT1_.num_named_barrier, 0
	.set _ZN7rocprim17ROCPRIM_400000_NS6detail17trampoline_kernelINS0_14default_configENS1_27scan_by_key_config_selectorIiiEEZZNS1_16scan_by_key_implILNS1_25lookback_scan_determinismE0ELb0ES3_N6thrust23THRUST_200600_302600_NS16reverse_iteratorIPKiEESD_NSA_IPiEEiN6hipcub16HIPCUB_304000_NS3MaxENSH_8EqualityEiEE10hipError_tPvRmT2_T3_T4_T5_mT6_T7_P12ihipStream_tbENKUlT_T0_E_clISt17integral_constantIbLb0EES10_EEDaSV_SW_EUlSV_E_NS1_11comp_targetILNS1_3genE3ELNS1_11target_archE908ELNS1_3gpuE7ELNS1_3repE0EEENS1_30default_config_static_selectorELNS0_4arch9wavefront6targetE0EEEvT1_.private_seg_size, 0
	.set _ZN7rocprim17ROCPRIM_400000_NS6detail17trampoline_kernelINS0_14default_configENS1_27scan_by_key_config_selectorIiiEEZZNS1_16scan_by_key_implILNS1_25lookback_scan_determinismE0ELb0ES3_N6thrust23THRUST_200600_302600_NS16reverse_iteratorIPKiEESD_NSA_IPiEEiN6hipcub16HIPCUB_304000_NS3MaxENSH_8EqualityEiEE10hipError_tPvRmT2_T3_T4_T5_mT6_T7_P12ihipStream_tbENKUlT_T0_E_clISt17integral_constantIbLb0EES10_EEDaSV_SW_EUlSV_E_NS1_11comp_targetILNS1_3genE3ELNS1_11target_archE908ELNS1_3gpuE7ELNS1_3repE0EEENS1_30default_config_static_selectorELNS0_4arch9wavefront6targetE0EEEvT1_.uses_vcc, 0
	.set _ZN7rocprim17ROCPRIM_400000_NS6detail17trampoline_kernelINS0_14default_configENS1_27scan_by_key_config_selectorIiiEEZZNS1_16scan_by_key_implILNS1_25lookback_scan_determinismE0ELb0ES3_N6thrust23THRUST_200600_302600_NS16reverse_iteratorIPKiEESD_NSA_IPiEEiN6hipcub16HIPCUB_304000_NS3MaxENSH_8EqualityEiEE10hipError_tPvRmT2_T3_T4_T5_mT6_T7_P12ihipStream_tbENKUlT_T0_E_clISt17integral_constantIbLb0EES10_EEDaSV_SW_EUlSV_E_NS1_11comp_targetILNS1_3genE3ELNS1_11target_archE908ELNS1_3gpuE7ELNS1_3repE0EEENS1_30default_config_static_selectorELNS0_4arch9wavefront6targetE0EEEvT1_.uses_flat_scratch, 0
	.set _ZN7rocprim17ROCPRIM_400000_NS6detail17trampoline_kernelINS0_14default_configENS1_27scan_by_key_config_selectorIiiEEZZNS1_16scan_by_key_implILNS1_25lookback_scan_determinismE0ELb0ES3_N6thrust23THRUST_200600_302600_NS16reverse_iteratorIPKiEESD_NSA_IPiEEiN6hipcub16HIPCUB_304000_NS3MaxENSH_8EqualityEiEE10hipError_tPvRmT2_T3_T4_T5_mT6_T7_P12ihipStream_tbENKUlT_T0_E_clISt17integral_constantIbLb0EES10_EEDaSV_SW_EUlSV_E_NS1_11comp_targetILNS1_3genE3ELNS1_11target_archE908ELNS1_3gpuE7ELNS1_3repE0EEENS1_30default_config_static_selectorELNS0_4arch9wavefront6targetE0EEEvT1_.has_dyn_sized_stack, 0
	.set _ZN7rocprim17ROCPRIM_400000_NS6detail17trampoline_kernelINS0_14default_configENS1_27scan_by_key_config_selectorIiiEEZZNS1_16scan_by_key_implILNS1_25lookback_scan_determinismE0ELb0ES3_N6thrust23THRUST_200600_302600_NS16reverse_iteratorIPKiEESD_NSA_IPiEEiN6hipcub16HIPCUB_304000_NS3MaxENSH_8EqualityEiEE10hipError_tPvRmT2_T3_T4_T5_mT6_T7_P12ihipStream_tbENKUlT_T0_E_clISt17integral_constantIbLb0EES10_EEDaSV_SW_EUlSV_E_NS1_11comp_targetILNS1_3genE3ELNS1_11target_archE908ELNS1_3gpuE7ELNS1_3repE0EEENS1_30default_config_static_selectorELNS0_4arch9wavefront6targetE0EEEvT1_.has_recursion, 0
	.set _ZN7rocprim17ROCPRIM_400000_NS6detail17trampoline_kernelINS0_14default_configENS1_27scan_by_key_config_selectorIiiEEZZNS1_16scan_by_key_implILNS1_25lookback_scan_determinismE0ELb0ES3_N6thrust23THRUST_200600_302600_NS16reverse_iteratorIPKiEESD_NSA_IPiEEiN6hipcub16HIPCUB_304000_NS3MaxENSH_8EqualityEiEE10hipError_tPvRmT2_T3_T4_T5_mT6_T7_P12ihipStream_tbENKUlT_T0_E_clISt17integral_constantIbLb0EES10_EEDaSV_SW_EUlSV_E_NS1_11comp_targetILNS1_3genE3ELNS1_11target_archE908ELNS1_3gpuE7ELNS1_3repE0EEENS1_30default_config_static_selectorELNS0_4arch9wavefront6targetE0EEEvT1_.has_indirect_call, 0
	.section	.AMDGPU.csdata,"",@progbits
; Kernel info:
; codeLenInByte = 0
; TotalNumSgprs: 0
; NumVgprs: 0
; ScratchSize: 0
; MemoryBound: 0
; FloatMode: 240
; IeeeMode: 1
; LDSByteSize: 0 bytes/workgroup (compile time only)
; SGPRBlocks: 0
; VGPRBlocks: 0
; NumSGPRsForWavesPerEU: 1
; NumVGPRsForWavesPerEU: 1
; NamedBarCnt: 0
; Occupancy: 16
; WaveLimiterHint : 0
; COMPUTE_PGM_RSRC2:SCRATCH_EN: 0
; COMPUTE_PGM_RSRC2:USER_SGPR: 2
; COMPUTE_PGM_RSRC2:TRAP_HANDLER: 0
; COMPUTE_PGM_RSRC2:TGID_X_EN: 1
; COMPUTE_PGM_RSRC2:TGID_Y_EN: 0
; COMPUTE_PGM_RSRC2:TGID_Z_EN: 0
; COMPUTE_PGM_RSRC2:TIDIG_COMP_CNT: 0
	.section	.text._ZN7rocprim17ROCPRIM_400000_NS6detail17trampoline_kernelINS0_14default_configENS1_27scan_by_key_config_selectorIiiEEZZNS1_16scan_by_key_implILNS1_25lookback_scan_determinismE0ELb0ES3_N6thrust23THRUST_200600_302600_NS16reverse_iteratorIPKiEESD_NSA_IPiEEiN6hipcub16HIPCUB_304000_NS3MaxENSH_8EqualityEiEE10hipError_tPvRmT2_T3_T4_T5_mT6_T7_P12ihipStream_tbENKUlT_T0_E_clISt17integral_constantIbLb0EES10_EEDaSV_SW_EUlSV_E_NS1_11comp_targetILNS1_3genE2ELNS1_11target_archE906ELNS1_3gpuE6ELNS1_3repE0EEENS1_30default_config_static_selectorELNS0_4arch9wavefront6targetE0EEEvT1_,"axG",@progbits,_ZN7rocprim17ROCPRIM_400000_NS6detail17trampoline_kernelINS0_14default_configENS1_27scan_by_key_config_selectorIiiEEZZNS1_16scan_by_key_implILNS1_25lookback_scan_determinismE0ELb0ES3_N6thrust23THRUST_200600_302600_NS16reverse_iteratorIPKiEESD_NSA_IPiEEiN6hipcub16HIPCUB_304000_NS3MaxENSH_8EqualityEiEE10hipError_tPvRmT2_T3_T4_T5_mT6_T7_P12ihipStream_tbENKUlT_T0_E_clISt17integral_constantIbLb0EES10_EEDaSV_SW_EUlSV_E_NS1_11comp_targetILNS1_3genE2ELNS1_11target_archE906ELNS1_3gpuE6ELNS1_3repE0EEENS1_30default_config_static_selectorELNS0_4arch9wavefront6targetE0EEEvT1_,comdat
	.protected	_ZN7rocprim17ROCPRIM_400000_NS6detail17trampoline_kernelINS0_14default_configENS1_27scan_by_key_config_selectorIiiEEZZNS1_16scan_by_key_implILNS1_25lookback_scan_determinismE0ELb0ES3_N6thrust23THRUST_200600_302600_NS16reverse_iteratorIPKiEESD_NSA_IPiEEiN6hipcub16HIPCUB_304000_NS3MaxENSH_8EqualityEiEE10hipError_tPvRmT2_T3_T4_T5_mT6_T7_P12ihipStream_tbENKUlT_T0_E_clISt17integral_constantIbLb0EES10_EEDaSV_SW_EUlSV_E_NS1_11comp_targetILNS1_3genE2ELNS1_11target_archE906ELNS1_3gpuE6ELNS1_3repE0EEENS1_30default_config_static_selectorELNS0_4arch9wavefront6targetE0EEEvT1_ ; -- Begin function _ZN7rocprim17ROCPRIM_400000_NS6detail17trampoline_kernelINS0_14default_configENS1_27scan_by_key_config_selectorIiiEEZZNS1_16scan_by_key_implILNS1_25lookback_scan_determinismE0ELb0ES3_N6thrust23THRUST_200600_302600_NS16reverse_iteratorIPKiEESD_NSA_IPiEEiN6hipcub16HIPCUB_304000_NS3MaxENSH_8EqualityEiEE10hipError_tPvRmT2_T3_T4_T5_mT6_T7_P12ihipStream_tbENKUlT_T0_E_clISt17integral_constantIbLb0EES10_EEDaSV_SW_EUlSV_E_NS1_11comp_targetILNS1_3genE2ELNS1_11target_archE906ELNS1_3gpuE6ELNS1_3repE0EEENS1_30default_config_static_selectorELNS0_4arch9wavefront6targetE0EEEvT1_
	.globl	_ZN7rocprim17ROCPRIM_400000_NS6detail17trampoline_kernelINS0_14default_configENS1_27scan_by_key_config_selectorIiiEEZZNS1_16scan_by_key_implILNS1_25lookback_scan_determinismE0ELb0ES3_N6thrust23THRUST_200600_302600_NS16reverse_iteratorIPKiEESD_NSA_IPiEEiN6hipcub16HIPCUB_304000_NS3MaxENSH_8EqualityEiEE10hipError_tPvRmT2_T3_T4_T5_mT6_T7_P12ihipStream_tbENKUlT_T0_E_clISt17integral_constantIbLb0EES10_EEDaSV_SW_EUlSV_E_NS1_11comp_targetILNS1_3genE2ELNS1_11target_archE906ELNS1_3gpuE6ELNS1_3repE0EEENS1_30default_config_static_selectorELNS0_4arch9wavefront6targetE0EEEvT1_
	.p2align	8
	.type	_ZN7rocprim17ROCPRIM_400000_NS6detail17trampoline_kernelINS0_14default_configENS1_27scan_by_key_config_selectorIiiEEZZNS1_16scan_by_key_implILNS1_25lookback_scan_determinismE0ELb0ES3_N6thrust23THRUST_200600_302600_NS16reverse_iteratorIPKiEESD_NSA_IPiEEiN6hipcub16HIPCUB_304000_NS3MaxENSH_8EqualityEiEE10hipError_tPvRmT2_T3_T4_T5_mT6_T7_P12ihipStream_tbENKUlT_T0_E_clISt17integral_constantIbLb0EES10_EEDaSV_SW_EUlSV_E_NS1_11comp_targetILNS1_3genE2ELNS1_11target_archE906ELNS1_3gpuE6ELNS1_3repE0EEENS1_30default_config_static_selectorELNS0_4arch9wavefront6targetE0EEEvT1_,@function
_ZN7rocprim17ROCPRIM_400000_NS6detail17trampoline_kernelINS0_14default_configENS1_27scan_by_key_config_selectorIiiEEZZNS1_16scan_by_key_implILNS1_25lookback_scan_determinismE0ELb0ES3_N6thrust23THRUST_200600_302600_NS16reverse_iteratorIPKiEESD_NSA_IPiEEiN6hipcub16HIPCUB_304000_NS3MaxENSH_8EqualityEiEE10hipError_tPvRmT2_T3_T4_T5_mT6_T7_P12ihipStream_tbENKUlT_T0_E_clISt17integral_constantIbLb0EES10_EEDaSV_SW_EUlSV_E_NS1_11comp_targetILNS1_3genE2ELNS1_11target_archE906ELNS1_3gpuE6ELNS1_3repE0EEENS1_30default_config_static_selectorELNS0_4arch9wavefront6targetE0EEEvT1_: ; @_ZN7rocprim17ROCPRIM_400000_NS6detail17trampoline_kernelINS0_14default_configENS1_27scan_by_key_config_selectorIiiEEZZNS1_16scan_by_key_implILNS1_25lookback_scan_determinismE0ELb0ES3_N6thrust23THRUST_200600_302600_NS16reverse_iteratorIPKiEESD_NSA_IPiEEiN6hipcub16HIPCUB_304000_NS3MaxENSH_8EqualityEiEE10hipError_tPvRmT2_T3_T4_T5_mT6_T7_P12ihipStream_tbENKUlT_T0_E_clISt17integral_constantIbLb0EES10_EEDaSV_SW_EUlSV_E_NS1_11comp_targetILNS1_3genE2ELNS1_11target_archE906ELNS1_3gpuE6ELNS1_3repE0EEENS1_30default_config_static_selectorELNS0_4arch9wavefront6targetE0EEEvT1_
; %bb.0:
	.section	.rodata,"a",@progbits
	.p2align	6, 0x0
	.amdhsa_kernel _ZN7rocprim17ROCPRIM_400000_NS6detail17trampoline_kernelINS0_14default_configENS1_27scan_by_key_config_selectorIiiEEZZNS1_16scan_by_key_implILNS1_25lookback_scan_determinismE0ELb0ES3_N6thrust23THRUST_200600_302600_NS16reverse_iteratorIPKiEESD_NSA_IPiEEiN6hipcub16HIPCUB_304000_NS3MaxENSH_8EqualityEiEE10hipError_tPvRmT2_T3_T4_T5_mT6_T7_P12ihipStream_tbENKUlT_T0_E_clISt17integral_constantIbLb0EES10_EEDaSV_SW_EUlSV_E_NS1_11comp_targetILNS1_3genE2ELNS1_11target_archE906ELNS1_3gpuE6ELNS1_3repE0EEENS1_30default_config_static_selectorELNS0_4arch9wavefront6targetE0EEEvT1_
		.amdhsa_group_segment_fixed_size 0
		.amdhsa_private_segment_fixed_size 0
		.amdhsa_kernarg_size 112
		.amdhsa_user_sgpr_count 2
		.amdhsa_user_sgpr_dispatch_ptr 0
		.amdhsa_user_sgpr_queue_ptr 0
		.amdhsa_user_sgpr_kernarg_segment_ptr 1
		.amdhsa_user_sgpr_dispatch_id 0
		.amdhsa_user_sgpr_kernarg_preload_length 0
		.amdhsa_user_sgpr_kernarg_preload_offset 0
		.amdhsa_user_sgpr_private_segment_size 0
		.amdhsa_wavefront_size32 1
		.amdhsa_uses_dynamic_stack 0
		.amdhsa_enable_private_segment 0
		.amdhsa_system_sgpr_workgroup_id_x 1
		.amdhsa_system_sgpr_workgroup_id_y 0
		.amdhsa_system_sgpr_workgroup_id_z 0
		.amdhsa_system_sgpr_workgroup_info 0
		.amdhsa_system_vgpr_workitem_id 0
		.amdhsa_next_free_vgpr 1
		.amdhsa_next_free_sgpr 1
		.amdhsa_named_barrier_count 0
		.amdhsa_reserve_vcc 0
		.amdhsa_float_round_mode_32 0
		.amdhsa_float_round_mode_16_64 0
		.amdhsa_float_denorm_mode_32 3
		.amdhsa_float_denorm_mode_16_64 3
		.amdhsa_fp16_overflow 0
		.amdhsa_memory_ordered 1
		.amdhsa_forward_progress 1
		.amdhsa_inst_pref_size 0
		.amdhsa_round_robin_scheduling 0
		.amdhsa_exception_fp_ieee_invalid_op 0
		.amdhsa_exception_fp_denorm_src 0
		.amdhsa_exception_fp_ieee_div_zero 0
		.amdhsa_exception_fp_ieee_overflow 0
		.amdhsa_exception_fp_ieee_underflow 0
		.amdhsa_exception_fp_ieee_inexact 0
		.amdhsa_exception_int_div_zero 0
	.end_amdhsa_kernel
	.section	.text._ZN7rocprim17ROCPRIM_400000_NS6detail17trampoline_kernelINS0_14default_configENS1_27scan_by_key_config_selectorIiiEEZZNS1_16scan_by_key_implILNS1_25lookback_scan_determinismE0ELb0ES3_N6thrust23THRUST_200600_302600_NS16reverse_iteratorIPKiEESD_NSA_IPiEEiN6hipcub16HIPCUB_304000_NS3MaxENSH_8EqualityEiEE10hipError_tPvRmT2_T3_T4_T5_mT6_T7_P12ihipStream_tbENKUlT_T0_E_clISt17integral_constantIbLb0EES10_EEDaSV_SW_EUlSV_E_NS1_11comp_targetILNS1_3genE2ELNS1_11target_archE906ELNS1_3gpuE6ELNS1_3repE0EEENS1_30default_config_static_selectorELNS0_4arch9wavefront6targetE0EEEvT1_,"axG",@progbits,_ZN7rocprim17ROCPRIM_400000_NS6detail17trampoline_kernelINS0_14default_configENS1_27scan_by_key_config_selectorIiiEEZZNS1_16scan_by_key_implILNS1_25lookback_scan_determinismE0ELb0ES3_N6thrust23THRUST_200600_302600_NS16reverse_iteratorIPKiEESD_NSA_IPiEEiN6hipcub16HIPCUB_304000_NS3MaxENSH_8EqualityEiEE10hipError_tPvRmT2_T3_T4_T5_mT6_T7_P12ihipStream_tbENKUlT_T0_E_clISt17integral_constantIbLb0EES10_EEDaSV_SW_EUlSV_E_NS1_11comp_targetILNS1_3genE2ELNS1_11target_archE906ELNS1_3gpuE6ELNS1_3repE0EEENS1_30default_config_static_selectorELNS0_4arch9wavefront6targetE0EEEvT1_,comdat
.Lfunc_end58:
	.size	_ZN7rocprim17ROCPRIM_400000_NS6detail17trampoline_kernelINS0_14default_configENS1_27scan_by_key_config_selectorIiiEEZZNS1_16scan_by_key_implILNS1_25lookback_scan_determinismE0ELb0ES3_N6thrust23THRUST_200600_302600_NS16reverse_iteratorIPKiEESD_NSA_IPiEEiN6hipcub16HIPCUB_304000_NS3MaxENSH_8EqualityEiEE10hipError_tPvRmT2_T3_T4_T5_mT6_T7_P12ihipStream_tbENKUlT_T0_E_clISt17integral_constantIbLb0EES10_EEDaSV_SW_EUlSV_E_NS1_11comp_targetILNS1_3genE2ELNS1_11target_archE906ELNS1_3gpuE6ELNS1_3repE0EEENS1_30default_config_static_selectorELNS0_4arch9wavefront6targetE0EEEvT1_, .Lfunc_end58-_ZN7rocprim17ROCPRIM_400000_NS6detail17trampoline_kernelINS0_14default_configENS1_27scan_by_key_config_selectorIiiEEZZNS1_16scan_by_key_implILNS1_25lookback_scan_determinismE0ELb0ES3_N6thrust23THRUST_200600_302600_NS16reverse_iteratorIPKiEESD_NSA_IPiEEiN6hipcub16HIPCUB_304000_NS3MaxENSH_8EqualityEiEE10hipError_tPvRmT2_T3_T4_T5_mT6_T7_P12ihipStream_tbENKUlT_T0_E_clISt17integral_constantIbLb0EES10_EEDaSV_SW_EUlSV_E_NS1_11comp_targetILNS1_3genE2ELNS1_11target_archE906ELNS1_3gpuE6ELNS1_3repE0EEENS1_30default_config_static_selectorELNS0_4arch9wavefront6targetE0EEEvT1_
                                        ; -- End function
	.set _ZN7rocprim17ROCPRIM_400000_NS6detail17trampoline_kernelINS0_14default_configENS1_27scan_by_key_config_selectorIiiEEZZNS1_16scan_by_key_implILNS1_25lookback_scan_determinismE0ELb0ES3_N6thrust23THRUST_200600_302600_NS16reverse_iteratorIPKiEESD_NSA_IPiEEiN6hipcub16HIPCUB_304000_NS3MaxENSH_8EqualityEiEE10hipError_tPvRmT2_T3_T4_T5_mT6_T7_P12ihipStream_tbENKUlT_T0_E_clISt17integral_constantIbLb0EES10_EEDaSV_SW_EUlSV_E_NS1_11comp_targetILNS1_3genE2ELNS1_11target_archE906ELNS1_3gpuE6ELNS1_3repE0EEENS1_30default_config_static_selectorELNS0_4arch9wavefront6targetE0EEEvT1_.num_vgpr, 0
	.set _ZN7rocprim17ROCPRIM_400000_NS6detail17trampoline_kernelINS0_14default_configENS1_27scan_by_key_config_selectorIiiEEZZNS1_16scan_by_key_implILNS1_25lookback_scan_determinismE0ELb0ES3_N6thrust23THRUST_200600_302600_NS16reverse_iteratorIPKiEESD_NSA_IPiEEiN6hipcub16HIPCUB_304000_NS3MaxENSH_8EqualityEiEE10hipError_tPvRmT2_T3_T4_T5_mT6_T7_P12ihipStream_tbENKUlT_T0_E_clISt17integral_constantIbLb0EES10_EEDaSV_SW_EUlSV_E_NS1_11comp_targetILNS1_3genE2ELNS1_11target_archE906ELNS1_3gpuE6ELNS1_3repE0EEENS1_30default_config_static_selectorELNS0_4arch9wavefront6targetE0EEEvT1_.num_agpr, 0
	.set _ZN7rocprim17ROCPRIM_400000_NS6detail17trampoline_kernelINS0_14default_configENS1_27scan_by_key_config_selectorIiiEEZZNS1_16scan_by_key_implILNS1_25lookback_scan_determinismE0ELb0ES3_N6thrust23THRUST_200600_302600_NS16reverse_iteratorIPKiEESD_NSA_IPiEEiN6hipcub16HIPCUB_304000_NS3MaxENSH_8EqualityEiEE10hipError_tPvRmT2_T3_T4_T5_mT6_T7_P12ihipStream_tbENKUlT_T0_E_clISt17integral_constantIbLb0EES10_EEDaSV_SW_EUlSV_E_NS1_11comp_targetILNS1_3genE2ELNS1_11target_archE906ELNS1_3gpuE6ELNS1_3repE0EEENS1_30default_config_static_selectorELNS0_4arch9wavefront6targetE0EEEvT1_.numbered_sgpr, 0
	.set _ZN7rocprim17ROCPRIM_400000_NS6detail17trampoline_kernelINS0_14default_configENS1_27scan_by_key_config_selectorIiiEEZZNS1_16scan_by_key_implILNS1_25lookback_scan_determinismE0ELb0ES3_N6thrust23THRUST_200600_302600_NS16reverse_iteratorIPKiEESD_NSA_IPiEEiN6hipcub16HIPCUB_304000_NS3MaxENSH_8EqualityEiEE10hipError_tPvRmT2_T3_T4_T5_mT6_T7_P12ihipStream_tbENKUlT_T0_E_clISt17integral_constantIbLb0EES10_EEDaSV_SW_EUlSV_E_NS1_11comp_targetILNS1_3genE2ELNS1_11target_archE906ELNS1_3gpuE6ELNS1_3repE0EEENS1_30default_config_static_selectorELNS0_4arch9wavefront6targetE0EEEvT1_.num_named_barrier, 0
	.set _ZN7rocprim17ROCPRIM_400000_NS6detail17trampoline_kernelINS0_14default_configENS1_27scan_by_key_config_selectorIiiEEZZNS1_16scan_by_key_implILNS1_25lookback_scan_determinismE0ELb0ES3_N6thrust23THRUST_200600_302600_NS16reverse_iteratorIPKiEESD_NSA_IPiEEiN6hipcub16HIPCUB_304000_NS3MaxENSH_8EqualityEiEE10hipError_tPvRmT2_T3_T4_T5_mT6_T7_P12ihipStream_tbENKUlT_T0_E_clISt17integral_constantIbLb0EES10_EEDaSV_SW_EUlSV_E_NS1_11comp_targetILNS1_3genE2ELNS1_11target_archE906ELNS1_3gpuE6ELNS1_3repE0EEENS1_30default_config_static_selectorELNS0_4arch9wavefront6targetE0EEEvT1_.private_seg_size, 0
	.set _ZN7rocprim17ROCPRIM_400000_NS6detail17trampoline_kernelINS0_14default_configENS1_27scan_by_key_config_selectorIiiEEZZNS1_16scan_by_key_implILNS1_25lookback_scan_determinismE0ELb0ES3_N6thrust23THRUST_200600_302600_NS16reverse_iteratorIPKiEESD_NSA_IPiEEiN6hipcub16HIPCUB_304000_NS3MaxENSH_8EqualityEiEE10hipError_tPvRmT2_T3_T4_T5_mT6_T7_P12ihipStream_tbENKUlT_T0_E_clISt17integral_constantIbLb0EES10_EEDaSV_SW_EUlSV_E_NS1_11comp_targetILNS1_3genE2ELNS1_11target_archE906ELNS1_3gpuE6ELNS1_3repE0EEENS1_30default_config_static_selectorELNS0_4arch9wavefront6targetE0EEEvT1_.uses_vcc, 0
	.set _ZN7rocprim17ROCPRIM_400000_NS6detail17trampoline_kernelINS0_14default_configENS1_27scan_by_key_config_selectorIiiEEZZNS1_16scan_by_key_implILNS1_25lookback_scan_determinismE0ELb0ES3_N6thrust23THRUST_200600_302600_NS16reverse_iteratorIPKiEESD_NSA_IPiEEiN6hipcub16HIPCUB_304000_NS3MaxENSH_8EqualityEiEE10hipError_tPvRmT2_T3_T4_T5_mT6_T7_P12ihipStream_tbENKUlT_T0_E_clISt17integral_constantIbLb0EES10_EEDaSV_SW_EUlSV_E_NS1_11comp_targetILNS1_3genE2ELNS1_11target_archE906ELNS1_3gpuE6ELNS1_3repE0EEENS1_30default_config_static_selectorELNS0_4arch9wavefront6targetE0EEEvT1_.uses_flat_scratch, 0
	.set _ZN7rocprim17ROCPRIM_400000_NS6detail17trampoline_kernelINS0_14default_configENS1_27scan_by_key_config_selectorIiiEEZZNS1_16scan_by_key_implILNS1_25lookback_scan_determinismE0ELb0ES3_N6thrust23THRUST_200600_302600_NS16reverse_iteratorIPKiEESD_NSA_IPiEEiN6hipcub16HIPCUB_304000_NS3MaxENSH_8EqualityEiEE10hipError_tPvRmT2_T3_T4_T5_mT6_T7_P12ihipStream_tbENKUlT_T0_E_clISt17integral_constantIbLb0EES10_EEDaSV_SW_EUlSV_E_NS1_11comp_targetILNS1_3genE2ELNS1_11target_archE906ELNS1_3gpuE6ELNS1_3repE0EEENS1_30default_config_static_selectorELNS0_4arch9wavefront6targetE0EEEvT1_.has_dyn_sized_stack, 0
	.set _ZN7rocprim17ROCPRIM_400000_NS6detail17trampoline_kernelINS0_14default_configENS1_27scan_by_key_config_selectorIiiEEZZNS1_16scan_by_key_implILNS1_25lookback_scan_determinismE0ELb0ES3_N6thrust23THRUST_200600_302600_NS16reverse_iteratorIPKiEESD_NSA_IPiEEiN6hipcub16HIPCUB_304000_NS3MaxENSH_8EqualityEiEE10hipError_tPvRmT2_T3_T4_T5_mT6_T7_P12ihipStream_tbENKUlT_T0_E_clISt17integral_constantIbLb0EES10_EEDaSV_SW_EUlSV_E_NS1_11comp_targetILNS1_3genE2ELNS1_11target_archE906ELNS1_3gpuE6ELNS1_3repE0EEENS1_30default_config_static_selectorELNS0_4arch9wavefront6targetE0EEEvT1_.has_recursion, 0
	.set _ZN7rocprim17ROCPRIM_400000_NS6detail17trampoline_kernelINS0_14default_configENS1_27scan_by_key_config_selectorIiiEEZZNS1_16scan_by_key_implILNS1_25lookback_scan_determinismE0ELb0ES3_N6thrust23THRUST_200600_302600_NS16reverse_iteratorIPKiEESD_NSA_IPiEEiN6hipcub16HIPCUB_304000_NS3MaxENSH_8EqualityEiEE10hipError_tPvRmT2_T3_T4_T5_mT6_T7_P12ihipStream_tbENKUlT_T0_E_clISt17integral_constantIbLb0EES10_EEDaSV_SW_EUlSV_E_NS1_11comp_targetILNS1_3genE2ELNS1_11target_archE906ELNS1_3gpuE6ELNS1_3repE0EEENS1_30default_config_static_selectorELNS0_4arch9wavefront6targetE0EEEvT1_.has_indirect_call, 0
	.section	.AMDGPU.csdata,"",@progbits
; Kernel info:
; codeLenInByte = 0
; TotalNumSgprs: 0
; NumVgprs: 0
; ScratchSize: 0
; MemoryBound: 0
; FloatMode: 240
; IeeeMode: 1
; LDSByteSize: 0 bytes/workgroup (compile time only)
; SGPRBlocks: 0
; VGPRBlocks: 0
; NumSGPRsForWavesPerEU: 1
; NumVGPRsForWavesPerEU: 1
; NamedBarCnt: 0
; Occupancy: 16
; WaveLimiterHint : 0
; COMPUTE_PGM_RSRC2:SCRATCH_EN: 0
; COMPUTE_PGM_RSRC2:USER_SGPR: 2
; COMPUTE_PGM_RSRC2:TRAP_HANDLER: 0
; COMPUTE_PGM_RSRC2:TGID_X_EN: 1
; COMPUTE_PGM_RSRC2:TGID_Y_EN: 0
; COMPUTE_PGM_RSRC2:TGID_Z_EN: 0
; COMPUTE_PGM_RSRC2:TIDIG_COMP_CNT: 0
	.section	.text._ZN7rocprim17ROCPRIM_400000_NS6detail17trampoline_kernelINS0_14default_configENS1_27scan_by_key_config_selectorIiiEEZZNS1_16scan_by_key_implILNS1_25lookback_scan_determinismE0ELb0ES3_N6thrust23THRUST_200600_302600_NS16reverse_iteratorIPKiEESD_NSA_IPiEEiN6hipcub16HIPCUB_304000_NS3MaxENSH_8EqualityEiEE10hipError_tPvRmT2_T3_T4_T5_mT6_T7_P12ihipStream_tbENKUlT_T0_E_clISt17integral_constantIbLb0EES10_EEDaSV_SW_EUlSV_E_NS1_11comp_targetILNS1_3genE10ELNS1_11target_archE1200ELNS1_3gpuE4ELNS1_3repE0EEENS1_30default_config_static_selectorELNS0_4arch9wavefront6targetE0EEEvT1_,"axG",@progbits,_ZN7rocprim17ROCPRIM_400000_NS6detail17trampoline_kernelINS0_14default_configENS1_27scan_by_key_config_selectorIiiEEZZNS1_16scan_by_key_implILNS1_25lookback_scan_determinismE0ELb0ES3_N6thrust23THRUST_200600_302600_NS16reverse_iteratorIPKiEESD_NSA_IPiEEiN6hipcub16HIPCUB_304000_NS3MaxENSH_8EqualityEiEE10hipError_tPvRmT2_T3_T4_T5_mT6_T7_P12ihipStream_tbENKUlT_T0_E_clISt17integral_constantIbLb0EES10_EEDaSV_SW_EUlSV_E_NS1_11comp_targetILNS1_3genE10ELNS1_11target_archE1200ELNS1_3gpuE4ELNS1_3repE0EEENS1_30default_config_static_selectorELNS0_4arch9wavefront6targetE0EEEvT1_,comdat
	.protected	_ZN7rocprim17ROCPRIM_400000_NS6detail17trampoline_kernelINS0_14default_configENS1_27scan_by_key_config_selectorIiiEEZZNS1_16scan_by_key_implILNS1_25lookback_scan_determinismE0ELb0ES3_N6thrust23THRUST_200600_302600_NS16reverse_iteratorIPKiEESD_NSA_IPiEEiN6hipcub16HIPCUB_304000_NS3MaxENSH_8EqualityEiEE10hipError_tPvRmT2_T3_T4_T5_mT6_T7_P12ihipStream_tbENKUlT_T0_E_clISt17integral_constantIbLb0EES10_EEDaSV_SW_EUlSV_E_NS1_11comp_targetILNS1_3genE10ELNS1_11target_archE1200ELNS1_3gpuE4ELNS1_3repE0EEENS1_30default_config_static_selectorELNS0_4arch9wavefront6targetE0EEEvT1_ ; -- Begin function _ZN7rocprim17ROCPRIM_400000_NS6detail17trampoline_kernelINS0_14default_configENS1_27scan_by_key_config_selectorIiiEEZZNS1_16scan_by_key_implILNS1_25lookback_scan_determinismE0ELb0ES3_N6thrust23THRUST_200600_302600_NS16reverse_iteratorIPKiEESD_NSA_IPiEEiN6hipcub16HIPCUB_304000_NS3MaxENSH_8EqualityEiEE10hipError_tPvRmT2_T3_T4_T5_mT6_T7_P12ihipStream_tbENKUlT_T0_E_clISt17integral_constantIbLb0EES10_EEDaSV_SW_EUlSV_E_NS1_11comp_targetILNS1_3genE10ELNS1_11target_archE1200ELNS1_3gpuE4ELNS1_3repE0EEENS1_30default_config_static_selectorELNS0_4arch9wavefront6targetE0EEEvT1_
	.globl	_ZN7rocprim17ROCPRIM_400000_NS6detail17trampoline_kernelINS0_14default_configENS1_27scan_by_key_config_selectorIiiEEZZNS1_16scan_by_key_implILNS1_25lookback_scan_determinismE0ELb0ES3_N6thrust23THRUST_200600_302600_NS16reverse_iteratorIPKiEESD_NSA_IPiEEiN6hipcub16HIPCUB_304000_NS3MaxENSH_8EqualityEiEE10hipError_tPvRmT2_T3_T4_T5_mT6_T7_P12ihipStream_tbENKUlT_T0_E_clISt17integral_constantIbLb0EES10_EEDaSV_SW_EUlSV_E_NS1_11comp_targetILNS1_3genE10ELNS1_11target_archE1200ELNS1_3gpuE4ELNS1_3repE0EEENS1_30default_config_static_selectorELNS0_4arch9wavefront6targetE0EEEvT1_
	.p2align	8
	.type	_ZN7rocprim17ROCPRIM_400000_NS6detail17trampoline_kernelINS0_14default_configENS1_27scan_by_key_config_selectorIiiEEZZNS1_16scan_by_key_implILNS1_25lookback_scan_determinismE0ELb0ES3_N6thrust23THRUST_200600_302600_NS16reverse_iteratorIPKiEESD_NSA_IPiEEiN6hipcub16HIPCUB_304000_NS3MaxENSH_8EqualityEiEE10hipError_tPvRmT2_T3_T4_T5_mT6_T7_P12ihipStream_tbENKUlT_T0_E_clISt17integral_constantIbLb0EES10_EEDaSV_SW_EUlSV_E_NS1_11comp_targetILNS1_3genE10ELNS1_11target_archE1200ELNS1_3gpuE4ELNS1_3repE0EEENS1_30default_config_static_selectorELNS0_4arch9wavefront6targetE0EEEvT1_,@function
_ZN7rocprim17ROCPRIM_400000_NS6detail17trampoline_kernelINS0_14default_configENS1_27scan_by_key_config_selectorIiiEEZZNS1_16scan_by_key_implILNS1_25lookback_scan_determinismE0ELb0ES3_N6thrust23THRUST_200600_302600_NS16reverse_iteratorIPKiEESD_NSA_IPiEEiN6hipcub16HIPCUB_304000_NS3MaxENSH_8EqualityEiEE10hipError_tPvRmT2_T3_T4_T5_mT6_T7_P12ihipStream_tbENKUlT_T0_E_clISt17integral_constantIbLb0EES10_EEDaSV_SW_EUlSV_E_NS1_11comp_targetILNS1_3genE10ELNS1_11target_archE1200ELNS1_3gpuE4ELNS1_3repE0EEENS1_30default_config_static_selectorELNS0_4arch9wavefront6targetE0EEEvT1_: ; @_ZN7rocprim17ROCPRIM_400000_NS6detail17trampoline_kernelINS0_14default_configENS1_27scan_by_key_config_selectorIiiEEZZNS1_16scan_by_key_implILNS1_25lookback_scan_determinismE0ELb0ES3_N6thrust23THRUST_200600_302600_NS16reverse_iteratorIPKiEESD_NSA_IPiEEiN6hipcub16HIPCUB_304000_NS3MaxENSH_8EqualityEiEE10hipError_tPvRmT2_T3_T4_T5_mT6_T7_P12ihipStream_tbENKUlT_T0_E_clISt17integral_constantIbLb0EES10_EEDaSV_SW_EUlSV_E_NS1_11comp_targetILNS1_3genE10ELNS1_11target_archE1200ELNS1_3gpuE4ELNS1_3repE0EEENS1_30default_config_static_selectorELNS0_4arch9wavefront6targetE0EEEvT1_
; %bb.0:
	.section	.rodata,"a",@progbits
	.p2align	6, 0x0
	.amdhsa_kernel _ZN7rocprim17ROCPRIM_400000_NS6detail17trampoline_kernelINS0_14default_configENS1_27scan_by_key_config_selectorIiiEEZZNS1_16scan_by_key_implILNS1_25lookback_scan_determinismE0ELb0ES3_N6thrust23THRUST_200600_302600_NS16reverse_iteratorIPKiEESD_NSA_IPiEEiN6hipcub16HIPCUB_304000_NS3MaxENSH_8EqualityEiEE10hipError_tPvRmT2_T3_T4_T5_mT6_T7_P12ihipStream_tbENKUlT_T0_E_clISt17integral_constantIbLb0EES10_EEDaSV_SW_EUlSV_E_NS1_11comp_targetILNS1_3genE10ELNS1_11target_archE1200ELNS1_3gpuE4ELNS1_3repE0EEENS1_30default_config_static_selectorELNS0_4arch9wavefront6targetE0EEEvT1_
		.amdhsa_group_segment_fixed_size 0
		.amdhsa_private_segment_fixed_size 0
		.amdhsa_kernarg_size 112
		.amdhsa_user_sgpr_count 2
		.amdhsa_user_sgpr_dispatch_ptr 0
		.amdhsa_user_sgpr_queue_ptr 0
		.amdhsa_user_sgpr_kernarg_segment_ptr 1
		.amdhsa_user_sgpr_dispatch_id 0
		.amdhsa_user_sgpr_kernarg_preload_length 0
		.amdhsa_user_sgpr_kernarg_preload_offset 0
		.amdhsa_user_sgpr_private_segment_size 0
		.amdhsa_wavefront_size32 1
		.amdhsa_uses_dynamic_stack 0
		.amdhsa_enable_private_segment 0
		.amdhsa_system_sgpr_workgroup_id_x 1
		.amdhsa_system_sgpr_workgroup_id_y 0
		.amdhsa_system_sgpr_workgroup_id_z 0
		.amdhsa_system_sgpr_workgroup_info 0
		.amdhsa_system_vgpr_workitem_id 0
		.amdhsa_next_free_vgpr 1
		.amdhsa_next_free_sgpr 1
		.amdhsa_named_barrier_count 0
		.amdhsa_reserve_vcc 0
		.amdhsa_float_round_mode_32 0
		.amdhsa_float_round_mode_16_64 0
		.amdhsa_float_denorm_mode_32 3
		.amdhsa_float_denorm_mode_16_64 3
		.amdhsa_fp16_overflow 0
		.amdhsa_memory_ordered 1
		.amdhsa_forward_progress 1
		.amdhsa_inst_pref_size 0
		.amdhsa_round_robin_scheduling 0
		.amdhsa_exception_fp_ieee_invalid_op 0
		.amdhsa_exception_fp_denorm_src 0
		.amdhsa_exception_fp_ieee_div_zero 0
		.amdhsa_exception_fp_ieee_overflow 0
		.amdhsa_exception_fp_ieee_underflow 0
		.amdhsa_exception_fp_ieee_inexact 0
		.amdhsa_exception_int_div_zero 0
	.end_amdhsa_kernel
	.section	.text._ZN7rocprim17ROCPRIM_400000_NS6detail17trampoline_kernelINS0_14default_configENS1_27scan_by_key_config_selectorIiiEEZZNS1_16scan_by_key_implILNS1_25lookback_scan_determinismE0ELb0ES3_N6thrust23THRUST_200600_302600_NS16reverse_iteratorIPKiEESD_NSA_IPiEEiN6hipcub16HIPCUB_304000_NS3MaxENSH_8EqualityEiEE10hipError_tPvRmT2_T3_T4_T5_mT6_T7_P12ihipStream_tbENKUlT_T0_E_clISt17integral_constantIbLb0EES10_EEDaSV_SW_EUlSV_E_NS1_11comp_targetILNS1_3genE10ELNS1_11target_archE1200ELNS1_3gpuE4ELNS1_3repE0EEENS1_30default_config_static_selectorELNS0_4arch9wavefront6targetE0EEEvT1_,"axG",@progbits,_ZN7rocprim17ROCPRIM_400000_NS6detail17trampoline_kernelINS0_14default_configENS1_27scan_by_key_config_selectorIiiEEZZNS1_16scan_by_key_implILNS1_25lookback_scan_determinismE0ELb0ES3_N6thrust23THRUST_200600_302600_NS16reverse_iteratorIPKiEESD_NSA_IPiEEiN6hipcub16HIPCUB_304000_NS3MaxENSH_8EqualityEiEE10hipError_tPvRmT2_T3_T4_T5_mT6_T7_P12ihipStream_tbENKUlT_T0_E_clISt17integral_constantIbLb0EES10_EEDaSV_SW_EUlSV_E_NS1_11comp_targetILNS1_3genE10ELNS1_11target_archE1200ELNS1_3gpuE4ELNS1_3repE0EEENS1_30default_config_static_selectorELNS0_4arch9wavefront6targetE0EEEvT1_,comdat
.Lfunc_end59:
	.size	_ZN7rocprim17ROCPRIM_400000_NS6detail17trampoline_kernelINS0_14default_configENS1_27scan_by_key_config_selectorIiiEEZZNS1_16scan_by_key_implILNS1_25lookback_scan_determinismE0ELb0ES3_N6thrust23THRUST_200600_302600_NS16reverse_iteratorIPKiEESD_NSA_IPiEEiN6hipcub16HIPCUB_304000_NS3MaxENSH_8EqualityEiEE10hipError_tPvRmT2_T3_T4_T5_mT6_T7_P12ihipStream_tbENKUlT_T0_E_clISt17integral_constantIbLb0EES10_EEDaSV_SW_EUlSV_E_NS1_11comp_targetILNS1_3genE10ELNS1_11target_archE1200ELNS1_3gpuE4ELNS1_3repE0EEENS1_30default_config_static_selectorELNS0_4arch9wavefront6targetE0EEEvT1_, .Lfunc_end59-_ZN7rocprim17ROCPRIM_400000_NS6detail17trampoline_kernelINS0_14default_configENS1_27scan_by_key_config_selectorIiiEEZZNS1_16scan_by_key_implILNS1_25lookback_scan_determinismE0ELb0ES3_N6thrust23THRUST_200600_302600_NS16reverse_iteratorIPKiEESD_NSA_IPiEEiN6hipcub16HIPCUB_304000_NS3MaxENSH_8EqualityEiEE10hipError_tPvRmT2_T3_T4_T5_mT6_T7_P12ihipStream_tbENKUlT_T0_E_clISt17integral_constantIbLb0EES10_EEDaSV_SW_EUlSV_E_NS1_11comp_targetILNS1_3genE10ELNS1_11target_archE1200ELNS1_3gpuE4ELNS1_3repE0EEENS1_30default_config_static_selectorELNS0_4arch9wavefront6targetE0EEEvT1_
                                        ; -- End function
	.set _ZN7rocprim17ROCPRIM_400000_NS6detail17trampoline_kernelINS0_14default_configENS1_27scan_by_key_config_selectorIiiEEZZNS1_16scan_by_key_implILNS1_25lookback_scan_determinismE0ELb0ES3_N6thrust23THRUST_200600_302600_NS16reverse_iteratorIPKiEESD_NSA_IPiEEiN6hipcub16HIPCUB_304000_NS3MaxENSH_8EqualityEiEE10hipError_tPvRmT2_T3_T4_T5_mT6_T7_P12ihipStream_tbENKUlT_T0_E_clISt17integral_constantIbLb0EES10_EEDaSV_SW_EUlSV_E_NS1_11comp_targetILNS1_3genE10ELNS1_11target_archE1200ELNS1_3gpuE4ELNS1_3repE0EEENS1_30default_config_static_selectorELNS0_4arch9wavefront6targetE0EEEvT1_.num_vgpr, 0
	.set _ZN7rocprim17ROCPRIM_400000_NS6detail17trampoline_kernelINS0_14default_configENS1_27scan_by_key_config_selectorIiiEEZZNS1_16scan_by_key_implILNS1_25lookback_scan_determinismE0ELb0ES3_N6thrust23THRUST_200600_302600_NS16reverse_iteratorIPKiEESD_NSA_IPiEEiN6hipcub16HIPCUB_304000_NS3MaxENSH_8EqualityEiEE10hipError_tPvRmT2_T3_T4_T5_mT6_T7_P12ihipStream_tbENKUlT_T0_E_clISt17integral_constantIbLb0EES10_EEDaSV_SW_EUlSV_E_NS1_11comp_targetILNS1_3genE10ELNS1_11target_archE1200ELNS1_3gpuE4ELNS1_3repE0EEENS1_30default_config_static_selectorELNS0_4arch9wavefront6targetE0EEEvT1_.num_agpr, 0
	.set _ZN7rocprim17ROCPRIM_400000_NS6detail17trampoline_kernelINS0_14default_configENS1_27scan_by_key_config_selectorIiiEEZZNS1_16scan_by_key_implILNS1_25lookback_scan_determinismE0ELb0ES3_N6thrust23THRUST_200600_302600_NS16reverse_iteratorIPKiEESD_NSA_IPiEEiN6hipcub16HIPCUB_304000_NS3MaxENSH_8EqualityEiEE10hipError_tPvRmT2_T3_T4_T5_mT6_T7_P12ihipStream_tbENKUlT_T0_E_clISt17integral_constantIbLb0EES10_EEDaSV_SW_EUlSV_E_NS1_11comp_targetILNS1_3genE10ELNS1_11target_archE1200ELNS1_3gpuE4ELNS1_3repE0EEENS1_30default_config_static_selectorELNS0_4arch9wavefront6targetE0EEEvT1_.numbered_sgpr, 0
	.set _ZN7rocprim17ROCPRIM_400000_NS6detail17trampoline_kernelINS0_14default_configENS1_27scan_by_key_config_selectorIiiEEZZNS1_16scan_by_key_implILNS1_25lookback_scan_determinismE0ELb0ES3_N6thrust23THRUST_200600_302600_NS16reverse_iteratorIPKiEESD_NSA_IPiEEiN6hipcub16HIPCUB_304000_NS3MaxENSH_8EqualityEiEE10hipError_tPvRmT2_T3_T4_T5_mT6_T7_P12ihipStream_tbENKUlT_T0_E_clISt17integral_constantIbLb0EES10_EEDaSV_SW_EUlSV_E_NS1_11comp_targetILNS1_3genE10ELNS1_11target_archE1200ELNS1_3gpuE4ELNS1_3repE0EEENS1_30default_config_static_selectorELNS0_4arch9wavefront6targetE0EEEvT1_.num_named_barrier, 0
	.set _ZN7rocprim17ROCPRIM_400000_NS6detail17trampoline_kernelINS0_14default_configENS1_27scan_by_key_config_selectorIiiEEZZNS1_16scan_by_key_implILNS1_25lookback_scan_determinismE0ELb0ES3_N6thrust23THRUST_200600_302600_NS16reverse_iteratorIPKiEESD_NSA_IPiEEiN6hipcub16HIPCUB_304000_NS3MaxENSH_8EqualityEiEE10hipError_tPvRmT2_T3_T4_T5_mT6_T7_P12ihipStream_tbENKUlT_T0_E_clISt17integral_constantIbLb0EES10_EEDaSV_SW_EUlSV_E_NS1_11comp_targetILNS1_3genE10ELNS1_11target_archE1200ELNS1_3gpuE4ELNS1_3repE0EEENS1_30default_config_static_selectorELNS0_4arch9wavefront6targetE0EEEvT1_.private_seg_size, 0
	.set _ZN7rocprim17ROCPRIM_400000_NS6detail17trampoline_kernelINS0_14default_configENS1_27scan_by_key_config_selectorIiiEEZZNS1_16scan_by_key_implILNS1_25lookback_scan_determinismE0ELb0ES3_N6thrust23THRUST_200600_302600_NS16reverse_iteratorIPKiEESD_NSA_IPiEEiN6hipcub16HIPCUB_304000_NS3MaxENSH_8EqualityEiEE10hipError_tPvRmT2_T3_T4_T5_mT6_T7_P12ihipStream_tbENKUlT_T0_E_clISt17integral_constantIbLb0EES10_EEDaSV_SW_EUlSV_E_NS1_11comp_targetILNS1_3genE10ELNS1_11target_archE1200ELNS1_3gpuE4ELNS1_3repE0EEENS1_30default_config_static_selectorELNS0_4arch9wavefront6targetE0EEEvT1_.uses_vcc, 0
	.set _ZN7rocprim17ROCPRIM_400000_NS6detail17trampoline_kernelINS0_14default_configENS1_27scan_by_key_config_selectorIiiEEZZNS1_16scan_by_key_implILNS1_25lookback_scan_determinismE0ELb0ES3_N6thrust23THRUST_200600_302600_NS16reverse_iteratorIPKiEESD_NSA_IPiEEiN6hipcub16HIPCUB_304000_NS3MaxENSH_8EqualityEiEE10hipError_tPvRmT2_T3_T4_T5_mT6_T7_P12ihipStream_tbENKUlT_T0_E_clISt17integral_constantIbLb0EES10_EEDaSV_SW_EUlSV_E_NS1_11comp_targetILNS1_3genE10ELNS1_11target_archE1200ELNS1_3gpuE4ELNS1_3repE0EEENS1_30default_config_static_selectorELNS0_4arch9wavefront6targetE0EEEvT1_.uses_flat_scratch, 0
	.set _ZN7rocprim17ROCPRIM_400000_NS6detail17trampoline_kernelINS0_14default_configENS1_27scan_by_key_config_selectorIiiEEZZNS1_16scan_by_key_implILNS1_25lookback_scan_determinismE0ELb0ES3_N6thrust23THRUST_200600_302600_NS16reverse_iteratorIPKiEESD_NSA_IPiEEiN6hipcub16HIPCUB_304000_NS3MaxENSH_8EqualityEiEE10hipError_tPvRmT2_T3_T4_T5_mT6_T7_P12ihipStream_tbENKUlT_T0_E_clISt17integral_constantIbLb0EES10_EEDaSV_SW_EUlSV_E_NS1_11comp_targetILNS1_3genE10ELNS1_11target_archE1200ELNS1_3gpuE4ELNS1_3repE0EEENS1_30default_config_static_selectorELNS0_4arch9wavefront6targetE0EEEvT1_.has_dyn_sized_stack, 0
	.set _ZN7rocprim17ROCPRIM_400000_NS6detail17trampoline_kernelINS0_14default_configENS1_27scan_by_key_config_selectorIiiEEZZNS1_16scan_by_key_implILNS1_25lookback_scan_determinismE0ELb0ES3_N6thrust23THRUST_200600_302600_NS16reverse_iteratorIPKiEESD_NSA_IPiEEiN6hipcub16HIPCUB_304000_NS3MaxENSH_8EqualityEiEE10hipError_tPvRmT2_T3_T4_T5_mT6_T7_P12ihipStream_tbENKUlT_T0_E_clISt17integral_constantIbLb0EES10_EEDaSV_SW_EUlSV_E_NS1_11comp_targetILNS1_3genE10ELNS1_11target_archE1200ELNS1_3gpuE4ELNS1_3repE0EEENS1_30default_config_static_selectorELNS0_4arch9wavefront6targetE0EEEvT1_.has_recursion, 0
	.set _ZN7rocprim17ROCPRIM_400000_NS6detail17trampoline_kernelINS0_14default_configENS1_27scan_by_key_config_selectorIiiEEZZNS1_16scan_by_key_implILNS1_25lookback_scan_determinismE0ELb0ES3_N6thrust23THRUST_200600_302600_NS16reverse_iteratorIPKiEESD_NSA_IPiEEiN6hipcub16HIPCUB_304000_NS3MaxENSH_8EqualityEiEE10hipError_tPvRmT2_T3_T4_T5_mT6_T7_P12ihipStream_tbENKUlT_T0_E_clISt17integral_constantIbLb0EES10_EEDaSV_SW_EUlSV_E_NS1_11comp_targetILNS1_3genE10ELNS1_11target_archE1200ELNS1_3gpuE4ELNS1_3repE0EEENS1_30default_config_static_selectorELNS0_4arch9wavefront6targetE0EEEvT1_.has_indirect_call, 0
	.section	.AMDGPU.csdata,"",@progbits
; Kernel info:
; codeLenInByte = 0
; TotalNumSgprs: 0
; NumVgprs: 0
; ScratchSize: 0
; MemoryBound: 0
; FloatMode: 240
; IeeeMode: 1
; LDSByteSize: 0 bytes/workgroup (compile time only)
; SGPRBlocks: 0
; VGPRBlocks: 0
; NumSGPRsForWavesPerEU: 1
; NumVGPRsForWavesPerEU: 1
; NamedBarCnt: 0
; Occupancy: 16
; WaveLimiterHint : 0
; COMPUTE_PGM_RSRC2:SCRATCH_EN: 0
; COMPUTE_PGM_RSRC2:USER_SGPR: 2
; COMPUTE_PGM_RSRC2:TRAP_HANDLER: 0
; COMPUTE_PGM_RSRC2:TGID_X_EN: 1
; COMPUTE_PGM_RSRC2:TGID_Y_EN: 0
; COMPUTE_PGM_RSRC2:TGID_Z_EN: 0
; COMPUTE_PGM_RSRC2:TIDIG_COMP_CNT: 0
	.section	.text._ZN7rocprim17ROCPRIM_400000_NS6detail17trampoline_kernelINS0_14default_configENS1_27scan_by_key_config_selectorIiiEEZZNS1_16scan_by_key_implILNS1_25lookback_scan_determinismE0ELb0ES3_N6thrust23THRUST_200600_302600_NS16reverse_iteratorIPKiEESD_NSA_IPiEEiN6hipcub16HIPCUB_304000_NS3MaxENSH_8EqualityEiEE10hipError_tPvRmT2_T3_T4_T5_mT6_T7_P12ihipStream_tbENKUlT_T0_E_clISt17integral_constantIbLb0EES10_EEDaSV_SW_EUlSV_E_NS1_11comp_targetILNS1_3genE9ELNS1_11target_archE1100ELNS1_3gpuE3ELNS1_3repE0EEENS1_30default_config_static_selectorELNS0_4arch9wavefront6targetE0EEEvT1_,"axG",@progbits,_ZN7rocprim17ROCPRIM_400000_NS6detail17trampoline_kernelINS0_14default_configENS1_27scan_by_key_config_selectorIiiEEZZNS1_16scan_by_key_implILNS1_25lookback_scan_determinismE0ELb0ES3_N6thrust23THRUST_200600_302600_NS16reverse_iteratorIPKiEESD_NSA_IPiEEiN6hipcub16HIPCUB_304000_NS3MaxENSH_8EqualityEiEE10hipError_tPvRmT2_T3_T4_T5_mT6_T7_P12ihipStream_tbENKUlT_T0_E_clISt17integral_constantIbLb0EES10_EEDaSV_SW_EUlSV_E_NS1_11comp_targetILNS1_3genE9ELNS1_11target_archE1100ELNS1_3gpuE3ELNS1_3repE0EEENS1_30default_config_static_selectorELNS0_4arch9wavefront6targetE0EEEvT1_,comdat
	.protected	_ZN7rocprim17ROCPRIM_400000_NS6detail17trampoline_kernelINS0_14default_configENS1_27scan_by_key_config_selectorIiiEEZZNS1_16scan_by_key_implILNS1_25lookback_scan_determinismE0ELb0ES3_N6thrust23THRUST_200600_302600_NS16reverse_iteratorIPKiEESD_NSA_IPiEEiN6hipcub16HIPCUB_304000_NS3MaxENSH_8EqualityEiEE10hipError_tPvRmT2_T3_T4_T5_mT6_T7_P12ihipStream_tbENKUlT_T0_E_clISt17integral_constantIbLb0EES10_EEDaSV_SW_EUlSV_E_NS1_11comp_targetILNS1_3genE9ELNS1_11target_archE1100ELNS1_3gpuE3ELNS1_3repE0EEENS1_30default_config_static_selectorELNS0_4arch9wavefront6targetE0EEEvT1_ ; -- Begin function _ZN7rocprim17ROCPRIM_400000_NS6detail17trampoline_kernelINS0_14default_configENS1_27scan_by_key_config_selectorIiiEEZZNS1_16scan_by_key_implILNS1_25lookback_scan_determinismE0ELb0ES3_N6thrust23THRUST_200600_302600_NS16reverse_iteratorIPKiEESD_NSA_IPiEEiN6hipcub16HIPCUB_304000_NS3MaxENSH_8EqualityEiEE10hipError_tPvRmT2_T3_T4_T5_mT6_T7_P12ihipStream_tbENKUlT_T0_E_clISt17integral_constantIbLb0EES10_EEDaSV_SW_EUlSV_E_NS1_11comp_targetILNS1_3genE9ELNS1_11target_archE1100ELNS1_3gpuE3ELNS1_3repE0EEENS1_30default_config_static_selectorELNS0_4arch9wavefront6targetE0EEEvT1_
	.globl	_ZN7rocprim17ROCPRIM_400000_NS6detail17trampoline_kernelINS0_14default_configENS1_27scan_by_key_config_selectorIiiEEZZNS1_16scan_by_key_implILNS1_25lookback_scan_determinismE0ELb0ES3_N6thrust23THRUST_200600_302600_NS16reverse_iteratorIPKiEESD_NSA_IPiEEiN6hipcub16HIPCUB_304000_NS3MaxENSH_8EqualityEiEE10hipError_tPvRmT2_T3_T4_T5_mT6_T7_P12ihipStream_tbENKUlT_T0_E_clISt17integral_constantIbLb0EES10_EEDaSV_SW_EUlSV_E_NS1_11comp_targetILNS1_3genE9ELNS1_11target_archE1100ELNS1_3gpuE3ELNS1_3repE0EEENS1_30default_config_static_selectorELNS0_4arch9wavefront6targetE0EEEvT1_
	.p2align	8
	.type	_ZN7rocprim17ROCPRIM_400000_NS6detail17trampoline_kernelINS0_14default_configENS1_27scan_by_key_config_selectorIiiEEZZNS1_16scan_by_key_implILNS1_25lookback_scan_determinismE0ELb0ES3_N6thrust23THRUST_200600_302600_NS16reverse_iteratorIPKiEESD_NSA_IPiEEiN6hipcub16HIPCUB_304000_NS3MaxENSH_8EqualityEiEE10hipError_tPvRmT2_T3_T4_T5_mT6_T7_P12ihipStream_tbENKUlT_T0_E_clISt17integral_constantIbLb0EES10_EEDaSV_SW_EUlSV_E_NS1_11comp_targetILNS1_3genE9ELNS1_11target_archE1100ELNS1_3gpuE3ELNS1_3repE0EEENS1_30default_config_static_selectorELNS0_4arch9wavefront6targetE0EEEvT1_,@function
_ZN7rocprim17ROCPRIM_400000_NS6detail17trampoline_kernelINS0_14default_configENS1_27scan_by_key_config_selectorIiiEEZZNS1_16scan_by_key_implILNS1_25lookback_scan_determinismE0ELb0ES3_N6thrust23THRUST_200600_302600_NS16reverse_iteratorIPKiEESD_NSA_IPiEEiN6hipcub16HIPCUB_304000_NS3MaxENSH_8EqualityEiEE10hipError_tPvRmT2_T3_T4_T5_mT6_T7_P12ihipStream_tbENKUlT_T0_E_clISt17integral_constantIbLb0EES10_EEDaSV_SW_EUlSV_E_NS1_11comp_targetILNS1_3genE9ELNS1_11target_archE1100ELNS1_3gpuE3ELNS1_3repE0EEENS1_30default_config_static_selectorELNS0_4arch9wavefront6targetE0EEEvT1_: ; @_ZN7rocprim17ROCPRIM_400000_NS6detail17trampoline_kernelINS0_14default_configENS1_27scan_by_key_config_selectorIiiEEZZNS1_16scan_by_key_implILNS1_25lookback_scan_determinismE0ELb0ES3_N6thrust23THRUST_200600_302600_NS16reverse_iteratorIPKiEESD_NSA_IPiEEiN6hipcub16HIPCUB_304000_NS3MaxENSH_8EqualityEiEE10hipError_tPvRmT2_T3_T4_T5_mT6_T7_P12ihipStream_tbENKUlT_T0_E_clISt17integral_constantIbLb0EES10_EEDaSV_SW_EUlSV_E_NS1_11comp_targetILNS1_3genE9ELNS1_11target_archE1100ELNS1_3gpuE3ELNS1_3repE0EEENS1_30default_config_static_selectorELNS0_4arch9wavefront6targetE0EEEvT1_
; %bb.0:
	.section	.rodata,"a",@progbits
	.p2align	6, 0x0
	.amdhsa_kernel _ZN7rocprim17ROCPRIM_400000_NS6detail17trampoline_kernelINS0_14default_configENS1_27scan_by_key_config_selectorIiiEEZZNS1_16scan_by_key_implILNS1_25lookback_scan_determinismE0ELb0ES3_N6thrust23THRUST_200600_302600_NS16reverse_iteratorIPKiEESD_NSA_IPiEEiN6hipcub16HIPCUB_304000_NS3MaxENSH_8EqualityEiEE10hipError_tPvRmT2_T3_T4_T5_mT6_T7_P12ihipStream_tbENKUlT_T0_E_clISt17integral_constantIbLb0EES10_EEDaSV_SW_EUlSV_E_NS1_11comp_targetILNS1_3genE9ELNS1_11target_archE1100ELNS1_3gpuE3ELNS1_3repE0EEENS1_30default_config_static_selectorELNS0_4arch9wavefront6targetE0EEEvT1_
		.amdhsa_group_segment_fixed_size 0
		.amdhsa_private_segment_fixed_size 0
		.amdhsa_kernarg_size 112
		.amdhsa_user_sgpr_count 2
		.amdhsa_user_sgpr_dispatch_ptr 0
		.amdhsa_user_sgpr_queue_ptr 0
		.amdhsa_user_sgpr_kernarg_segment_ptr 1
		.amdhsa_user_sgpr_dispatch_id 0
		.amdhsa_user_sgpr_kernarg_preload_length 0
		.amdhsa_user_sgpr_kernarg_preload_offset 0
		.amdhsa_user_sgpr_private_segment_size 0
		.amdhsa_wavefront_size32 1
		.amdhsa_uses_dynamic_stack 0
		.amdhsa_enable_private_segment 0
		.amdhsa_system_sgpr_workgroup_id_x 1
		.amdhsa_system_sgpr_workgroup_id_y 0
		.amdhsa_system_sgpr_workgroup_id_z 0
		.amdhsa_system_sgpr_workgroup_info 0
		.amdhsa_system_vgpr_workitem_id 0
		.amdhsa_next_free_vgpr 1
		.amdhsa_next_free_sgpr 1
		.amdhsa_named_barrier_count 0
		.amdhsa_reserve_vcc 0
		.amdhsa_float_round_mode_32 0
		.amdhsa_float_round_mode_16_64 0
		.amdhsa_float_denorm_mode_32 3
		.amdhsa_float_denorm_mode_16_64 3
		.amdhsa_fp16_overflow 0
		.amdhsa_memory_ordered 1
		.amdhsa_forward_progress 1
		.amdhsa_inst_pref_size 0
		.amdhsa_round_robin_scheduling 0
		.amdhsa_exception_fp_ieee_invalid_op 0
		.amdhsa_exception_fp_denorm_src 0
		.amdhsa_exception_fp_ieee_div_zero 0
		.amdhsa_exception_fp_ieee_overflow 0
		.amdhsa_exception_fp_ieee_underflow 0
		.amdhsa_exception_fp_ieee_inexact 0
		.amdhsa_exception_int_div_zero 0
	.end_amdhsa_kernel
	.section	.text._ZN7rocprim17ROCPRIM_400000_NS6detail17trampoline_kernelINS0_14default_configENS1_27scan_by_key_config_selectorIiiEEZZNS1_16scan_by_key_implILNS1_25lookback_scan_determinismE0ELb0ES3_N6thrust23THRUST_200600_302600_NS16reverse_iteratorIPKiEESD_NSA_IPiEEiN6hipcub16HIPCUB_304000_NS3MaxENSH_8EqualityEiEE10hipError_tPvRmT2_T3_T4_T5_mT6_T7_P12ihipStream_tbENKUlT_T0_E_clISt17integral_constantIbLb0EES10_EEDaSV_SW_EUlSV_E_NS1_11comp_targetILNS1_3genE9ELNS1_11target_archE1100ELNS1_3gpuE3ELNS1_3repE0EEENS1_30default_config_static_selectorELNS0_4arch9wavefront6targetE0EEEvT1_,"axG",@progbits,_ZN7rocprim17ROCPRIM_400000_NS6detail17trampoline_kernelINS0_14default_configENS1_27scan_by_key_config_selectorIiiEEZZNS1_16scan_by_key_implILNS1_25lookback_scan_determinismE0ELb0ES3_N6thrust23THRUST_200600_302600_NS16reverse_iteratorIPKiEESD_NSA_IPiEEiN6hipcub16HIPCUB_304000_NS3MaxENSH_8EqualityEiEE10hipError_tPvRmT2_T3_T4_T5_mT6_T7_P12ihipStream_tbENKUlT_T0_E_clISt17integral_constantIbLb0EES10_EEDaSV_SW_EUlSV_E_NS1_11comp_targetILNS1_3genE9ELNS1_11target_archE1100ELNS1_3gpuE3ELNS1_3repE0EEENS1_30default_config_static_selectorELNS0_4arch9wavefront6targetE0EEEvT1_,comdat
.Lfunc_end60:
	.size	_ZN7rocprim17ROCPRIM_400000_NS6detail17trampoline_kernelINS0_14default_configENS1_27scan_by_key_config_selectorIiiEEZZNS1_16scan_by_key_implILNS1_25lookback_scan_determinismE0ELb0ES3_N6thrust23THRUST_200600_302600_NS16reverse_iteratorIPKiEESD_NSA_IPiEEiN6hipcub16HIPCUB_304000_NS3MaxENSH_8EqualityEiEE10hipError_tPvRmT2_T3_T4_T5_mT6_T7_P12ihipStream_tbENKUlT_T0_E_clISt17integral_constantIbLb0EES10_EEDaSV_SW_EUlSV_E_NS1_11comp_targetILNS1_3genE9ELNS1_11target_archE1100ELNS1_3gpuE3ELNS1_3repE0EEENS1_30default_config_static_selectorELNS0_4arch9wavefront6targetE0EEEvT1_, .Lfunc_end60-_ZN7rocprim17ROCPRIM_400000_NS6detail17trampoline_kernelINS0_14default_configENS1_27scan_by_key_config_selectorIiiEEZZNS1_16scan_by_key_implILNS1_25lookback_scan_determinismE0ELb0ES3_N6thrust23THRUST_200600_302600_NS16reverse_iteratorIPKiEESD_NSA_IPiEEiN6hipcub16HIPCUB_304000_NS3MaxENSH_8EqualityEiEE10hipError_tPvRmT2_T3_T4_T5_mT6_T7_P12ihipStream_tbENKUlT_T0_E_clISt17integral_constantIbLb0EES10_EEDaSV_SW_EUlSV_E_NS1_11comp_targetILNS1_3genE9ELNS1_11target_archE1100ELNS1_3gpuE3ELNS1_3repE0EEENS1_30default_config_static_selectorELNS0_4arch9wavefront6targetE0EEEvT1_
                                        ; -- End function
	.set _ZN7rocprim17ROCPRIM_400000_NS6detail17trampoline_kernelINS0_14default_configENS1_27scan_by_key_config_selectorIiiEEZZNS1_16scan_by_key_implILNS1_25lookback_scan_determinismE0ELb0ES3_N6thrust23THRUST_200600_302600_NS16reverse_iteratorIPKiEESD_NSA_IPiEEiN6hipcub16HIPCUB_304000_NS3MaxENSH_8EqualityEiEE10hipError_tPvRmT2_T3_T4_T5_mT6_T7_P12ihipStream_tbENKUlT_T0_E_clISt17integral_constantIbLb0EES10_EEDaSV_SW_EUlSV_E_NS1_11comp_targetILNS1_3genE9ELNS1_11target_archE1100ELNS1_3gpuE3ELNS1_3repE0EEENS1_30default_config_static_selectorELNS0_4arch9wavefront6targetE0EEEvT1_.num_vgpr, 0
	.set _ZN7rocprim17ROCPRIM_400000_NS6detail17trampoline_kernelINS0_14default_configENS1_27scan_by_key_config_selectorIiiEEZZNS1_16scan_by_key_implILNS1_25lookback_scan_determinismE0ELb0ES3_N6thrust23THRUST_200600_302600_NS16reverse_iteratorIPKiEESD_NSA_IPiEEiN6hipcub16HIPCUB_304000_NS3MaxENSH_8EqualityEiEE10hipError_tPvRmT2_T3_T4_T5_mT6_T7_P12ihipStream_tbENKUlT_T0_E_clISt17integral_constantIbLb0EES10_EEDaSV_SW_EUlSV_E_NS1_11comp_targetILNS1_3genE9ELNS1_11target_archE1100ELNS1_3gpuE3ELNS1_3repE0EEENS1_30default_config_static_selectorELNS0_4arch9wavefront6targetE0EEEvT1_.num_agpr, 0
	.set _ZN7rocprim17ROCPRIM_400000_NS6detail17trampoline_kernelINS0_14default_configENS1_27scan_by_key_config_selectorIiiEEZZNS1_16scan_by_key_implILNS1_25lookback_scan_determinismE0ELb0ES3_N6thrust23THRUST_200600_302600_NS16reverse_iteratorIPKiEESD_NSA_IPiEEiN6hipcub16HIPCUB_304000_NS3MaxENSH_8EqualityEiEE10hipError_tPvRmT2_T3_T4_T5_mT6_T7_P12ihipStream_tbENKUlT_T0_E_clISt17integral_constantIbLb0EES10_EEDaSV_SW_EUlSV_E_NS1_11comp_targetILNS1_3genE9ELNS1_11target_archE1100ELNS1_3gpuE3ELNS1_3repE0EEENS1_30default_config_static_selectorELNS0_4arch9wavefront6targetE0EEEvT1_.numbered_sgpr, 0
	.set _ZN7rocprim17ROCPRIM_400000_NS6detail17trampoline_kernelINS0_14default_configENS1_27scan_by_key_config_selectorIiiEEZZNS1_16scan_by_key_implILNS1_25lookback_scan_determinismE0ELb0ES3_N6thrust23THRUST_200600_302600_NS16reverse_iteratorIPKiEESD_NSA_IPiEEiN6hipcub16HIPCUB_304000_NS3MaxENSH_8EqualityEiEE10hipError_tPvRmT2_T3_T4_T5_mT6_T7_P12ihipStream_tbENKUlT_T0_E_clISt17integral_constantIbLb0EES10_EEDaSV_SW_EUlSV_E_NS1_11comp_targetILNS1_3genE9ELNS1_11target_archE1100ELNS1_3gpuE3ELNS1_3repE0EEENS1_30default_config_static_selectorELNS0_4arch9wavefront6targetE0EEEvT1_.num_named_barrier, 0
	.set _ZN7rocprim17ROCPRIM_400000_NS6detail17trampoline_kernelINS0_14default_configENS1_27scan_by_key_config_selectorIiiEEZZNS1_16scan_by_key_implILNS1_25lookback_scan_determinismE0ELb0ES3_N6thrust23THRUST_200600_302600_NS16reverse_iteratorIPKiEESD_NSA_IPiEEiN6hipcub16HIPCUB_304000_NS3MaxENSH_8EqualityEiEE10hipError_tPvRmT2_T3_T4_T5_mT6_T7_P12ihipStream_tbENKUlT_T0_E_clISt17integral_constantIbLb0EES10_EEDaSV_SW_EUlSV_E_NS1_11comp_targetILNS1_3genE9ELNS1_11target_archE1100ELNS1_3gpuE3ELNS1_3repE0EEENS1_30default_config_static_selectorELNS0_4arch9wavefront6targetE0EEEvT1_.private_seg_size, 0
	.set _ZN7rocprim17ROCPRIM_400000_NS6detail17trampoline_kernelINS0_14default_configENS1_27scan_by_key_config_selectorIiiEEZZNS1_16scan_by_key_implILNS1_25lookback_scan_determinismE0ELb0ES3_N6thrust23THRUST_200600_302600_NS16reverse_iteratorIPKiEESD_NSA_IPiEEiN6hipcub16HIPCUB_304000_NS3MaxENSH_8EqualityEiEE10hipError_tPvRmT2_T3_T4_T5_mT6_T7_P12ihipStream_tbENKUlT_T0_E_clISt17integral_constantIbLb0EES10_EEDaSV_SW_EUlSV_E_NS1_11comp_targetILNS1_3genE9ELNS1_11target_archE1100ELNS1_3gpuE3ELNS1_3repE0EEENS1_30default_config_static_selectorELNS0_4arch9wavefront6targetE0EEEvT1_.uses_vcc, 0
	.set _ZN7rocprim17ROCPRIM_400000_NS6detail17trampoline_kernelINS0_14default_configENS1_27scan_by_key_config_selectorIiiEEZZNS1_16scan_by_key_implILNS1_25lookback_scan_determinismE0ELb0ES3_N6thrust23THRUST_200600_302600_NS16reverse_iteratorIPKiEESD_NSA_IPiEEiN6hipcub16HIPCUB_304000_NS3MaxENSH_8EqualityEiEE10hipError_tPvRmT2_T3_T4_T5_mT6_T7_P12ihipStream_tbENKUlT_T0_E_clISt17integral_constantIbLb0EES10_EEDaSV_SW_EUlSV_E_NS1_11comp_targetILNS1_3genE9ELNS1_11target_archE1100ELNS1_3gpuE3ELNS1_3repE0EEENS1_30default_config_static_selectorELNS0_4arch9wavefront6targetE0EEEvT1_.uses_flat_scratch, 0
	.set _ZN7rocprim17ROCPRIM_400000_NS6detail17trampoline_kernelINS0_14default_configENS1_27scan_by_key_config_selectorIiiEEZZNS1_16scan_by_key_implILNS1_25lookback_scan_determinismE0ELb0ES3_N6thrust23THRUST_200600_302600_NS16reverse_iteratorIPKiEESD_NSA_IPiEEiN6hipcub16HIPCUB_304000_NS3MaxENSH_8EqualityEiEE10hipError_tPvRmT2_T3_T4_T5_mT6_T7_P12ihipStream_tbENKUlT_T0_E_clISt17integral_constantIbLb0EES10_EEDaSV_SW_EUlSV_E_NS1_11comp_targetILNS1_3genE9ELNS1_11target_archE1100ELNS1_3gpuE3ELNS1_3repE0EEENS1_30default_config_static_selectorELNS0_4arch9wavefront6targetE0EEEvT1_.has_dyn_sized_stack, 0
	.set _ZN7rocprim17ROCPRIM_400000_NS6detail17trampoline_kernelINS0_14default_configENS1_27scan_by_key_config_selectorIiiEEZZNS1_16scan_by_key_implILNS1_25lookback_scan_determinismE0ELb0ES3_N6thrust23THRUST_200600_302600_NS16reverse_iteratorIPKiEESD_NSA_IPiEEiN6hipcub16HIPCUB_304000_NS3MaxENSH_8EqualityEiEE10hipError_tPvRmT2_T3_T4_T5_mT6_T7_P12ihipStream_tbENKUlT_T0_E_clISt17integral_constantIbLb0EES10_EEDaSV_SW_EUlSV_E_NS1_11comp_targetILNS1_3genE9ELNS1_11target_archE1100ELNS1_3gpuE3ELNS1_3repE0EEENS1_30default_config_static_selectorELNS0_4arch9wavefront6targetE0EEEvT1_.has_recursion, 0
	.set _ZN7rocprim17ROCPRIM_400000_NS6detail17trampoline_kernelINS0_14default_configENS1_27scan_by_key_config_selectorIiiEEZZNS1_16scan_by_key_implILNS1_25lookback_scan_determinismE0ELb0ES3_N6thrust23THRUST_200600_302600_NS16reverse_iteratorIPKiEESD_NSA_IPiEEiN6hipcub16HIPCUB_304000_NS3MaxENSH_8EqualityEiEE10hipError_tPvRmT2_T3_T4_T5_mT6_T7_P12ihipStream_tbENKUlT_T0_E_clISt17integral_constantIbLb0EES10_EEDaSV_SW_EUlSV_E_NS1_11comp_targetILNS1_3genE9ELNS1_11target_archE1100ELNS1_3gpuE3ELNS1_3repE0EEENS1_30default_config_static_selectorELNS0_4arch9wavefront6targetE0EEEvT1_.has_indirect_call, 0
	.section	.AMDGPU.csdata,"",@progbits
; Kernel info:
; codeLenInByte = 0
; TotalNumSgprs: 0
; NumVgprs: 0
; ScratchSize: 0
; MemoryBound: 0
; FloatMode: 240
; IeeeMode: 1
; LDSByteSize: 0 bytes/workgroup (compile time only)
; SGPRBlocks: 0
; VGPRBlocks: 0
; NumSGPRsForWavesPerEU: 1
; NumVGPRsForWavesPerEU: 1
; NamedBarCnt: 0
; Occupancy: 16
; WaveLimiterHint : 0
; COMPUTE_PGM_RSRC2:SCRATCH_EN: 0
; COMPUTE_PGM_RSRC2:USER_SGPR: 2
; COMPUTE_PGM_RSRC2:TRAP_HANDLER: 0
; COMPUTE_PGM_RSRC2:TGID_X_EN: 1
; COMPUTE_PGM_RSRC2:TGID_Y_EN: 0
; COMPUTE_PGM_RSRC2:TGID_Z_EN: 0
; COMPUTE_PGM_RSRC2:TIDIG_COMP_CNT: 0
	.section	.text._ZN7rocprim17ROCPRIM_400000_NS6detail17trampoline_kernelINS0_14default_configENS1_27scan_by_key_config_selectorIiiEEZZNS1_16scan_by_key_implILNS1_25lookback_scan_determinismE0ELb0ES3_N6thrust23THRUST_200600_302600_NS16reverse_iteratorIPKiEESD_NSA_IPiEEiN6hipcub16HIPCUB_304000_NS3MaxENSH_8EqualityEiEE10hipError_tPvRmT2_T3_T4_T5_mT6_T7_P12ihipStream_tbENKUlT_T0_E_clISt17integral_constantIbLb0EES10_EEDaSV_SW_EUlSV_E_NS1_11comp_targetILNS1_3genE8ELNS1_11target_archE1030ELNS1_3gpuE2ELNS1_3repE0EEENS1_30default_config_static_selectorELNS0_4arch9wavefront6targetE0EEEvT1_,"axG",@progbits,_ZN7rocprim17ROCPRIM_400000_NS6detail17trampoline_kernelINS0_14default_configENS1_27scan_by_key_config_selectorIiiEEZZNS1_16scan_by_key_implILNS1_25lookback_scan_determinismE0ELb0ES3_N6thrust23THRUST_200600_302600_NS16reverse_iteratorIPKiEESD_NSA_IPiEEiN6hipcub16HIPCUB_304000_NS3MaxENSH_8EqualityEiEE10hipError_tPvRmT2_T3_T4_T5_mT6_T7_P12ihipStream_tbENKUlT_T0_E_clISt17integral_constantIbLb0EES10_EEDaSV_SW_EUlSV_E_NS1_11comp_targetILNS1_3genE8ELNS1_11target_archE1030ELNS1_3gpuE2ELNS1_3repE0EEENS1_30default_config_static_selectorELNS0_4arch9wavefront6targetE0EEEvT1_,comdat
	.protected	_ZN7rocprim17ROCPRIM_400000_NS6detail17trampoline_kernelINS0_14default_configENS1_27scan_by_key_config_selectorIiiEEZZNS1_16scan_by_key_implILNS1_25lookback_scan_determinismE0ELb0ES3_N6thrust23THRUST_200600_302600_NS16reverse_iteratorIPKiEESD_NSA_IPiEEiN6hipcub16HIPCUB_304000_NS3MaxENSH_8EqualityEiEE10hipError_tPvRmT2_T3_T4_T5_mT6_T7_P12ihipStream_tbENKUlT_T0_E_clISt17integral_constantIbLb0EES10_EEDaSV_SW_EUlSV_E_NS1_11comp_targetILNS1_3genE8ELNS1_11target_archE1030ELNS1_3gpuE2ELNS1_3repE0EEENS1_30default_config_static_selectorELNS0_4arch9wavefront6targetE0EEEvT1_ ; -- Begin function _ZN7rocprim17ROCPRIM_400000_NS6detail17trampoline_kernelINS0_14default_configENS1_27scan_by_key_config_selectorIiiEEZZNS1_16scan_by_key_implILNS1_25lookback_scan_determinismE0ELb0ES3_N6thrust23THRUST_200600_302600_NS16reverse_iteratorIPKiEESD_NSA_IPiEEiN6hipcub16HIPCUB_304000_NS3MaxENSH_8EqualityEiEE10hipError_tPvRmT2_T3_T4_T5_mT6_T7_P12ihipStream_tbENKUlT_T0_E_clISt17integral_constantIbLb0EES10_EEDaSV_SW_EUlSV_E_NS1_11comp_targetILNS1_3genE8ELNS1_11target_archE1030ELNS1_3gpuE2ELNS1_3repE0EEENS1_30default_config_static_selectorELNS0_4arch9wavefront6targetE0EEEvT1_
	.globl	_ZN7rocprim17ROCPRIM_400000_NS6detail17trampoline_kernelINS0_14default_configENS1_27scan_by_key_config_selectorIiiEEZZNS1_16scan_by_key_implILNS1_25lookback_scan_determinismE0ELb0ES3_N6thrust23THRUST_200600_302600_NS16reverse_iteratorIPKiEESD_NSA_IPiEEiN6hipcub16HIPCUB_304000_NS3MaxENSH_8EqualityEiEE10hipError_tPvRmT2_T3_T4_T5_mT6_T7_P12ihipStream_tbENKUlT_T0_E_clISt17integral_constantIbLb0EES10_EEDaSV_SW_EUlSV_E_NS1_11comp_targetILNS1_3genE8ELNS1_11target_archE1030ELNS1_3gpuE2ELNS1_3repE0EEENS1_30default_config_static_selectorELNS0_4arch9wavefront6targetE0EEEvT1_
	.p2align	8
	.type	_ZN7rocprim17ROCPRIM_400000_NS6detail17trampoline_kernelINS0_14default_configENS1_27scan_by_key_config_selectorIiiEEZZNS1_16scan_by_key_implILNS1_25lookback_scan_determinismE0ELb0ES3_N6thrust23THRUST_200600_302600_NS16reverse_iteratorIPKiEESD_NSA_IPiEEiN6hipcub16HIPCUB_304000_NS3MaxENSH_8EqualityEiEE10hipError_tPvRmT2_T3_T4_T5_mT6_T7_P12ihipStream_tbENKUlT_T0_E_clISt17integral_constantIbLb0EES10_EEDaSV_SW_EUlSV_E_NS1_11comp_targetILNS1_3genE8ELNS1_11target_archE1030ELNS1_3gpuE2ELNS1_3repE0EEENS1_30default_config_static_selectorELNS0_4arch9wavefront6targetE0EEEvT1_,@function
_ZN7rocprim17ROCPRIM_400000_NS6detail17trampoline_kernelINS0_14default_configENS1_27scan_by_key_config_selectorIiiEEZZNS1_16scan_by_key_implILNS1_25lookback_scan_determinismE0ELb0ES3_N6thrust23THRUST_200600_302600_NS16reverse_iteratorIPKiEESD_NSA_IPiEEiN6hipcub16HIPCUB_304000_NS3MaxENSH_8EqualityEiEE10hipError_tPvRmT2_T3_T4_T5_mT6_T7_P12ihipStream_tbENKUlT_T0_E_clISt17integral_constantIbLb0EES10_EEDaSV_SW_EUlSV_E_NS1_11comp_targetILNS1_3genE8ELNS1_11target_archE1030ELNS1_3gpuE2ELNS1_3repE0EEENS1_30default_config_static_selectorELNS0_4arch9wavefront6targetE0EEEvT1_: ; @_ZN7rocprim17ROCPRIM_400000_NS6detail17trampoline_kernelINS0_14default_configENS1_27scan_by_key_config_selectorIiiEEZZNS1_16scan_by_key_implILNS1_25lookback_scan_determinismE0ELb0ES3_N6thrust23THRUST_200600_302600_NS16reverse_iteratorIPKiEESD_NSA_IPiEEiN6hipcub16HIPCUB_304000_NS3MaxENSH_8EqualityEiEE10hipError_tPvRmT2_T3_T4_T5_mT6_T7_P12ihipStream_tbENKUlT_T0_E_clISt17integral_constantIbLb0EES10_EEDaSV_SW_EUlSV_E_NS1_11comp_targetILNS1_3genE8ELNS1_11target_archE1030ELNS1_3gpuE2ELNS1_3repE0EEENS1_30default_config_static_selectorELNS0_4arch9wavefront6targetE0EEEvT1_
; %bb.0:
	.section	.rodata,"a",@progbits
	.p2align	6, 0x0
	.amdhsa_kernel _ZN7rocprim17ROCPRIM_400000_NS6detail17trampoline_kernelINS0_14default_configENS1_27scan_by_key_config_selectorIiiEEZZNS1_16scan_by_key_implILNS1_25lookback_scan_determinismE0ELb0ES3_N6thrust23THRUST_200600_302600_NS16reverse_iteratorIPKiEESD_NSA_IPiEEiN6hipcub16HIPCUB_304000_NS3MaxENSH_8EqualityEiEE10hipError_tPvRmT2_T3_T4_T5_mT6_T7_P12ihipStream_tbENKUlT_T0_E_clISt17integral_constantIbLb0EES10_EEDaSV_SW_EUlSV_E_NS1_11comp_targetILNS1_3genE8ELNS1_11target_archE1030ELNS1_3gpuE2ELNS1_3repE0EEENS1_30default_config_static_selectorELNS0_4arch9wavefront6targetE0EEEvT1_
		.amdhsa_group_segment_fixed_size 0
		.amdhsa_private_segment_fixed_size 0
		.amdhsa_kernarg_size 112
		.amdhsa_user_sgpr_count 2
		.amdhsa_user_sgpr_dispatch_ptr 0
		.amdhsa_user_sgpr_queue_ptr 0
		.amdhsa_user_sgpr_kernarg_segment_ptr 1
		.amdhsa_user_sgpr_dispatch_id 0
		.amdhsa_user_sgpr_kernarg_preload_length 0
		.amdhsa_user_sgpr_kernarg_preload_offset 0
		.amdhsa_user_sgpr_private_segment_size 0
		.amdhsa_wavefront_size32 1
		.amdhsa_uses_dynamic_stack 0
		.amdhsa_enable_private_segment 0
		.amdhsa_system_sgpr_workgroup_id_x 1
		.amdhsa_system_sgpr_workgroup_id_y 0
		.amdhsa_system_sgpr_workgroup_id_z 0
		.amdhsa_system_sgpr_workgroup_info 0
		.amdhsa_system_vgpr_workitem_id 0
		.amdhsa_next_free_vgpr 1
		.amdhsa_next_free_sgpr 1
		.amdhsa_named_barrier_count 0
		.amdhsa_reserve_vcc 0
		.amdhsa_float_round_mode_32 0
		.amdhsa_float_round_mode_16_64 0
		.amdhsa_float_denorm_mode_32 3
		.amdhsa_float_denorm_mode_16_64 3
		.amdhsa_fp16_overflow 0
		.amdhsa_memory_ordered 1
		.amdhsa_forward_progress 1
		.amdhsa_inst_pref_size 0
		.amdhsa_round_robin_scheduling 0
		.amdhsa_exception_fp_ieee_invalid_op 0
		.amdhsa_exception_fp_denorm_src 0
		.amdhsa_exception_fp_ieee_div_zero 0
		.amdhsa_exception_fp_ieee_overflow 0
		.amdhsa_exception_fp_ieee_underflow 0
		.amdhsa_exception_fp_ieee_inexact 0
		.amdhsa_exception_int_div_zero 0
	.end_amdhsa_kernel
	.section	.text._ZN7rocprim17ROCPRIM_400000_NS6detail17trampoline_kernelINS0_14default_configENS1_27scan_by_key_config_selectorIiiEEZZNS1_16scan_by_key_implILNS1_25lookback_scan_determinismE0ELb0ES3_N6thrust23THRUST_200600_302600_NS16reverse_iteratorIPKiEESD_NSA_IPiEEiN6hipcub16HIPCUB_304000_NS3MaxENSH_8EqualityEiEE10hipError_tPvRmT2_T3_T4_T5_mT6_T7_P12ihipStream_tbENKUlT_T0_E_clISt17integral_constantIbLb0EES10_EEDaSV_SW_EUlSV_E_NS1_11comp_targetILNS1_3genE8ELNS1_11target_archE1030ELNS1_3gpuE2ELNS1_3repE0EEENS1_30default_config_static_selectorELNS0_4arch9wavefront6targetE0EEEvT1_,"axG",@progbits,_ZN7rocprim17ROCPRIM_400000_NS6detail17trampoline_kernelINS0_14default_configENS1_27scan_by_key_config_selectorIiiEEZZNS1_16scan_by_key_implILNS1_25lookback_scan_determinismE0ELb0ES3_N6thrust23THRUST_200600_302600_NS16reverse_iteratorIPKiEESD_NSA_IPiEEiN6hipcub16HIPCUB_304000_NS3MaxENSH_8EqualityEiEE10hipError_tPvRmT2_T3_T4_T5_mT6_T7_P12ihipStream_tbENKUlT_T0_E_clISt17integral_constantIbLb0EES10_EEDaSV_SW_EUlSV_E_NS1_11comp_targetILNS1_3genE8ELNS1_11target_archE1030ELNS1_3gpuE2ELNS1_3repE0EEENS1_30default_config_static_selectorELNS0_4arch9wavefront6targetE0EEEvT1_,comdat
.Lfunc_end61:
	.size	_ZN7rocprim17ROCPRIM_400000_NS6detail17trampoline_kernelINS0_14default_configENS1_27scan_by_key_config_selectorIiiEEZZNS1_16scan_by_key_implILNS1_25lookback_scan_determinismE0ELb0ES3_N6thrust23THRUST_200600_302600_NS16reverse_iteratorIPKiEESD_NSA_IPiEEiN6hipcub16HIPCUB_304000_NS3MaxENSH_8EqualityEiEE10hipError_tPvRmT2_T3_T4_T5_mT6_T7_P12ihipStream_tbENKUlT_T0_E_clISt17integral_constantIbLb0EES10_EEDaSV_SW_EUlSV_E_NS1_11comp_targetILNS1_3genE8ELNS1_11target_archE1030ELNS1_3gpuE2ELNS1_3repE0EEENS1_30default_config_static_selectorELNS0_4arch9wavefront6targetE0EEEvT1_, .Lfunc_end61-_ZN7rocprim17ROCPRIM_400000_NS6detail17trampoline_kernelINS0_14default_configENS1_27scan_by_key_config_selectorIiiEEZZNS1_16scan_by_key_implILNS1_25lookback_scan_determinismE0ELb0ES3_N6thrust23THRUST_200600_302600_NS16reverse_iteratorIPKiEESD_NSA_IPiEEiN6hipcub16HIPCUB_304000_NS3MaxENSH_8EqualityEiEE10hipError_tPvRmT2_T3_T4_T5_mT6_T7_P12ihipStream_tbENKUlT_T0_E_clISt17integral_constantIbLb0EES10_EEDaSV_SW_EUlSV_E_NS1_11comp_targetILNS1_3genE8ELNS1_11target_archE1030ELNS1_3gpuE2ELNS1_3repE0EEENS1_30default_config_static_selectorELNS0_4arch9wavefront6targetE0EEEvT1_
                                        ; -- End function
	.set _ZN7rocprim17ROCPRIM_400000_NS6detail17trampoline_kernelINS0_14default_configENS1_27scan_by_key_config_selectorIiiEEZZNS1_16scan_by_key_implILNS1_25lookback_scan_determinismE0ELb0ES3_N6thrust23THRUST_200600_302600_NS16reverse_iteratorIPKiEESD_NSA_IPiEEiN6hipcub16HIPCUB_304000_NS3MaxENSH_8EqualityEiEE10hipError_tPvRmT2_T3_T4_T5_mT6_T7_P12ihipStream_tbENKUlT_T0_E_clISt17integral_constantIbLb0EES10_EEDaSV_SW_EUlSV_E_NS1_11comp_targetILNS1_3genE8ELNS1_11target_archE1030ELNS1_3gpuE2ELNS1_3repE0EEENS1_30default_config_static_selectorELNS0_4arch9wavefront6targetE0EEEvT1_.num_vgpr, 0
	.set _ZN7rocprim17ROCPRIM_400000_NS6detail17trampoline_kernelINS0_14default_configENS1_27scan_by_key_config_selectorIiiEEZZNS1_16scan_by_key_implILNS1_25lookback_scan_determinismE0ELb0ES3_N6thrust23THRUST_200600_302600_NS16reverse_iteratorIPKiEESD_NSA_IPiEEiN6hipcub16HIPCUB_304000_NS3MaxENSH_8EqualityEiEE10hipError_tPvRmT2_T3_T4_T5_mT6_T7_P12ihipStream_tbENKUlT_T0_E_clISt17integral_constantIbLb0EES10_EEDaSV_SW_EUlSV_E_NS1_11comp_targetILNS1_3genE8ELNS1_11target_archE1030ELNS1_3gpuE2ELNS1_3repE0EEENS1_30default_config_static_selectorELNS0_4arch9wavefront6targetE0EEEvT1_.num_agpr, 0
	.set _ZN7rocprim17ROCPRIM_400000_NS6detail17trampoline_kernelINS0_14default_configENS1_27scan_by_key_config_selectorIiiEEZZNS1_16scan_by_key_implILNS1_25lookback_scan_determinismE0ELb0ES3_N6thrust23THRUST_200600_302600_NS16reverse_iteratorIPKiEESD_NSA_IPiEEiN6hipcub16HIPCUB_304000_NS3MaxENSH_8EqualityEiEE10hipError_tPvRmT2_T3_T4_T5_mT6_T7_P12ihipStream_tbENKUlT_T0_E_clISt17integral_constantIbLb0EES10_EEDaSV_SW_EUlSV_E_NS1_11comp_targetILNS1_3genE8ELNS1_11target_archE1030ELNS1_3gpuE2ELNS1_3repE0EEENS1_30default_config_static_selectorELNS0_4arch9wavefront6targetE0EEEvT1_.numbered_sgpr, 0
	.set _ZN7rocprim17ROCPRIM_400000_NS6detail17trampoline_kernelINS0_14default_configENS1_27scan_by_key_config_selectorIiiEEZZNS1_16scan_by_key_implILNS1_25lookback_scan_determinismE0ELb0ES3_N6thrust23THRUST_200600_302600_NS16reverse_iteratorIPKiEESD_NSA_IPiEEiN6hipcub16HIPCUB_304000_NS3MaxENSH_8EqualityEiEE10hipError_tPvRmT2_T3_T4_T5_mT6_T7_P12ihipStream_tbENKUlT_T0_E_clISt17integral_constantIbLb0EES10_EEDaSV_SW_EUlSV_E_NS1_11comp_targetILNS1_3genE8ELNS1_11target_archE1030ELNS1_3gpuE2ELNS1_3repE0EEENS1_30default_config_static_selectorELNS0_4arch9wavefront6targetE0EEEvT1_.num_named_barrier, 0
	.set _ZN7rocprim17ROCPRIM_400000_NS6detail17trampoline_kernelINS0_14default_configENS1_27scan_by_key_config_selectorIiiEEZZNS1_16scan_by_key_implILNS1_25lookback_scan_determinismE0ELb0ES3_N6thrust23THRUST_200600_302600_NS16reverse_iteratorIPKiEESD_NSA_IPiEEiN6hipcub16HIPCUB_304000_NS3MaxENSH_8EqualityEiEE10hipError_tPvRmT2_T3_T4_T5_mT6_T7_P12ihipStream_tbENKUlT_T0_E_clISt17integral_constantIbLb0EES10_EEDaSV_SW_EUlSV_E_NS1_11comp_targetILNS1_3genE8ELNS1_11target_archE1030ELNS1_3gpuE2ELNS1_3repE0EEENS1_30default_config_static_selectorELNS0_4arch9wavefront6targetE0EEEvT1_.private_seg_size, 0
	.set _ZN7rocprim17ROCPRIM_400000_NS6detail17trampoline_kernelINS0_14default_configENS1_27scan_by_key_config_selectorIiiEEZZNS1_16scan_by_key_implILNS1_25lookback_scan_determinismE0ELb0ES3_N6thrust23THRUST_200600_302600_NS16reverse_iteratorIPKiEESD_NSA_IPiEEiN6hipcub16HIPCUB_304000_NS3MaxENSH_8EqualityEiEE10hipError_tPvRmT2_T3_T4_T5_mT6_T7_P12ihipStream_tbENKUlT_T0_E_clISt17integral_constantIbLb0EES10_EEDaSV_SW_EUlSV_E_NS1_11comp_targetILNS1_3genE8ELNS1_11target_archE1030ELNS1_3gpuE2ELNS1_3repE0EEENS1_30default_config_static_selectorELNS0_4arch9wavefront6targetE0EEEvT1_.uses_vcc, 0
	.set _ZN7rocprim17ROCPRIM_400000_NS6detail17trampoline_kernelINS0_14default_configENS1_27scan_by_key_config_selectorIiiEEZZNS1_16scan_by_key_implILNS1_25lookback_scan_determinismE0ELb0ES3_N6thrust23THRUST_200600_302600_NS16reverse_iteratorIPKiEESD_NSA_IPiEEiN6hipcub16HIPCUB_304000_NS3MaxENSH_8EqualityEiEE10hipError_tPvRmT2_T3_T4_T5_mT6_T7_P12ihipStream_tbENKUlT_T0_E_clISt17integral_constantIbLb0EES10_EEDaSV_SW_EUlSV_E_NS1_11comp_targetILNS1_3genE8ELNS1_11target_archE1030ELNS1_3gpuE2ELNS1_3repE0EEENS1_30default_config_static_selectorELNS0_4arch9wavefront6targetE0EEEvT1_.uses_flat_scratch, 0
	.set _ZN7rocprim17ROCPRIM_400000_NS6detail17trampoline_kernelINS0_14default_configENS1_27scan_by_key_config_selectorIiiEEZZNS1_16scan_by_key_implILNS1_25lookback_scan_determinismE0ELb0ES3_N6thrust23THRUST_200600_302600_NS16reverse_iteratorIPKiEESD_NSA_IPiEEiN6hipcub16HIPCUB_304000_NS3MaxENSH_8EqualityEiEE10hipError_tPvRmT2_T3_T4_T5_mT6_T7_P12ihipStream_tbENKUlT_T0_E_clISt17integral_constantIbLb0EES10_EEDaSV_SW_EUlSV_E_NS1_11comp_targetILNS1_3genE8ELNS1_11target_archE1030ELNS1_3gpuE2ELNS1_3repE0EEENS1_30default_config_static_selectorELNS0_4arch9wavefront6targetE0EEEvT1_.has_dyn_sized_stack, 0
	.set _ZN7rocprim17ROCPRIM_400000_NS6detail17trampoline_kernelINS0_14default_configENS1_27scan_by_key_config_selectorIiiEEZZNS1_16scan_by_key_implILNS1_25lookback_scan_determinismE0ELb0ES3_N6thrust23THRUST_200600_302600_NS16reverse_iteratorIPKiEESD_NSA_IPiEEiN6hipcub16HIPCUB_304000_NS3MaxENSH_8EqualityEiEE10hipError_tPvRmT2_T3_T4_T5_mT6_T7_P12ihipStream_tbENKUlT_T0_E_clISt17integral_constantIbLb0EES10_EEDaSV_SW_EUlSV_E_NS1_11comp_targetILNS1_3genE8ELNS1_11target_archE1030ELNS1_3gpuE2ELNS1_3repE0EEENS1_30default_config_static_selectorELNS0_4arch9wavefront6targetE0EEEvT1_.has_recursion, 0
	.set _ZN7rocprim17ROCPRIM_400000_NS6detail17trampoline_kernelINS0_14default_configENS1_27scan_by_key_config_selectorIiiEEZZNS1_16scan_by_key_implILNS1_25lookback_scan_determinismE0ELb0ES3_N6thrust23THRUST_200600_302600_NS16reverse_iteratorIPKiEESD_NSA_IPiEEiN6hipcub16HIPCUB_304000_NS3MaxENSH_8EqualityEiEE10hipError_tPvRmT2_T3_T4_T5_mT6_T7_P12ihipStream_tbENKUlT_T0_E_clISt17integral_constantIbLb0EES10_EEDaSV_SW_EUlSV_E_NS1_11comp_targetILNS1_3genE8ELNS1_11target_archE1030ELNS1_3gpuE2ELNS1_3repE0EEENS1_30default_config_static_selectorELNS0_4arch9wavefront6targetE0EEEvT1_.has_indirect_call, 0
	.section	.AMDGPU.csdata,"",@progbits
; Kernel info:
; codeLenInByte = 0
; TotalNumSgprs: 0
; NumVgprs: 0
; ScratchSize: 0
; MemoryBound: 0
; FloatMode: 240
; IeeeMode: 1
; LDSByteSize: 0 bytes/workgroup (compile time only)
; SGPRBlocks: 0
; VGPRBlocks: 0
; NumSGPRsForWavesPerEU: 1
; NumVGPRsForWavesPerEU: 1
; NamedBarCnt: 0
; Occupancy: 16
; WaveLimiterHint : 0
; COMPUTE_PGM_RSRC2:SCRATCH_EN: 0
; COMPUTE_PGM_RSRC2:USER_SGPR: 2
; COMPUTE_PGM_RSRC2:TRAP_HANDLER: 0
; COMPUTE_PGM_RSRC2:TGID_X_EN: 1
; COMPUTE_PGM_RSRC2:TGID_Y_EN: 0
; COMPUTE_PGM_RSRC2:TGID_Z_EN: 0
; COMPUTE_PGM_RSRC2:TIDIG_COMP_CNT: 0
	.section	.text._ZN7rocprim17ROCPRIM_400000_NS6detail30init_device_scan_by_key_kernelINS1_19lookback_scan_stateINS0_5tupleIJibEEELb1ELb1EEEN6thrust23THRUST_200600_302600_NS16reverse_iteratorIPKiEEjNS1_16block_id_wrapperIjLb1EEEEEvT_jjPNSF_10value_typeET0_PNSt15iterator_traitsISI_E10value_typeEmT1_T2_,"axG",@progbits,_ZN7rocprim17ROCPRIM_400000_NS6detail30init_device_scan_by_key_kernelINS1_19lookback_scan_stateINS0_5tupleIJibEEELb1ELb1EEEN6thrust23THRUST_200600_302600_NS16reverse_iteratorIPKiEEjNS1_16block_id_wrapperIjLb1EEEEEvT_jjPNSF_10value_typeET0_PNSt15iterator_traitsISI_E10value_typeEmT1_T2_,comdat
	.protected	_ZN7rocprim17ROCPRIM_400000_NS6detail30init_device_scan_by_key_kernelINS1_19lookback_scan_stateINS0_5tupleIJibEEELb1ELb1EEEN6thrust23THRUST_200600_302600_NS16reverse_iteratorIPKiEEjNS1_16block_id_wrapperIjLb1EEEEEvT_jjPNSF_10value_typeET0_PNSt15iterator_traitsISI_E10value_typeEmT1_T2_ ; -- Begin function _ZN7rocprim17ROCPRIM_400000_NS6detail30init_device_scan_by_key_kernelINS1_19lookback_scan_stateINS0_5tupleIJibEEELb1ELb1EEEN6thrust23THRUST_200600_302600_NS16reverse_iteratorIPKiEEjNS1_16block_id_wrapperIjLb1EEEEEvT_jjPNSF_10value_typeET0_PNSt15iterator_traitsISI_E10value_typeEmT1_T2_
	.globl	_ZN7rocprim17ROCPRIM_400000_NS6detail30init_device_scan_by_key_kernelINS1_19lookback_scan_stateINS0_5tupleIJibEEELb1ELb1EEEN6thrust23THRUST_200600_302600_NS16reverse_iteratorIPKiEEjNS1_16block_id_wrapperIjLb1EEEEEvT_jjPNSF_10value_typeET0_PNSt15iterator_traitsISI_E10value_typeEmT1_T2_
	.p2align	8
	.type	_ZN7rocprim17ROCPRIM_400000_NS6detail30init_device_scan_by_key_kernelINS1_19lookback_scan_stateINS0_5tupleIJibEEELb1ELb1EEEN6thrust23THRUST_200600_302600_NS16reverse_iteratorIPKiEEjNS1_16block_id_wrapperIjLb1EEEEEvT_jjPNSF_10value_typeET0_PNSt15iterator_traitsISI_E10value_typeEmT1_T2_,@function
_ZN7rocprim17ROCPRIM_400000_NS6detail30init_device_scan_by_key_kernelINS1_19lookback_scan_stateINS0_5tupleIJibEEELb1ELb1EEEN6thrust23THRUST_200600_302600_NS16reverse_iteratorIPKiEEjNS1_16block_id_wrapperIjLb1EEEEEvT_jjPNSF_10value_typeET0_PNSt15iterator_traitsISI_E10value_typeEmT1_T2_: ; @_ZN7rocprim17ROCPRIM_400000_NS6detail30init_device_scan_by_key_kernelINS1_19lookback_scan_stateINS0_5tupleIJibEEELb1ELb1EEEN6thrust23THRUST_200600_302600_NS16reverse_iteratorIPKiEEjNS1_16block_id_wrapperIjLb1EEEEEvT_jjPNSF_10value_typeET0_PNSt15iterator_traitsISI_E10value_typeEmT1_T2_
; %bb.0:
	s_clause 0x2
	s_load_b32 s2, s[0:1], 0x4c
	s_load_b32 s14, s[0:1], 0x40
	s_load_b256 s[4:11], s[0:1], 0x0
	s_bfe_u32 s3, ttmp6, 0x4000c
	s_and_b32 s12, ttmp6, 15
	s_add_co_i32 s3, s3, 1
	s_getreg_b32 s13, hwreg(HW_REG_IB_STS2, 6, 4)
	s_mul_i32 s3, ttmp9, s3
	s_delay_alu instid0(SALU_CYCLE_1)
	s_add_co_i32 s12, s12, s3
	s_wait_kmcnt 0x0
	s_and_b32 s15, s2, 0xffff
	s_cmp_eq_u32 s13, 0
	s_cselect_b32 s2, ttmp9, s12
	s_cmp_eq_u64 s[8:9], 0
	v_mad_u32 v4, s2, s15, v0
	s_cbranch_scc1 .LBB62_10
; %bb.1:
	s_cmp_lt_u32 s7, s6
	s_mov_b32 s16, exec_lo
	s_cselect_b32 s2, s7, 0
	s_delay_alu instid0(VALU_DEP_1) | instid1(SALU_CYCLE_1)
	v_cmpx_eq_u32_e64 s2, v4
	s_cbranch_execz .LBB62_9
; %bb.2:
	s_add_co_i32 s2, s7, 32
	s_mov_b32 s3, 0
	v_mov_b32_e32 v7, 0
	s_lshl_b64 s[12:13], s[2:3], 4
	s_mov_b32 s2, exec_lo
	s_add_nc_u64 s[12:13], s[4:5], s[12:13]
	s_delay_alu instid0(SALU_CYCLE_1) | instskip(SKIP_2) | instid1(VALU_DEP_1)
	v_mov_b64_e32 v[0:1], s[12:13]
	;;#ASMSTART
	global_load_b128 v[0:3], v[0:1] off scope:SCOPE_DEV	
s_wait_loadcnt 0x0
	;;#ASMEND
	v_and_b32_e32 v6, 0xff, v2
	v_cmpx_eq_u64_e32 0, v[6:7]
	s_cbranch_execz .LBB62_8
; %bb.3:
	v_mov_b64_e32 v[8:9], s[12:13]
	s_mov_b32 s7, 1
.LBB62_4:                               ; =>This Loop Header: Depth=1
                                        ;     Child Loop BB62_5 Depth 2
	s_delay_alu instid0(SALU_CYCLE_1)
	s_mov_b32 s12, s7
.LBB62_5:                               ;   Parent Loop BB62_4 Depth=1
                                        ; =>  This Inner Loop Header: Depth=2
	s_delay_alu instid0(SALU_CYCLE_1)
	s_add_co_i32 s12, s12, -1
	s_sleep 1
	s_cmp_eq_u32 s12, 0
	s_cbranch_scc0 .LBB62_5
; %bb.6:                                ;   in Loop: Header=BB62_4 Depth=1
	;;#ASMSTART
	global_load_b128 v[0:3], v[8:9] off scope:SCOPE_DEV	
s_wait_loadcnt 0x0
	;;#ASMEND
	v_and_b32_e32 v6, 0xff, v2
	s_cmp_lt_u32 s7, 32
	s_cselect_b32 s12, -1, 0
	s_delay_alu instid0(VALU_DEP_1) | instskip(SKIP_3) | instid1(SALU_CYCLE_1)
	v_cmp_ne_u64_e32 vcc_lo, 0, v[6:7]
	s_cmp_lg_u32 s12, 0
	s_add_co_ci_u32 s7, s7, 0
	s_or_b32 s3, vcc_lo, s3
	s_and_not1_b32 exec_lo, exec_lo, s3
	s_cbranch_execnz .LBB62_4
; %bb.7:
	s_or_b32 exec_lo, exec_lo, s3
.LBB62_8:
	s_delay_alu instid0(SALU_CYCLE_1)
	s_or_b32 exec_lo, exec_lo, s2
	v_mov_b32_e32 v2, 0
	s_clause 0x1
	global_store_b32 v2, v0, s[8:9]
	global_store_b8 v2, v1, s[8:9] offset:4
.LBB62_9:
	s_wait_xcnt 0x0
	s_or_b32 exec_lo, exec_lo, s16
.LBB62_10:
	s_delay_alu instid0(SALU_CYCLE_1) | instskip(NEXT) | instid1(VALU_DEP_1)
	s_mov_b32 s2, exec_lo
	v_cmpx_eq_u32_e32 0, v4
	s_cbranch_execz .LBB62_12
; %bb.11:
	s_load_b64 s[8:9], s[0:1], 0x38
	v_mov_b32_e32 v0, 0
	s_wait_kmcnt 0x0
	global_store_b32 v0, v0, s[8:9]
.LBB62_12:
	s_wait_xcnt 0x0
	s_or_b32 exec_lo, exec_lo, s2
	s_delay_alu instid0(SALU_CYCLE_1)
	s_mov_b32 s2, exec_lo
	v_cmpx_gt_u32_e64 s6, v4
	s_cbranch_execz .LBB62_14
; %bb.13:
	v_dual_mov_b32 v0, 0 :: v_dual_add_nc_u32 v5, 32, v4
	s_delay_alu instid0(VALU_DEP_1)
	v_dual_mov_b32 v1, v0 :: v_dual_mov_b32 v2, v0
	v_mov_b32_e32 v3, v0
	global_store_b128 v5, v[0:3], s[4:5] scale_offset
.LBB62_14:
	s_wait_xcnt 0x0
	s_or_b32 exec_lo, exec_lo, s2
	v_mov_b32_e32 v5, 0
	s_mov_b32 s2, exec_lo
	v_cmpx_gt_u32_e32 32, v4
	s_cbranch_execz .LBB62_16
; %bb.15:
	s_delay_alu instid0(VALU_DEP_2)
	v_lshl_add_u64 v[6:7], v[4:5], 4, s[4:5]
	v_dual_mov_b32 v2, 0xff :: v_dual_mov_b32 v1, v5
	v_dual_mov_b32 v0, v5 :: v_dual_mov_b32 v3, v5
	global_store_b128 v[6:7], v[0:3], off
.LBB62_16:
	s_wait_xcnt 0x0
	s_or_b32 exec_lo, exec_lo, s2
	s_load_b64 s[2:3], s[0:1], 0x28
	s_mov_b32 s4, exec_lo
	s_wait_kmcnt 0x0
	v_cmpx_gt_u64_e64 s[2:3], v[4:5]
	s_cbranch_execz .LBB62_19
; %bb.17:
	s_clause 0x1
	s_load_b32 s4, s[0:1], 0x30
	s_load_b64 s[6:7], s[0:1], 0x20
	s_mov_b32 s5, 0
	s_wait_xcnt 0x0
	s_mov_b32 s1, s5
	s_wait_kmcnt 0x0
	s_add_co_i32 s0, s4, -1
	v_lshl_add_u64 v[2:3], v[4:5], 2, s[6:7]
	v_mad_nc_u64_u32 v[0:1], s4, v4, s[0:1]
	s_mul_i32 s0, s14, s15
	s_delay_alu instid0(SALU_CYCLE_1) | instskip(NEXT) | instid1(SALU_CYCLE_1)
	s_mul_u64 s[8:9], s[4:5], s[0:1]
	s_lshl_b64 s[8:9], s[8:9], 2
	s_delay_alu instid0(SALU_CYCLE_1) | instskip(SKIP_1) | instid1(VALU_DEP_1)
	s_sub_nc_u64 s[6:7], 0, s[8:9]
	s_lshl_b64 s[8:9], s[0:1], 2
	v_not_b32_e32 v1, v1
	s_delay_alu instid0(VALU_DEP_2) | instskip(NEXT) | instid1(VALU_DEP_1)
	v_not_b32_e32 v0, v0
	v_lshl_add_u64 v[0:1], v[0:1], 2, s[10:11]
.LBB62_18:                              ; =>This Inner Loop Header: Depth=1
	global_load_b32 v6, v[0:1], off
	v_add_nc_u64_e32 v[4:5], s[0:1], v[4:5]
	s_wait_xcnt 0x0
	v_add_nc_u64_e32 v[0:1], s[6:7], v[0:1]
	s_delay_alu instid0(VALU_DEP_2)
	v_cmp_le_u64_e32 vcc_lo, s[2:3], v[4:5]
	s_or_b32 s5, vcc_lo, s5
	s_wait_loadcnt 0x0
	global_store_b32 v[2:3], v6, off
	s_wait_xcnt 0x0
	v_add_nc_u64_e32 v[2:3], s[8:9], v[2:3]
	s_and_not1_b32 exec_lo, exec_lo, s5
	s_cbranch_execnz .LBB62_18
.LBB62_19:
	s_endpgm
	.section	.rodata,"a",@progbits
	.p2align	6, 0x0
	.amdhsa_kernel _ZN7rocprim17ROCPRIM_400000_NS6detail30init_device_scan_by_key_kernelINS1_19lookback_scan_stateINS0_5tupleIJibEEELb1ELb1EEEN6thrust23THRUST_200600_302600_NS16reverse_iteratorIPKiEEjNS1_16block_id_wrapperIjLb1EEEEEvT_jjPNSF_10value_typeET0_PNSt15iterator_traitsISI_E10value_typeEmT1_T2_
		.amdhsa_group_segment_fixed_size 0
		.amdhsa_private_segment_fixed_size 0
		.amdhsa_kernarg_size 320
		.amdhsa_user_sgpr_count 2
		.amdhsa_user_sgpr_dispatch_ptr 0
		.amdhsa_user_sgpr_queue_ptr 0
		.amdhsa_user_sgpr_kernarg_segment_ptr 1
		.amdhsa_user_sgpr_dispatch_id 0
		.amdhsa_user_sgpr_kernarg_preload_length 0
		.amdhsa_user_sgpr_kernarg_preload_offset 0
		.amdhsa_user_sgpr_private_segment_size 0
		.amdhsa_wavefront_size32 1
		.amdhsa_uses_dynamic_stack 0
		.amdhsa_enable_private_segment 0
		.amdhsa_system_sgpr_workgroup_id_x 1
		.amdhsa_system_sgpr_workgroup_id_y 0
		.amdhsa_system_sgpr_workgroup_id_z 0
		.amdhsa_system_sgpr_workgroup_info 0
		.amdhsa_system_vgpr_workitem_id 0
		.amdhsa_next_free_vgpr 10
		.amdhsa_next_free_sgpr 17
		.amdhsa_named_barrier_count 0
		.amdhsa_reserve_vcc 1
		.amdhsa_float_round_mode_32 0
		.amdhsa_float_round_mode_16_64 0
		.amdhsa_float_denorm_mode_32 3
		.amdhsa_float_denorm_mode_16_64 3
		.amdhsa_fp16_overflow 0
		.amdhsa_memory_ordered 1
		.amdhsa_forward_progress 1
		.amdhsa_inst_pref_size 6
		.amdhsa_round_robin_scheduling 0
		.amdhsa_exception_fp_ieee_invalid_op 0
		.amdhsa_exception_fp_denorm_src 0
		.amdhsa_exception_fp_ieee_div_zero 0
		.amdhsa_exception_fp_ieee_overflow 0
		.amdhsa_exception_fp_ieee_underflow 0
		.amdhsa_exception_fp_ieee_inexact 0
		.amdhsa_exception_int_div_zero 0
	.end_amdhsa_kernel
	.section	.text._ZN7rocprim17ROCPRIM_400000_NS6detail30init_device_scan_by_key_kernelINS1_19lookback_scan_stateINS0_5tupleIJibEEELb1ELb1EEEN6thrust23THRUST_200600_302600_NS16reverse_iteratorIPKiEEjNS1_16block_id_wrapperIjLb1EEEEEvT_jjPNSF_10value_typeET0_PNSt15iterator_traitsISI_E10value_typeEmT1_T2_,"axG",@progbits,_ZN7rocprim17ROCPRIM_400000_NS6detail30init_device_scan_by_key_kernelINS1_19lookback_scan_stateINS0_5tupleIJibEEELb1ELb1EEEN6thrust23THRUST_200600_302600_NS16reverse_iteratorIPKiEEjNS1_16block_id_wrapperIjLb1EEEEEvT_jjPNSF_10value_typeET0_PNSt15iterator_traitsISI_E10value_typeEmT1_T2_,comdat
.Lfunc_end62:
	.size	_ZN7rocprim17ROCPRIM_400000_NS6detail30init_device_scan_by_key_kernelINS1_19lookback_scan_stateINS0_5tupleIJibEEELb1ELb1EEEN6thrust23THRUST_200600_302600_NS16reverse_iteratorIPKiEEjNS1_16block_id_wrapperIjLb1EEEEEvT_jjPNSF_10value_typeET0_PNSt15iterator_traitsISI_E10value_typeEmT1_T2_, .Lfunc_end62-_ZN7rocprim17ROCPRIM_400000_NS6detail30init_device_scan_by_key_kernelINS1_19lookback_scan_stateINS0_5tupleIJibEEELb1ELb1EEEN6thrust23THRUST_200600_302600_NS16reverse_iteratorIPKiEEjNS1_16block_id_wrapperIjLb1EEEEEvT_jjPNSF_10value_typeET0_PNSt15iterator_traitsISI_E10value_typeEmT1_T2_
                                        ; -- End function
	.set _ZN7rocprim17ROCPRIM_400000_NS6detail30init_device_scan_by_key_kernelINS1_19lookback_scan_stateINS0_5tupleIJibEEELb1ELb1EEEN6thrust23THRUST_200600_302600_NS16reverse_iteratorIPKiEEjNS1_16block_id_wrapperIjLb1EEEEEvT_jjPNSF_10value_typeET0_PNSt15iterator_traitsISI_E10value_typeEmT1_T2_.num_vgpr, 10
	.set _ZN7rocprim17ROCPRIM_400000_NS6detail30init_device_scan_by_key_kernelINS1_19lookback_scan_stateINS0_5tupleIJibEEELb1ELb1EEEN6thrust23THRUST_200600_302600_NS16reverse_iteratorIPKiEEjNS1_16block_id_wrapperIjLb1EEEEEvT_jjPNSF_10value_typeET0_PNSt15iterator_traitsISI_E10value_typeEmT1_T2_.num_agpr, 0
	.set _ZN7rocprim17ROCPRIM_400000_NS6detail30init_device_scan_by_key_kernelINS1_19lookback_scan_stateINS0_5tupleIJibEEELb1ELb1EEEN6thrust23THRUST_200600_302600_NS16reverse_iteratorIPKiEEjNS1_16block_id_wrapperIjLb1EEEEEvT_jjPNSF_10value_typeET0_PNSt15iterator_traitsISI_E10value_typeEmT1_T2_.numbered_sgpr, 17
	.set _ZN7rocprim17ROCPRIM_400000_NS6detail30init_device_scan_by_key_kernelINS1_19lookback_scan_stateINS0_5tupleIJibEEELb1ELb1EEEN6thrust23THRUST_200600_302600_NS16reverse_iteratorIPKiEEjNS1_16block_id_wrapperIjLb1EEEEEvT_jjPNSF_10value_typeET0_PNSt15iterator_traitsISI_E10value_typeEmT1_T2_.num_named_barrier, 0
	.set _ZN7rocprim17ROCPRIM_400000_NS6detail30init_device_scan_by_key_kernelINS1_19lookback_scan_stateINS0_5tupleIJibEEELb1ELb1EEEN6thrust23THRUST_200600_302600_NS16reverse_iteratorIPKiEEjNS1_16block_id_wrapperIjLb1EEEEEvT_jjPNSF_10value_typeET0_PNSt15iterator_traitsISI_E10value_typeEmT1_T2_.private_seg_size, 0
	.set _ZN7rocprim17ROCPRIM_400000_NS6detail30init_device_scan_by_key_kernelINS1_19lookback_scan_stateINS0_5tupleIJibEEELb1ELb1EEEN6thrust23THRUST_200600_302600_NS16reverse_iteratorIPKiEEjNS1_16block_id_wrapperIjLb1EEEEEvT_jjPNSF_10value_typeET0_PNSt15iterator_traitsISI_E10value_typeEmT1_T2_.uses_vcc, 1
	.set _ZN7rocprim17ROCPRIM_400000_NS6detail30init_device_scan_by_key_kernelINS1_19lookback_scan_stateINS0_5tupleIJibEEELb1ELb1EEEN6thrust23THRUST_200600_302600_NS16reverse_iteratorIPKiEEjNS1_16block_id_wrapperIjLb1EEEEEvT_jjPNSF_10value_typeET0_PNSt15iterator_traitsISI_E10value_typeEmT1_T2_.uses_flat_scratch, 0
	.set _ZN7rocprim17ROCPRIM_400000_NS6detail30init_device_scan_by_key_kernelINS1_19lookback_scan_stateINS0_5tupleIJibEEELb1ELb1EEEN6thrust23THRUST_200600_302600_NS16reverse_iteratorIPKiEEjNS1_16block_id_wrapperIjLb1EEEEEvT_jjPNSF_10value_typeET0_PNSt15iterator_traitsISI_E10value_typeEmT1_T2_.has_dyn_sized_stack, 0
	.set _ZN7rocprim17ROCPRIM_400000_NS6detail30init_device_scan_by_key_kernelINS1_19lookback_scan_stateINS0_5tupleIJibEEELb1ELb1EEEN6thrust23THRUST_200600_302600_NS16reverse_iteratorIPKiEEjNS1_16block_id_wrapperIjLb1EEEEEvT_jjPNSF_10value_typeET0_PNSt15iterator_traitsISI_E10value_typeEmT1_T2_.has_recursion, 0
	.set _ZN7rocprim17ROCPRIM_400000_NS6detail30init_device_scan_by_key_kernelINS1_19lookback_scan_stateINS0_5tupleIJibEEELb1ELb1EEEN6thrust23THRUST_200600_302600_NS16reverse_iteratorIPKiEEjNS1_16block_id_wrapperIjLb1EEEEEvT_jjPNSF_10value_typeET0_PNSt15iterator_traitsISI_E10value_typeEmT1_T2_.has_indirect_call, 0
	.section	.AMDGPU.csdata,"",@progbits
; Kernel info:
; codeLenInByte = 692
; TotalNumSgprs: 19
; NumVgprs: 10
; ScratchSize: 0
; MemoryBound: 0
; FloatMode: 240
; IeeeMode: 1
; LDSByteSize: 0 bytes/workgroup (compile time only)
; SGPRBlocks: 0
; VGPRBlocks: 0
; NumSGPRsForWavesPerEU: 19
; NumVGPRsForWavesPerEU: 10
; NamedBarCnt: 0
; Occupancy: 16
; WaveLimiterHint : 0
; COMPUTE_PGM_RSRC2:SCRATCH_EN: 0
; COMPUTE_PGM_RSRC2:USER_SGPR: 2
; COMPUTE_PGM_RSRC2:TRAP_HANDLER: 0
; COMPUTE_PGM_RSRC2:TGID_X_EN: 1
; COMPUTE_PGM_RSRC2:TGID_Y_EN: 0
; COMPUTE_PGM_RSRC2:TGID_Z_EN: 0
; COMPUTE_PGM_RSRC2:TIDIG_COMP_CNT: 0
	.section	.text._ZN7rocprim17ROCPRIM_400000_NS6detail17trampoline_kernelINS0_14default_configENS1_27scan_by_key_config_selectorIiiEEZZNS1_16scan_by_key_implILNS1_25lookback_scan_determinismE0ELb0ES3_N6thrust23THRUST_200600_302600_NS16reverse_iteratorIPKiEESD_NSA_IPiEEiN6hipcub16HIPCUB_304000_NS3MaxENSH_8EqualityEiEE10hipError_tPvRmT2_T3_T4_T5_mT6_T7_P12ihipStream_tbENKUlT_T0_E_clISt17integral_constantIbLb1EES10_EEDaSV_SW_EUlSV_E_NS1_11comp_targetILNS1_3genE0ELNS1_11target_archE4294967295ELNS1_3gpuE0ELNS1_3repE0EEENS1_30default_config_static_selectorELNS0_4arch9wavefront6targetE0EEEvT1_,"axG",@progbits,_ZN7rocprim17ROCPRIM_400000_NS6detail17trampoline_kernelINS0_14default_configENS1_27scan_by_key_config_selectorIiiEEZZNS1_16scan_by_key_implILNS1_25lookback_scan_determinismE0ELb0ES3_N6thrust23THRUST_200600_302600_NS16reverse_iteratorIPKiEESD_NSA_IPiEEiN6hipcub16HIPCUB_304000_NS3MaxENSH_8EqualityEiEE10hipError_tPvRmT2_T3_T4_T5_mT6_T7_P12ihipStream_tbENKUlT_T0_E_clISt17integral_constantIbLb1EES10_EEDaSV_SW_EUlSV_E_NS1_11comp_targetILNS1_3genE0ELNS1_11target_archE4294967295ELNS1_3gpuE0ELNS1_3repE0EEENS1_30default_config_static_selectorELNS0_4arch9wavefront6targetE0EEEvT1_,comdat
	.protected	_ZN7rocprim17ROCPRIM_400000_NS6detail17trampoline_kernelINS0_14default_configENS1_27scan_by_key_config_selectorIiiEEZZNS1_16scan_by_key_implILNS1_25lookback_scan_determinismE0ELb0ES3_N6thrust23THRUST_200600_302600_NS16reverse_iteratorIPKiEESD_NSA_IPiEEiN6hipcub16HIPCUB_304000_NS3MaxENSH_8EqualityEiEE10hipError_tPvRmT2_T3_T4_T5_mT6_T7_P12ihipStream_tbENKUlT_T0_E_clISt17integral_constantIbLb1EES10_EEDaSV_SW_EUlSV_E_NS1_11comp_targetILNS1_3genE0ELNS1_11target_archE4294967295ELNS1_3gpuE0ELNS1_3repE0EEENS1_30default_config_static_selectorELNS0_4arch9wavefront6targetE0EEEvT1_ ; -- Begin function _ZN7rocprim17ROCPRIM_400000_NS6detail17trampoline_kernelINS0_14default_configENS1_27scan_by_key_config_selectorIiiEEZZNS1_16scan_by_key_implILNS1_25lookback_scan_determinismE0ELb0ES3_N6thrust23THRUST_200600_302600_NS16reverse_iteratorIPKiEESD_NSA_IPiEEiN6hipcub16HIPCUB_304000_NS3MaxENSH_8EqualityEiEE10hipError_tPvRmT2_T3_T4_T5_mT6_T7_P12ihipStream_tbENKUlT_T0_E_clISt17integral_constantIbLb1EES10_EEDaSV_SW_EUlSV_E_NS1_11comp_targetILNS1_3genE0ELNS1_11target_archE4294967295ELNS1_3gpuE0ELNS1_3repE0EEENS1_30default_config_static_selectorELNS0_4arch9wavefront6targetE0EEEvT1_
	.globl	_ZN7rocprim17ROCPRIM_400000_NS6detail17trampoline_kernelINS0_14default_configENS1_27scan_by_key_config_selectorIiiEEZZNS1_16scan_by_key_implILNS1_25lookback_scan_determinismE0ELb0ES3_N6thrust23THRUST_200600_302600_NS16reverse_iteratorIPKiEESD_NSA_IPiEEiN6hipcub16HIPCUB_304000_NS3MaxENSH_8EqualityEiEE10hipError_tPvRmT2_T3_T4_T5_mT6_T7_P12ihipStream_tbENKUlT_T0_E_clISt17integral_constantIbLb1EES10_EEDaSV_SW_EUlSV_E_NS1_11comp_targetILNS1_3genE0ELNS1_11target_archE4294967295ELNS1_3gpuE0ELNS1_3repE0EEENS1_30default_config_static_selectorELNS0_4arch9wavefront6targetE0EEEvT1_
	.p2align	8
	.type	_ZN7rocprim17ROCPRIM_400000_NS6detail17trampoline_kernelINS0_14default_configENS1_27scan_by_key_config_selectorIiiEEZZNS1_16scan_by_key_implILNS1_25lookback_scan_determinismE0ELb0ES3_N6thrust23THRUST_200600_302600_NS16reverse_iteratorIPKiEESD_NSA_IPiEEiN6hipcub16HIPCUB_304000_NS3MaxENSH_8EqualityEiEE10hipError_tPvRmT2_T3_T4_T5_mT6_T7_P12ihipStream_tbENKUlT_T0_E_clISt17integral_constantIbLb1EES10_EEDaSV_SW_EUlSV_E_NS1_11comp_targetILNS1_3genE0ELNS1_11target_archE4294967295ELNS1_3gpuE0ELNS1_3repE0EEENS1_30default_config_static_selectorELNS0_4arch9wavefront6targetE0EEEvT1_,@function
_ZN7rocprim17ROCPRIM_400000_NS6detail17trampoline_kernelINS0_14default_configENS1_27scan_by_key_config_selectorIiiEEZZNS1_16scan_by_key_implILNS1_25lookback_scan_determinismE0ELb0ES3_N6thrust23THRUST_200600_302600_NS16reverse_iteratorIPKiEESD_NSA_IPiEEiN6hipcub16HIPCUB_304000_NS3MaxENSH_8EqualityEiEE10hipError_tPvRmT2_T3_T4_T5_mT6_T7_P12ihipStream_tbENKUlT_T0_E_clISt17integral_constantIbLb1EES10_EEDaSV_SW_EUlSV_E_NS1_11comp_targetILNS1_3genE0ELNS1_11target_archE4294967295ELNS1_3gpuE0ELNS1_3repE0EEENS1_30default_config_static_selectorELNS0_4arch9wavefront6targetE0EEEvT1_: ; @_ZN7rocprim17ROCPRIM_400000_NS6detail17trampoline_kernelINS0_14default_configENS1_27scan_by_key_config_selectorIiiEEZZNS1_16scan_by_key_implILNS1_25lookback_scan_determinismE0ELb0ES3_N6thrust23THRUST_200600_302600_NS16reverse_iteratorIPKiEESD_NSA_IPiEEiN6hipcub16HIPCUB_304000_NS3MaxENSH_8EqualityEiEE10hipError_tPvRmT2_T3_T4_T5_mT6_T7_P12ihipStream_tbENKUlT_T0_E_clISt17integral_constantIbLb1EES10_EEDaSV_SW_EUlSV_E_NS1_11comp_targetILNS1_3genE0ELNS1_11target_archE4294967295ELNS1_3gpuE0ELNS1_3repE0EEENS1_30default_config_static_selectorELNS0_4arch9wavefront6targetE0EEEvT1_
; %bb.0:
	s_endpgm
	.section	.rodata,"a",@progbits
	.p2align	6, 0x0
	.amdhsa_kernel _ZN7rocprim17ROCPRIM_400000_NS6detail17trampoline_kernelINS0_14default_configENS1_27scan_by_key_config_selectorIiiEEZZNS1_16scan_by_key_implILNS1_25lookback_scan_determinismE0ELb0ES3_N6thrust23THRUST_200600_302600_NS16reverse_iteratorIPKiEESD_NSA_IPiEEiN6hipcub16HIPCUB_304000_NS3MaxENSH_8EqualityEiEE10hipError_tPvRmT2_T3_T4_T5_mT6_T7_P12ihipStream_tbENKUlT_T0_E_clISt17integral_constantIbLb1EES10_EEDaSV_SW_EUlSV_E_NS1_11comp_targetILNS1_3genE0ELNS1_11target_archE4294967295ELNS1_3gpuE0ELNS1_3repE0EEENS1_30default_config_static_selectorELNS0_4arch9wavefront6targetE0EEEvT1_
		.amdhsa_group_segment_fixed_size 0
		.amdhsa_private_segment_fixed_size 0
		.amdhsa_kernarg_size 112
		.amdhsa_user_sgpr_count 2
		.amdhsa_user_sgpr_dispatch_ptr 0
		.amdhsa_user_sgpr_queue_ptr 0
		.amdhsa_user_sgpr_kernarg_segment_ptr 1
		.amdhsa_user_sgpr_dispatch_id 0
		.amdhsa_user_sgpr_kernarg_preload_length 0
		.amdhsa_user_sgpr_kernarg_preload_offset 0
		.amdhsa_user_sgpr_private_segment_size 0
		.amdhsa_wavefront_size32 1
		.amdhsa_uses_dynamic_stack 0
		.amdhsa_enable_private_segment 0
		.amdhsa_system_sgpr_workgroup_id_x 1
		.amdhsa_system_sgpr_workgroup_id_y 0
		.amdhsa_system_sgpr_workgroup_id_z 0
		.amdhsa_system_sgpr_workgroup_info 0
		.amdhsa_system_vgpr_workitem_id 0
		.amdhsa_next_free_vgpr 1
		.amdhsa_next_free_sgpr 1
		.amdhsa_named_barrier_count 0
		.amdhsa_reserve_vcc 0
		.amdhsa_float_round_mode_32 0
		.amdhsa_float_round_mode_16_64 0
		.amdhsa_float_denorm_mode_32 3
		.amdhsa_float_denorm_mode_16_64 3
		.amdhsa_fp16_overflow 0
		.amdhsa_memory_ordered 1
		.amdhsa_forward_progress 1
		.amdhsa_inst_pref_size 1
		.amdhsa_round_robin_scheduling 0
		.amdhsa_exception_fp_ieee_invalid_op 0
		.amdhsa_exception_fp_denorm_src 0
		.amdhsa_exception_fp_ieee_div_zero 0
		.amdhsa_exception_fp_ieee_overflow 0
		.amdhsa_exception_fp_ieee_underflow 0
		.amdhsa_exception_fp_ieee_inexact 0
		.amdhsa_exception_int_div_zero 0
	.end_amdhsa_kernel
	.section	.text._ZN7rocprim17ROCPRIM_400000_NS6detail17trampoline_kernelINS0_14default_configENS1_27scan_by_key_config_selectorIiiEEZZNS1_16scan_by_key_implILNS1_25lookback_scan_determinismE0ELb0ES3_N6thrust23THRUST_200600_302600_NS16reverse_iteratorIPKiEESD_NSA_IPiEEiN6hipcub16HIPCUB_304000_NS3MaxENSH_8EqualityEiEE10hipError_tPvRmT2_T3_T4_T5_mT6_T7_P12ihipStream_tbENKUlT_T0_E_clISt17integral_constantIbLb1EES10_EEDaSV_SW_EUlSV_E_NS1_11comp_targetILNS1_3genE0ELNS1_11target_archE4294967295ELNS1_3gpuE0ELNS1_3repE0EEENS1_30default_config_static_selectorELNS0_4arch9wavefront6targetE0EEEvT1_,"axG",@progbits,_ZN7rocprim17ROCPRIM_400000_NS6detail17trampoline_kernelINS0_14default_configENS1_27scan_by_key_config_selectorIiiEEZZNS1_16scan_by_key_implILNS1_25lookback_scan_determinismE0ELb0ES3_N6thrust23THRUST_200600_302600_NS16reverse_iteratorIPKiEESD_NSA_IPiEEiN6hipcub16HIPCUB_304000_NS3MaxENSH_8EqualityEiEE10hipError_tPvRmT2_T3_T4_T5_mT6_T7_P12ihipStream_tbENKUlT_T0_E_clISt17integral_constantIbLb1EES10_EEDaSV_SW_EUlSV_E_NS1_11comp_targetILNS1_3genE0ELNS1_11target_archE4294967295ELNS1_3gpuE0ELNS1_3repE0EEENS1_30default_config_static_selectorELNS0_4arch9wavefront6targetE0EEEvT1_,comdat
.Lfunc_end63:
	.size	_ZN7rocprim17ROCPRIM_400000_NS6detail17trampoline_kernelINS0_14default_configENS1_27scan_by_key_config_selectorIiiEEZZNS1_16scan_by_key_implILNS1_25lookback_scan_determinismE0ELb0ES3_N6thrust23THRUST_200600_302600_NS16reverse_iteratorIPKiEESD_NSA_IPiEEiN6hipcub16HIPCUB_304000_NS3MaxENSH_8EqualityEiEE10hipError_tPvRmT2_T3_T4_T5_mT6_T7_P12ihipStream_tbENKUlT_T0_E_clISt17integral_constantIbLb1EES10_EEDaSV_SW_EUlSV_E_NS1_11comp_targetILNS1_3genE0ELNS1_11target_archE4294967295ELNS1_3gpuE0ELNS1_3repE0EEENS1_30default_config_static_selectorELNS0_4arch9wavefront6targetE0EEEvT1_, .Lfunc_end63-_ZN7rocprim17ROCPRIM_400000_NS6detail17trampoline_kernelINS0_14default_configENS1_27scan_by_key_config_selectorIiiEEZZNS1_16scan_by_key_implILNS1_25lookback_scan_determinismE0ELb0ES3_N6thrust23THRUST_200600_302600_NS16reverse_iteratorIPKiEESD_NSA_IPiEEiN6hipcub16HIPCUB_304000_NS3MaxENSH_8EqualityEiEE10hipError_tPvRmT2_T3_T4_T5_mT6_T7_P12ihipStream_tbENKUlT_T0_E_clISt17integral_constantIbLb1EES10_EEDaSV_SW_EUlSV_E_NS1_11comp_targetILNS1_3genE0ELNS1_11target_archE4294967295ELNS1_3gpuE0ELNS1_3repE0EEENS1_30default_config_static_selectorELNS0_4arch9wavefront6targetE0EEEvT1_
                                        ; -- End function
	.set _ZN7rocprim17ROCPRIM_400000_NS6detail17trampoline_kernelINS0_14default_configENS1_27scan_by_key_config_selectorIiiEEZZNS1_16scan_by_key_implILNS1_25lookback_scan_determinismE0ELb0ES3_N6thrust23THRUST_200600_302600_NS16reverse_iteratorIPKiEESD_NSA_IPiEEiN6hipcub16HIPCUB_304000_NS3MaxENSH_8EqualityEiEE10hipError_tPvRmT2_T3_T4_T5_mT6_T7_P12ihipStream_tbENKUlT_T0_E_clISt17integral_constantIbLb1EES10_EEDaSV_SW_EUlSV_E_NS1_11comp_targetILNS1_3genE0ELNS1_11target_archE4294967295ELNS1_3gpuE0ELNS1_3repE0EEENS1_30default_config_static_selectorELNS0_4arch9wavefront6targetE0EEEvT1_.num_vgpr, 0
	.set _ZN7rocprim17ROCPRIM_400000_NS6detail17trampoline_kernelINS0_14default_configENS1_27scan_by_key_config_selectorIiiEEZZNS1_16scan_by_key_implILNS1_25lookback_scan_determinismE0ELb0ES3_N6thrust23THRUST_200600_302600_NS16reverse_iteratorIPKiEESD_NSA_IPiEEiN6hipcub16HIPCUB_304000_NS3MaxENSH_8EqualityEiEE10hipError_tPvRmT2_T3_T4_T5_mT6_T7_P12ihipStream_tbENKUlT_T0_E_clISt17integral_constantIbLb1EES10_EEDaSV_SW_EUlSV_E_NS1_11comp_targetILNS1_3genE0ELNS1_11target_archE4294967295ELNS1_3gpuE0ELNS1_3repE0EEENS1_30default_config_static_selectorELNS0_4arch9wavefront6targetE0EEEvT1_.num_agpr, 0
	.set _ZN7rocprim17ROCPRIM_400000_NS6detail17trampoline_kernelINS0_14default_configENS1_27scan_by_key_config_selectorIiiEEZZNS1_16scan_by_key_implILNS1_25lookback_scan_determinismE0ELb0ES3_N6thrust23THRUST_200600_302600_NS16reverse_iteratorIPKiEESD_NSA_IPiEEiN6hipcub16HIPCUB_304000_NS3MaxENSH_8EqualityEiEE10hipError_tPvRmT2_T3_T4_T5_mT6_T7_P12ihipStream_tbENKUlT_T0_E_clISt17integral_constantIbLb1EES10_EEDaSV_SW_EUlSV_E_NS1_11comp_targetILNS1_3genE0ELNS1_11target_archE4294967295ELNS1_3gpuE0ELNS1_3repE0EEENS1_30default_config_static_selectorELNS0_4arch9wavefront6targetE0EEEvT1_.numbered_sgpr, 0
	.set _ZN7rocprim17ROCPRIM_400000_NS6detail17trampoline_kernelINS0_14default_configENS1_27scan_by_key_config_selectorIiiEEZZNS1_16scan_by_key_implILNS1_25lookback_scan_determinismE0ELb0ES3_N6thrust23THRUST_200600_302600_NS16reverse_iteratorIPKiEESD_NSA_IPiEEiN6hipcub16HIPCUB_304000_NS3MaxENSH_8EqualityEiEE10hipError_tPvRmT2_T3_T4_T5_mT6_T7_P12ihipStream_tbENKUlT_T0_E_clISt17integral_constantIbLb1EES10_EEDaSV_SW_EUlSV_E_NS1_11comp_targetILNS1_3genE0ELNS1_11target_archE4294967295ELNS1_3gpuE0ELNS1_3repE0EEENS1_30default_config_static_selectorELNS0_4arch9wavefront6targetE0EEEvT1_.num_named_barrier, 0
	.set _ZN7rocprim17ROCPRIM_400000_NS6detail17trampoline_kernelINS0_14default_configENS1_27scan_by_key_config_selectorIiiEEZZNS1_16scan_by_key_implILNS1_25lookback_scan_determinismE0ELb0ES3_N6thrust23THRUST_200600_302600_NS16reverse_iteratorIPKiEESD_NSA_IPiEEiN6hipcub16HIPCUB_304000_NS3MaxENSH_8EqualityEiEE10hipError_tPvRmT2_T3_T4_T5_mT6_T7_P12ihipStream_tbENKUlT_T0_E_clISt17integral_constantIbLb1EES10_EEDaSV_SW_EUlSV_E_NS1_11comp_targetILNS1_3genE0ELNS1_11target_archE4294967295ELNS1_3gpuE0ELNS1_3repE0EEENS1_30default_config_static_selectorELNS0_4arch9wavefront6targetE0EEEvT1_.private_seg_size, 0
	.set _ZN7rocprim17ROCPRIM_400000_NS6detail17trampoline_kernelINS0_14default_configENS1_27scan_by_key_config_selectorIiiEEZZNS1_16scan_by_key_implILNS1_25lookback_scan_determinismE0ELb0ES3_N6thrust23THRUST_200600_302600_NS16reverse_iteratorIPKiEESD_NSA_IPiEEiN6hipcub16HIPCUB_304000_NS3MaxENSH_8EqualityEiEE10hipError_tPvRmT2_T3_T4_T5_mT6_T7_P12ihipStream_tbENKUlT_T0_E_clISt17integral_constantIbLb1EES10_EEDaSV_SW_EUlSV_E_NS1_11comp_targetILNS1_3genE0ELNS1_11target_archE4294967295ELNS1_3gpuE0ELNS1_3repE0EEENS1_30default_config_static_selectorELNS0_4arch9wavefront6targetE0EEEvT1_.uses_vcc, 0
	.set _ZN7rocprim17ROCPRIM_400000_NS6detail17trampoline_kernelINS0_14default_configENS1_27scan_by_key_config_selectorIiiEEZZNS1_16scan_by_key_implILNS1_25lookback_scan_determinismE0ELb0ES3_N6thrust23THRUST_200600_302600_NS16reverse_iteratorIPKiEESD_NSA_IPiEEiN6hipcub16HIPCUB_304000_NS3MaxENSH_8EqualityEiEE10hipError_tPvRmT2_T3_T4_T5_mT6_T7_P12ihipStream_tbENKUlT_T0_E_clISt17integral_constantIbLb1EES10_EEDaSV_SW_EUlSV_E_NS1_11comp_targetILNS1_3genE0ELNS1_11target_archE4294967295ELNS1_3gpuE0ELNS1_3repE0EEENS1_30default_config_static_selectorELNS0_4arch9wavefront6targetE0EEEvT1_.uses_flat_scratch, 0
	.set _ZN7rocprim17ROCPRIM_400000_NS6detail17trampoline_kernelINS0_14default_configENS1_27scan_by_key_config_selectorIiiEEZZNS1_16scan_by_key_implILNS1_25lookback_scan_determinismE0ELb0ES3_N6thrust23THRUST_200600_302600_NS16reverse_iteratorIPKiEESD_NSA_IPiEEiN6hipcub16HIPCUB_304000_NS3MaxENSH_8EqualityEiEE10hipError_tPvRmT2_T3_T4_T5_mT6_T7_P12ihipStream_tbENKUlT_T0_E_clISt17integral_constantIbLb1EES10_EEDaSV_SW_EUlSV_E_NS1_11comp_targetILNS1_3genE0ELNS1_11target_archE4294967295ELNS1_3gpuE0ELNS1_3repE0EEENS1_30default_config_static_selectorELNS0_4arch9wavefront6targetE0EEEvT1_.has_dyn_sized_stack, 0
	.set _ZN7rocprim17ROCPRIM_400000_NS6detail17trampoline_kernelINS0_14default_configENS1_27scan_by_key_config_selectorIiiEEZZNS1_16scan_by_key_implILNS1_25lookback_scan_determinismE0ELb0ES3_N6thrust23THRUST_200600_302600_NS16reverse_iteratorIPKiEESD_NSA_IPiEEiN6hipcub16HIPCUB_304000_NS3MaxENSH_8EqualityEiEE10hipError_tPvRmT2_T3_T4_T5_mT6_T7_P12ihipStream_tbENKUlT_T0_E_clISt17integral_constantIbLb1EES10_EEDaSV_SW_EUlSV_E_NS1_11comp_targetILNS1_3genE0ELNS1_11target_archE4294967295ELNS1_3gpuE0ELNS1_3repE0EEENS1_30default_config_static_selectorELNS0_4arch9wavefront6targetE0EEEvT1_.has_recursion, 0
	.set _ZN7rocprim17ROCPRIM_400000_NS6detail17trampoline_kernelINS0_14default_configENS1_27scan_by_key_config_selectorIiiEEZZNS1_16scan_by_key_implILNS1_25lookback_scan_determinismE0ELb0ES3_N6thrust23THRUST_200600_302600_NS16reverse_iteratorIPKiEESD_NSA_IPiEEiN6hipcub16HIPCUB_304000_NS3MaxENSH_8EqualityEiEE10hipError_tPvRmT2_T3_T4_T5_mT6_T7_P12ihipStream_tbENKUlT_T0_E_clISt17integral_constantIbLb1EES10_EEDaSV_SW_EUlSV_E_NS1_11comp_targetILNS1_3genE0ELNS1_11target_archE4294967295ELNS1_3gpuE0ELNS1_3repE0EEENS1_30default_config_static_selectorELNS0_4arch9wavefront6targetE0EEEvT1_.has_indirect_call, 0
	.section	.AMDGPU.csdata,"",@progbits
; Kernel info:
; codeLenInByte = 4
; TotalNumSgprs: 0
; NumVgprs: 0
; ScratchSize: 0
; MemoryBound: 0
; FloatMode: 240
; IeeeMode: 1
; LDSByteSize: 0 bytes/workgroup (compile time only)
; SGPRBlocks: 0
; VGPRBlocks: 0
; NumSGPRsForWavesPerEU: 1
; NumVGPRsForWavesPerEU: 1
; NamedBarCnt: 0
; Occupancy: 16
; WaveLimiterHint : 0
; COMPUTE_PGM_RSRC2:SCRATCH_EN: 0
; COMPUTE_PGM_RSRC2:USER_SGPR: 2
; COMPUTE_PGM_RSRC2:TRAP_HANDLER: 0
; COMPUTE_PGM_RSRC2:TGID_X_EN: 1
; COMPUTE_PGM_RSRC2:TGID_Y_EN: 0
; COMPUTE_PGM_RSRC2:TGID_Z_EN: 0
; COMPUTE_PGM_RSRC2:TIDIG_COMP_CNT: 0
	.section	.text._ZN7rocprim17ROCPRIM_400000_NS6detail17trampoline_kernelINS0_14default_configENS1_27scan_by_key_config_selectorIiiEEZZNS1_16scan_by_key_implILNS1_25lookback_scan_determinismE0ELb0ES3_N6thrust23THRUST_200600_302600_NS16reverse_iteratorIPKiEESD_NSA_IPiEEiN6hipcub16HIPCUB_304000_NS3MaxENSH_8EqualityEiEE10hipError_tPvRmT2_T3_T4_T5_mT6_T7_P12ihipStream_tbENKUlT_T0_E_clISt17integral_constantIbLb1EES10_EEDaSV_SW_EUlSV_E_NS1_11comp_targetILNS1_3genE10ELNS1_11target_archE1201ELNS1_3gpuE5ELNS1_3repE0EEENS1_30default_config_static_selectorELNS0_4arch9wavefront6targetE0EEEvT1_,"axG",@progbits,_ZN7rocprim17ROCPRIM_400000_NS6detail17trampoline_kernelINS0_14default_configENS1_27scan_by_key_config_selectorIiiEEZZNS1_16scan_by_key_implILNS1_25lookback_scan_determinismE0ELb0ES3_N6thrust23THRUST_200600_302600_NS16reverse_iteratorIPKiEESD_NSA_IPiEEiN6hipcub16HIPCUB_304000_NS3MaxENSH_8EqualityEiEE10hipError_tPvRmT2_T3_T4_T5_mT6_T7_P12ihipStream_tbENKUlT_T0_E_clISt17integral_constantIbLb1EES10_EEDaSV_SW_EUlSV_E_NS1_11comp_targetILNS1_3genE10ELNS1_11target_archE1201ELNS1_3gpuE5ELNS1_3repE0EEENS1_30default_config_static_selectorELNS0_4arch9wavefront6targetE0EEEvT1_,comdat
	.protected	_ZN7rocprim17ROCPRIM_400000_NS6detail17trampoline_kernelINS0_14default_configENS1_27scan_by_key_config_selectorIiiEEZZNS1_16scan_by_key_implILNS1_25lookback_scan_determinismE0ELb0ES3_N6thrust23THRUST_200600_302600_NS16reverse_iteratorIPKiEESD_NSA_IPiEEiN6hipcub16HIPCUB_304000_NS3MaxENSH_8EqualityEiEE10hipError_tPvRmT2_T3_T4_T5_mT6_T7_P12ihipStream_tbENKUlT_T0_E_clISt17integral_constantIbLb1EES10_EEDaSV_SW_EUlSV_E_NS1_11comp_targetILNS1_3genE10ELNS1_11target_archE1201ELNS1_3gpuE5ELNS1_3repE0EEENS1_30default_config_static_selectorELNS0_4arch9wavefront6targetE0EEEvT1_ ; -- Begin function _ZN7rocprim17ROCPRIM_400000_NS6detail17trampoline_kernelINS0_14default_configENS1_27scan_by_key_config_selectorIiiEEZZNS1_16scan_by_key_implILNS1_25lookback_scan_determinismE0ELb0ES3_N6thrust23THRUST_200600_302600_NS16reverse_iteratorIPKiEESD_NSA_IPiEEiN6hipcub16HIPCUB_304000_NS3MaxENSH_8EqualityEiEE10hipError_tPvRmT2_T3_T4_T5_mT6_T7_P12ihipStream_tbENKUlT_T0_E_clISt17integral_constantIbLb1EES10_EEDaSV_SW_EUlSV_E_NS1_11comp_targetILNS1_3genE10ELNS1_11target_archE1201ELNS1_3gpuE5ELNS1_3repE0EEENS1_30default_config_static_selectorELNS0_4arch9wavefront6targetE0EEEvT1_
	.globl	_ZN7rocprim17ROCPRIM_400000_NS6detail17trampoline_kernelINS0_14default_configENS1_27scan_by_key_config_selectorIiiEEZZNS1_16scan_by_key_implILNS1_25lookback_scan_determinismE0ELb0ES3_N6thrust23THRUST_200600_302600_NS16reverse_iteratorIPKiEESD_NSA_IPiEEiN6hipcub16HIPCUB_304000_NS3MaxENSH_8EqualityEiEE10hipError_tPvRmT2_T3_T4_T5_mT6_T7_P12ihipStream_tbENKUlT_T0_E_clISt17integral_constantIbLb1EES10_EEDaSV_SW_EUlSV_E_NS1_11comp_targetILNS1_3genE10ELNS1_11target_archE1201ELNS1_3gpuE5ELNS1_3repE0EEENS1_30default_config_static_selectorELNS0_4arch9wavefront6targetE0EEEvT1_
	.p2align	8
	.type	_ZN7rocprim17ROCPRIM_400000_NS6detail17trampoline_kernelINS0_14default_configENS1_27scan_by_key_config_selectorIiiEEZZNS1_16scan_by_key_implILNS1_25lookback_scan_determinismE0ELb0ES3_N6thrust23THRUST_200600_302600_NS16reverse_iteratorIPKiEESD_NSA_IPiEEiN6hipcub16HIPCUB_304000_NS3MaxENSH_8EqualityEiEE10hipError_tPvRmT2_T3_T4_T5_mT6_T7_P12ihipStream_tbENKUlT_T0_E_clISt17integral_constantIbLb1EES10_EEDaSV_SW_EUlSV_E_NS1_11comp_targetILNS1_3genE10ELNS1_11target_archE1201ELNS1_3gpuE5ELNS1_3repE0EEENS1_30default_config_static_selectorELNS0_4arch9wavefront6targetE0EEEvT1_,@function
_ZN7rocprim17ROCPRIM_400000_NS6detail17trampoline_kernelINS0_14default_configENS1_27scan_by_key_config_selectorIiiEEZZNS1_16scan_by_key_implILNS1_25lookback_scan_determinismE0ELb0ES3_N6thrust23THRUST_200600_302600_NS16reverse_iteratorIPKiEESD_NSA_IPiEEiN6hipcub16HIPCUB_304000_NS3MaxENSH_8EqualityEiEE10hipError_tPvRmT2_T3_T4_T5_mT6_T7_P12ihipStream_tbENKUlT_T0_E_clISt17integral_constantIbLb1EES10_EEDaSV_SW_EUlSV_E_NS1_11comp_targetILNS1_3genE10ELNS1_11target_archE1201ELNS1_3gpuE5ELNS1_3repE0EEENS1_30default_config_static_selectorELNS0_4arch9wavefront6targetE0EEEvT1_: ; @_ZN7rocprim17ROCPRIM_400000_NS6detail17trampoline_kernelINS0_14default_configENS1_27scan_by_key_config_selectorIiiEEZZNS1_16scan_by_key_implILNS1_25lookback_scan_determinismE0ELb0ES3_N6thrust23THRUST_200600_302600_NS16reverse_iteratorIPKiEESD_NSA_IPiEEiN6hipcub16HIPCUB_304000_NS3MaxENSH_8EqualityEiEE10hipError_tPvRmT2_T3_T4_T5_mT6_T7_P12ihipStream_tbENKUlT_T0_E_clISt17integral_constantIbLb1EES10_EEDaSV_SW_EUlSV_E_NS1_11comp_targetILNS1_3genE10ELNS1_11target_archE1201ELNS1_3gpuE5ELNS1_3repE0EEENS1_30default_config_static_selectorELNS0_4arch9wavefront6targetE0EEEvT1_
; %bb.0:
	.section	.rodata,"a",@progbits
	.p2align	6, 0x0
	.amdhsa_kernel _ZN7rocprim17ROCPRIM_400000_NS6detail17trampoline_kernelINS0_14default_configENS1_27scan_by_key_config_selectorIiiEEZZNS1_16scan_by_key_implILNS1_25lookback_scan_determinismE0ELb0ES3_N6thrust23THRUST_200600_302600_NS16reverse_iteratorIPKiEESD_NSA_IPiEEiN6hipcub16HIPCUB_304000_NS3MaxENSH_8EqualityEiEE10hipError_tPvRmT2_T3_T4_T5_mT6_T7_P12ihipStream_tbENKUlT_T0_E_clISt17integral_constantIbLb1EES10_EEDaSV_SW_EUlSV_E_NS1_11comp_targetILNS1_3genE10ELNS1_11target_archE1201ELNS1_3gpuE5ELNS1_3repE0EEENS1_30default_config_static_selectorELNS0_4arch9wavefront6targetE0EEEvT1_
		.amdhsa_group_segment_fixed_size 0
		.amdhsa_private_segment_fixed_size 0
		.amdhsa_kernarg_size 112
		.amdhsa_user_sgpr_count 2
		.amdhsa_user_sgpr_dispatch_ptr 0
		.amdhsa_user_sgpr_queue_ptr 0
		.amdhsa_user_sgpr_kernarg_segment_ptr 1
		.amdhsa_user_sgpr_dispatch_id 0
		.amdhsa_user_sgpr_kernarg_preload_length 0
		.amdhsa_user_sgpr_kernarg_preload_offset 0
		.amdhsa_user_sgpr_private_segment_size 0
		.amdhsa_wavefront_size32 1
		.amdhsa_uses_dynamic_stack 0
		.amdhsa_enable_private_segment 0
		.amdhsa_system_sgpr_workgroup_id_x 1
		.amdhsa_system_sgpr_workgroup_id_y 0
		.amdhsa_system_sgpr_workgroup_id_z 0
		.amdhsa_system_sgpr_workgroup_info 0
		.amdhsa_system_vgpr_workitem_id 0
		.amdhsa_next_free_vgpr 1
		.amdhsa_next_free_sgpr 1
		.amdhsa_named_barrier_count 0
		.amdhsa_reserve_vcc 0
		.amdhsa_float_round_mode_32 0
		.amdhsa_float_round_mode_16_64 0
		.amdhsa_float_denorm_mode_32 3
		.amdhsa_float_denorm_mode_16_64 3
		.amdhsa_fp16_overflow 0
		.amdhsa_memory_ordered 1
		.amdhsa_forward_progress 1
		.amdhsa_inst_pref_size 0
		.amdhsa_round_robin_scheduling 0
		.amdhsa_exception_fp_ieee_invalid_op 0
		.amdhsa_exception_fp_denorm_src 0
		.amdhsa_exception_fp_ieee_div_zero 0
		.amdhsa_exception_fp_ieee_overflow 0
		.amdhsa_exception_fp_ieee_underflow 0
		.amdhsa_exception_fp_ieee_inexact 0
		.amdhsa_exception_int_div_zero 0
	.end_amdhsa_kernel
	.section	.text._ZN7rocprim17ROCPRIM_400000_NS6detail17trampoline_kernelINS0_14default_configENS1_27scan_by_key_config_selectorIiiEEZZNS1_16scan_by_key_implILNS1_25lookback_scan_determinismE0ELb0ES3_N6thrust23THRUST_200600_302600_NS16reverse_iteratorIPKiEESD_NSA_IPiEEiN6hipcub16HIPCUB_304000_NS3MaxENSH_8EqualityEiEE10hipError_tPvRmT2_T3_T4_T5_mT6_T7_P12ihipStream_tbENKUlT_T0_E_clISt17integral_constantIbLb1EES10_EEDaSV_SW_EUlSV_E_NS1_11comp_targetILNS1_3genE10ELNS1_11target_archE1201ELNS1_3gpuE5ELNS1_3repE0EEENS1_30default_config_static_selectorELNS0_4arch9wavefront6targetE0EEEvT1_,"axG",@progbits,_ZN7rocprim17ROCPRIM_400000_NS6detail17trampoline_kernelINS0_14default_configENS1_27scan_by_key_config_selectorIiiEEZZNS1_16scan_by_key_implILNS1_25lookback_scan_determinismE0ELb0ES3_N6thrust23THRUST_200600_302600_NS16reverse_iteratorIPKiEESD_NSA_IPiEEiN6hipcub16HIPCUB_304000_NS3MaxENSH_8EqualityEiEE10hipError_tPvRmT2_T3_T4_T5_mT6_T7_P12ihipStream_tbENKUlT_T0_E_clISt17integral_constantIbLb1EES10_EEDaSV_SW_EUlSV_E_NS1_11comp_targetILNS1_3genE10ELNS1_11target_archE1201ELNS1_3gpuE5ELNS1_3repE0EEENS1_30default_config_static_selectorELNS0_4arch9wavefront6targetE0EEEvT1_,comdat
.Lfunc_end64:
	.size	_ZN7rocprim17ROCPRIM_400000_NS6detail17trampoline_kernelINS0_14default_configENS1_27scan_by_key_config_selectorIiiEEZZNS1_16scan_by_key_implILNS1_25lookback_scan_determinismE0ELb0ES3_N6thrust23THRUST_200600_302600_NS16reverse_iteratorIPKiEESD_NSA_IPiEEiN6hipcub16HIPCUB_304000_NS3MaxENSH_8EqualityEiEE10hipError_tPvRmT2_T3_T4_T5_mT6_T7_P12ihipStream_tbENKUlT_T0_E_clISt17integral_constantIbLb1EES10_EEDaSV_SW_EUlSV_E_NS1_11comp_targetILNS1_3genE10ELNS1_11target_archE1201ELNS1_3gpuE5ELNS1_3repE0EEENS1_30default_config_static_selectorELNS0_4arch9wavefront6targetE0EEEvT1_, .Lfunc_end64-_ZN7rocprim17ROCPRIM_400000_NS6detail17trampoline_kernelINS0_14default_configENS1_27scan_by_key_config_selectorIiiEEZZNS1_16scan_by_key_implILNS1_25lookback_scan_determinismE0ELb0ES3_N6thrust23THRUST_200600_302600_NS16reverse_iteratorIPKiEESD_NSA_IPiEEiN6hipcub16HIPCUB_304000_NS3MaxENSH_8EqualityEiEE10hipError_tPvRmT2_T3_T4_T5_mT6_T7_P12ihipStream_tbENKUlT_T0_E_clISt17integral_constantIbLb1EES10_EEDaSV_SW_EUlSV_E_NS1_11comp_targetILNS1_3genE10ELNS1_11target_archE1201ELNS1_3gpuE5ELNS1_3repE0EEENS1_30default_config_static_selectorELNS0_4arch9wavefront6targetE0EEEvT1_
                                        ; -- End function
	.set _ZN7rocprim17ROCPRIM_400000_NS6detail17trampoline_kernelINS0_14default_configENS1_27scan_by_key_config_selectorIiiEEZZNS1_16scan_by_key_implILNS1_25lookback_scan_determinismE0ELb0ES3_N6thrust23THRUST_200600_302600_NS16reverse_iteratorIPKiEESD_NSA_IPiEEiN6hipcub16HIPCUB_304000_NS3MaxENSH_8EqualityEiEE10hipError_tPvRmT2_T3_T4_T5_mT6_T7_P12ihipStream_tbENKUlT_T0_E_clISt17integral_constantIbLb1EES10_EEDaSV_SW_EUlSV_E_NS1_11comp_targetILNS1_3genE10ELNS1_11target_archE1201ELNS1_3gpuE5ELNS1_3repE0EEENS1_30default_config_static_selectorELNS0_4arch9wavefront6targetE0EEEvT1_.num_vgpr, 0
	.set _ZN7rocprim17ROCPRIM_400000_NS6detail17trampoline_kernelINS0_14default_configENS1_27scan_by_key_config_selectorIiiEEZZNS1_16scan_by_key_implILNS1_25lookback_scan_determinismE0ELb0ES3_N6thrust23THRUST_200600_302600_NS16reverse_iteratorIPKiEESD_NSA_IPiEEiN6hipcub16HIPCUB_304000_NS3MaxENSH_8EqualityEiEE10hipError_tPvRmT2_T3_T4_T5_mT6_T7_P12ihipStream_tbENKUlT_T0_E_clISt17integral_constantIbLb1EES10_EEDaSV_SW_EUlSV_E_NS1_11comp_targetILNS1_3genE10ELNS1_11target_archE1201ELNS1_3gpuE5ELNS1_3repE0EEENS1_30default_config_static_selectorELNS0_4arch9wavefront6targetE0EEEvT1_.num_agpr, 0
	.set _ZN7rocprim17ROCPRIM_400000_NS6detail17trampoline_kernelINS0_14default_configENS1_27scan_by_key_config_selectorIiiEEZZNS1_16scan_by_key_implILNS1_25lookback_scan_determinismE0ELb0ES3_N6thrust23THRUST_200600_302600_NS16reverse_iteratorIPKiEESD_NSA_IPiEEiN6hipcub16HIPCUB_304000_NS3MaxENSH_8EqualityEiEE10hipError_tPvRmT2_T3_T4_T5_mT6_T7_P12ihipStream_tbENKUlT_T0_E_clISt17integral_constantIbLb1EES10_EEDaSV_SW_EUlSV_E_NS1_11comp_targetILNS1_3genE10ELNS1_11target_archE1201ELNS1_3gpuE5ELNS1_3repE0EEENS1_30default_config_static_selectorELNS0_4arch9wavefront6targetE0EEEvT1_.numbered_sgpr, 0
	.set _ZN7rocprim17ROCPRIM_400000_NS6detail17trampoline_kernelINS0_14default_configENS1_27scan_by_key_config_selectorIiiEEZZNS1_16scan_by_key_implILNS1_25lookback_scan_determinismE0ELb0ES3_N6thrust23THRUST_200600_302600_NS16reverse_iteratorIPKiEESD_NSA_IPiEEiN6hipcub16HIPCUB_304000_NS3MaxENSH_8EqualityEiEE10hipError_tPvRmT2_T3_T4_T5_mT6_T7_P12ihipStream_tbENKUlT_T0_E_clISt17integral_constantIbLb1EES10_EEDaSV_SW_EUlSV_E_NS1_11comp_targetILNS1_3genE10ELNS1_11target_archE1201ELNS1_3gpuE5ELNS1_3repE0EEENS1_30default_config_static_selectorELNS0_4arch9wavefront6targetE0EEEvT1_.num_named_barrier, 0
	.set _ZN7rocprim17ROCPRIM_400000_NS6detail17trampoline_kernelINS0_14default_configENS1_27scan_by_key_config_selectorIiiEEZZNS1_16scan_by_key_implILNS1_25lookback_scan_determinismE0ELb0ES3_N6thrust23THRUST_200600_302600_NS16reverse_iteratorIPKiEESD_NSA_IPiEEiN6hipcub16HIPCUB_304000_NS3MaxENSH_8EqualityEiEE10hipError_tPvRmT2_T3_T4_T5_mT6_T7_P12ihipStream_tbENKUlT_T0_E_clISt17integral_constantIbLb1EES10_EEDaSV_SW_EUlSV_E_NS1_11comp_targetILNS1_3genE10ELNS1_11target_archE1201ELNS1_3gpuE5ELNS1_3repE0EEENS1_30default_config_static_selectorELNS0_4arch9wavefront6targetE0EEEvT1_.private_seg_size, 0
	.set _ZN7rocprim17ROCPRIM_400000_NS6detail17trampoline_kernelINS0_14default_configENS1_27scan_by_key_config_selectorIiiEEZZNS1_16scan_by_key_implILNS1_25lookback_scan_determinismE0ELb0ES3_N6thrust23THRUST_200600_302600_NS16reverse_iteratorIPKiEESD_NSA_IPiEEiN6hipcub16HIPCUB_304000_NS3MaxENSH_8EqualityEiEE10hipError_tPvRmT2_T3_T4_T5_mT6_T7_P12ihipStream_tbENKUlT_T0_E_clISt17integral_constantIbLb1EES10_EEDaSV_SW_EUlSV_E_NS1_11comp_targetILNS1_3genE10ELNS1_11target_archE1201ELNS1_3gpuE5ELNS1_3repE0EEENS1_30default_config_static_selectorELNS0_4arch9wavefront6targetE0EEEvT1_.uses_vcc, 0
	.set _ZN7rocprim17ROCPRIM_400000_NS6detail17trampoline_kernelINS0_14default_configENS1_27scan_by_key_config_selectorIiiEEZZNS1_16scan_by_key_implILNS1_25lookback_scan_determinismE0ELb0ES3_N6thrust23THRUST_200600_302600_NS16reverse_iteratorIPKiEESD_NSA_IPiEEiN6hipcub16HIPCUB_304000_NS3MaxENSH_8EqualityEiEE10hipError_tPvRmT2_T3_T4_T5_mT6_T7_P12ihipStream_tbENKUlT_T0_E_clISt17integral_constantIbLb1EES10_EEDaSV_SW_EUlSV_E_NS1_11comp_targetILNS1_3genE10ELNS1_11target_archE1201ELNS1_3gpuE5ELNS1_3repE0EEENS1_30default_config_static_selectorELNS0_4arch9wavefront6targetE0EEEvT1_.uses_flat_scratch, 0
	.set _ZN7rocprim17ROCPRIM_400000_NS6detail17trampoline_kernelINS0_14default_configENS1_27scan_by_key_config_selectorIiiEEZZNS1_16scan_by_key_implILNS1_25lookback_scan_determinismE0ELb0ES3_N6thrust23THRUST_200600_302600_NS16reverse_iteratorIPKiEESD_NSA_IPiEEiN6hipcub16HIPCUB_304000_NS3MaxENSH_8EqualityEiEE10hipError_tPvRmT2_T3_T4_T5_mT6_T7_P12ihipStream_tbENKUlT_T0_E_clISt17integral_constantIbLb1EES10_EEDaSV_SW_EUlSV_E_NS1_11comp_targetILNS1_3genE10ELNS1_11target_archE1201ELNS1_3gpuE5ELNS1_3repE0EEENS1_30default_config_static_selectorELNS0_4arch9wavefront6targetE0EEEvT1_.has_dyn_sized_stack, 0
	.set _ZN7rocprim17ROCPRIM_400000_NS6detail17trampoline_kernelINS0_14default_configENS1_27scan_by_key_config_selectorIiiEEZZNS1_16scan_by_key_implILNS1_25lookback_scan_determinismE0ELb0ES3_N6thrust23THRUST_200600_302600_NS16reverse_iteratorIPKiEESD_NSA_IPiEEiN6hipcub16HIPCUB_304000_NS3MaxENSH_8EqualityEiEE10hipError_tPvRmT2_T3_T4_T5_mT6_T7_P12ihipStream_tbENKUlT_T0_E_clISt17integral_constantIbLb1EES10_EEDaSV_SW_EUlSV_E_NS1_11comp_targetILNS1_3genE10ELNS1_11target_archE1201ELNS1_3gpuE5ELNS1_3repE0EEENS1_30default_config_static_selectorELNS0_4arch9wavefront6targetE0EEEvT1_.has_recursion, 0
	.set _ZN7rocprim17ROCPRIM_400000_NS6detail17trampoline_kernelINS0_14default_configENS1_27scan_by_key_config_selectorIiiEEZZNS1_16scan_by_key_implILNS1_25lookback_scan_determinismE0ELb0ES3_N6thrust23THRUST_200600_302600_NS16reverse_iteratorIPKiEESD_NSA_IPiEEiN6hipcub16HIPCUB_304000_NS3MaxENSH_8EqualityEiEE10hipError_tPvRmT2_T3_T4_T5_mT6_T7_P12ihipStream_tbENKUlT_T0_E_clISt17integral_constantIbLb1EES10_EEDaSV_SW_EUlSV_E_NS1_11comp_targetILNS1_3genE10ELNS1_11target_archE1201ELNS1_3gpuE5ELNS1_3repE0EEENS1_30default_config_static_selectorELNS0_4arch9wavefront6targetE0EEEvT1_.has_indirect_call, 0
	.section	.AMDGPU.csdata,"",@progbits
; Kernel info:
; codeLenInByte = 0
; TotalNumSgprs: 0
; NumVgprs: 0
; ScratchSize: 0
; MemoryBound: 0
; FloatMode: 240
; IeeeMode: 1
; LDSByteSize: 0 bytes/workgroup (compile time only)
; SGPRBlocks: 0
; VGPRBlocks: 0
; NumSGPRsForWavesPerEU: 1
; NumVGPRsForWavesPerEU: 1
; NamedBarCnt: 0
; Occupancy: 16
; WaveLimiterHint : 0
; COMPUTE_PGM_RSRC2:SCRATCH_EN: 0
; COMPUTE_PGM_RSRC2:USER_SGPR: 2
; COMPUTE_PGM_RSRC2:TRAP_HANDLER: 0
; COMPUTE_PGM_RSRC2:TGID_X_EN: 1
; COMPUTE_PGM_RSRC2:TGID_Y_EN: 0
; COMPUTE_PGM_RSRC2:TGID_Z_EN: 0
; COMPUTE_PGM_RSRC2:TIDIG_COMP_CNT: 0
	.section	.text._ZN7rocprim17ROCPRIM_400000_NS6detail17trampoline_kernelINS0_14default_configENS1_27scan_by_key_config_selectorIiiEEZZNS1_16scan_by_key_implILNS1_25lookback_scan_determinismE0ELb0ES3_N6thrust23THRUST_200600_302600_NS16reverse_iteratorIPKiEESD_NSA_IPiEEiN6hipcub16HIPCUB_304000_NS3MaxENSH_8EqualityEiEE10hipError_tPvRmT2_T3_T4_T5_mT6_T7_P12ihipStream_tbENKUlT_T0_E_clISt17integral_constantIbLb1EES10_EEDaSV_SW_EUlSV_E_NS1_11comp_targetILNS1_3genE5ELNS1_11target_archE942ELNS1_3gpuE9ELNS1_3repE0EEENS1_30default_config_static_selectorELNS0_4arch9wavefront6targetE0EEEvT1_,"axG",@progbits,_ZN7rocprim17ROCPRIM_400000_NS6detail17trampoline_kernelINS0_14default_configENS1_27scan_by_key_config_selectorIiiEEZZNS1_16scan_by_key_implILNS1_25lookback_scan_determinismE0ELb0ES3_N6thrust23THRUST_200600_302600_NS16reverse_iteratorIPKiEESD_NSA_IPiEEiN6hipcub16HIPCUB_304000_NS3MaxENSH_8EqualityEiEE10hipError_tPvRmT2_T3_T4_T5_mT6_T7_P12ihipStream_tbENKUlT_T0_E_clISt17integral_constantIbLb1EES10_EEDaSV_SW_EUlSV_E_NS1_11comp_targetILNS1_3genE5ELNS1_11target_archE942ELNS1_3gpuE9ELNS1_3repE0EEENS1_30default_config_static_selectorELNS0_4arch9wavefront6targetE0EEEvT1_,comdat
	.protected	_ZN7rocprim17ROCPRIM_400000_NS6detail17trampoline_kernelINS0_14default_configENS1_27scan_by_key_config_selectorIiiEEZZNS1_16scan_by_key_implILNS1_25lookback_scan_determinismE0ELb0ES3_N6thrust23THRUST_200600_302600_NS16reverse_iteratorIPKiEESD_NSA_IPiEEiN6hipcub16HIPCUB_304000_NS3MaxENSH_8EqualityEiEE10hipError_tPvRmT2_T3_T4_T5_mT6_T7_P12ihipStream_tbENKUlT_T0_E_clISt17integral_constantIbLb1EES10_EEDaSV_SW_EUlSV_E_NS1_11comp_targetILNS1_3genE5ELNS1_11target_archE942ELNS1_3gpuE9ELNS1_3repE0EEENS1_30default_config_static_selectorELNS0_4arch9wavefront6targetE0EEEvT1_ ; -- Begin function _ZN7rocprim17ROCPRIM_400000_NS6detail17trampoline_kernelINS0_14default_configENS1_27scan_by_key_config_selectorIiiEEZZNS1_16scan_by_key_implILNS1_25lookback_scan_determinismE0ELb0ES3_N6thrust23THRUST_200600_302600_NS16reverse_iteratorIPKiEESD_NSA_IPiEEiN6hipcub16HIPCUB_304000_NS3MaxENSH_8EqualityEiEE10hipError_tPvRmT2_T3_T4_T5_mT6_T7_P12ihipStream_tbENKUlT_T0_E_clISt17integral_constantIbLb1EES10_EEDaSV_SW_EUlSV_E_NS1_11comp_targetILNS1_3genE5ELNS1_11target_archE942ELNS1_3gpuE9ELNS1_3repE0EEENS1_30default_config_static_selectorELNS0_4arch9wavefront6targetE0EEEvT1_
	.globl	_ZN7rocprim17ROCPRIM_400000_NS6detail17trampoline_kernelINS0_14default_configENS1_27scan_by_key_config_selectorIiiEEZZNS1_16scan_by_key_implILNS1_25lookback_scan_determinismE0ELb0ES3_N6thrust23THRUST_200600_302600_NS16reverse_iteratorIPKiEESD_NSA_IPiEEiN6hipcub16HIPCUB_304000_NS3MaxENSH_8EqualityEiEE10hipError_tPvRmT2_T3_T4_T5_mT6_T7_P12ihipStream_tbENKUlT_T0_E_clISt17integral_constantIbLb1EES10_EEDaSV_SW_EUlSV_E_NS1_11comp_targetILNS1_3genE5ELNS1_11target_archE942ELNS1_3gpuE9ELNS1_3repE0EEENS1_30default_config_static_selectorELNS0_4arch9wavefront6targetE0EEEvT1_
	.p2align	8
	.type	_ZN7rocprim17ROCPRIM_400000_NS6detail17trampoline_kernelINS0_14default_configENS1_27scan_by_key_config_selectorIiiEEZZNS1_16scan_by_key_implILNS1_25lookback_scan_determinismE0ELb0ES3_N6thrust23THRUST_200600_302600_NS16reverse_iteratorIPKiEESD_NSA_IPiEEiN6hipcub16HIPCUB_304000_NS3MaxENSH_8EqualityEiEE10hipError_tPvRmT2_T3_T4_T5_mT6_T7_P12ihipStream_tbENKUlT_T0_E_clISt17integral_constantIbLb1EES10_EEDaSV_SW_EUlSV_E_NS1_11comp_targetILNS1_3genE5ELNS1_11target_archE942ELNS1_3gpuE9ELNS1_3repE0EEENS1_30default_config_static_selectorELNS0_4arch9wavefront6targetE0EEEvT1_,@function
_ZN7rocprim17ROCPRIM_400000_NS6detail17trampoline_kernelINS0_14default_configENS1_27scan_by_key_config_selectorIiiEEZZNS1_16scan_by_key_implILNS1_25lookback_scan_determinismE0ELb0ES3_N6thrust23THRUST_200600_302600_NS16reverse_iteratorIPKiEESD_NSA_IPiEEiN6hipcub16HIPCUB_304000_NS3MaxENSH_8EqualityEiEE10hipError_tPvRmT2_T3_T4_T5_mT6_T7_P12ihipStream_tbENKUlT_T0_E_clISt17integral_constantIbLb1EES10_EEDaSV_SW_EUlSV_E_NS1_11comp_targetILNS1_3genE5ELNS1_11target_archE942ELNS1_3gpuE9ELNS1_3repE0EEENS1_30default_config_static_selectorELNS0_4arch9wavefront6targetE0EEEvT1_: ; @_ZN7rocprim17ROCPRIM_400000_NS6detail17trampoline_kernelINS0_14default_configENS1_27scan_by_key_config_selectorIiiEEZZNS1_16scan_by_key_implILNS1_25lookback_scan_determinismE0ELb0ES3_N6thrust23THRUST_200600_302600_NS16reverse_iteratorIPKiEESD_NSA_IPiEEiN6hipcub16HIPCUB_304000_NS3MaxENSH_8EqualityEiEE10hipError_tPvRmT2_T3_T4_T5_mT6_T7_P12ihipStream_tbENKUlT_T0_E_clISt17integral_constantIbLb1EES10_EEDaSV_SW_EUlSV_E_NS1_11comp_targetILNS1_3genE5ELNS1_11target_archE942ELNS1_3gpuE9ELNS1_3repE0EEENS1_30default_config_static_selectorELNS0_4arch9wavefront6targetE0EEEvT1_
; %bb.0:
	.section	.rodata,"a",@progbits
	.p2align	6, 0x0
	.amdhsa_kernel _ZN7rocprim17ROCPRIM_400000_NS6detail17trampoline_kernelINS0_14default_configENS1_27scan_by_key_config_selectorIiiEEZZNS1_16scan_by_key_implILNS1_25lookback_scan_determinismE0ELb0ES3_N6thrust23THRUST_200600_302600_NS16reverse_iteratorIPKiEESD_NSA_IPiEEiN6hipcub16HIPCUB_304000_NS3MaxENSH_8EqualityEiEE10hipError_tPvRmT2_T3_T4_T5_mT6_T7_P12ihipStream_tbENKUlT_T0_E_clISt17integral_constantIbLb1EES10_EEDaSV_SW_EUlSV_E_NS1_11comp_targetILNS1_3genE5ELNS1_11target_archE942ELNS1_3gpuE9ELNS1_3repE0EEENS1_30default_config_static_selectorELNS0_4arch9wavefront6targetE0EEEvT1_
		.amdhsa_group_segment_fixed_size 0
		.amdhsa_private_segment_fixed_size 0
		.amdhsa_kernarg_size 112
		.amdhsa_user_sgpr_count 2
		.amdhsa_user_sgpr_dispatch_ptr 0
		.amdhsa_user_sgpr_queue_ptr 0
		.amdhsa_user_sgpr_kernarg_segment_ptr 1
		.amdhsa_user_sgpr_dispatch_id 0
		.amdhsa_user_sgpr_kernarg_preload_length 0
		.amdhsa_user_sgpr_kernarg_preload_offset 0
		.amdhsa_user_sgpr_private_segment_size 0
		.amdhsa_wavefront_size32 1
		.amdhsa_uses_dynamic_stack 0
		.amdhsa_enable_private_segment 0
		.amdhsa_system_sgpr_workgroup_id_x 1
		.amdhsa_system_sgpr_workgroup_id_y 0
		.amdhsa_system_sgpr_workgroup_id_z 0
		.amdhsa_system_sgpr_workgroup_info 0
		.amdhsa_system_vgpr_workitem_id 0
		.amdhsa_next_free_vgpr 1
		.amdhsa_next_free_sgpr 1
		.amdhsa_named_barrier_count 0
		.amdhsa_reserve_vcc 0
		.amdhsa_float_round_mode_32 0
		.amdhsa_float_round_mode_16_64 0
		.amdhsa_float_denorm_mode_32 3
		.amdhsa_float_denorm_mode_16_64 3
		.amdhsa_fp16_overflow 0
		.amdhsa_memory_ordered 1
		.amdhsa_forward_progress 1
		.amdhsa_inst_pref_size 0
		.amdhsa_round_robin_scheduling 0
		.amdhsa_exception_fp_ieee_invalid_op 0
		.amdhsa_exception_fp_denorm_src 0
		.amdhsa_exception_fp_ieee_div_zero 0
		.amdhsa_exception_fp_ieee_overflow 0
		.amdhsa_exception_fp_ieee_underflow 0
		.amdhsa_exception_fp_ieee_inexact 0
		.amdhsa_exception_int_div_zero 0
	.end_amdhsa_kernel
	.section	.text._ZN7rocprim17ROCPRIM_400000_NS6detail17trampoline_kernelINS0_14default_configENS1_27scan_by_key_config_selectorIiiEEZZNS1_16scan_by_key_implILNS1_25lookback_scan_determinismE0ELb0ES3_N6thrust23THRUST_200600_302600_NS16reverse_iteratorIPKiEESD_NSA_IPiEEiN6hipcub16HIPCUB_304000_NS3MaxENSH_8EqualityEiEE10hipError_tPvRmT2_T3_T4_T5_mT6_T7_P12ihipStream_tbENKUlT_T0_E_clISt17integral_constantIbLb1EES10_EEDaSV_SW_EUlSV_E_NS1_11comp_targetILNS1_3genE5ELNS1_11target_archE942ELNS1_3gpuE9ELNS1_3repE0EEENS1_30default_config_static_selectorELNS0_4arch9wavefront6targetE0EEEvT1_,"axG",@progbits,_ZN7rocprim17ROCPRIM_400000_NS6detail17trampoline_kernelINS0_14default_configENS1_27scan_by_key_config_selectorIiiEEZZNS1_16scan_by_key_implILNS1_25lookback_scan_determinismE0ELb0ES3_N6thrust23THRUST_200600_302600_NS16reverse_iteratorIPKiEESD_NSA_IPiEEiN6hipcub16HIPCUB_304000_NS3MaxENSH_8EqualityEiEE10hipError_tPvRmT2_T3_T4_T5_mT6_T7_P12ihipStream_tbENKUlT_T0_E_clISt17integral_constantIbLb1EES10_EEDaSV_SW_EUlSV_E_NS1_11comp_targetILNS1_3genE5ELNS1_11target_archE942ELNS1_3gpuE9ELNS1_3repE0EEENS1_30default_config_static_selectorELNS0_4arch9wavefront6targetE0EEEvT1_,comdat
.Lfunc_end65:
	.size	_ZN7rocprim17ROCPRIM_400000_NS6detail17trampoline_kernelINS0_14default_configENS1_27scan_by_key_config_selectorIiiEEZZNS1_16scan_by_key_implILNS1_25lookback_scan_determinismE0ELb0ES3_N6thrust23THRUST_200600_302600_NS16reverse_iteratorIPKiEESD_NSA_IPiEEiN6hipcub16HIPCUB_304000_NS3MaxENSH_8EqualityEiEE10hipError_tPvRmT2_T3_T4_T5_mT6_T7_P12ihipStream_tbENKUlT_T0_E_clISt17integral_constantIbLb1EES10_EEDaSV_SW_EUlSV_E_NS1_11comp_targetILNS1_3genE5ELNS1_11target_archE942ELNS1_3gpuE9ELNS1_3repE0EEENS1_30default_config_static_selectorELNS0_4arch9wavefront6targetE0EEEvT1_, .Lfunc_end65-_ZN7rocprim17ROCPRIM_400000_NS6detail17trampoline_kernelINS0_14default_configENS1_27scan_by_key_config_selectorIiiEEZZNS1_16scan_by_key_implILNS1_25lookback_scan_determinismE0ELb0ES3_N6thrust23THRUST_200600_302600_NS16reverse_iteratorIPKiEESD_NSA_IPiEEiN6hipcub16HIPCUB_304000_NS3MaxENSH_8EqualityEiEE10hipError_tPvRmT2_T3_T4_T5_mT6_T7_P12ihipStream_tbENKUlT_T0_E_clISt17integral_constantIbLb1EES10_EEDaSV_SW_EUlSV_E_NS1_11comp_targetILNS1_3genE5ELNS1_11target_archE942ELNS1_3gpuE9ELNS1_3repE0EEENS1_30default_config_static_selectorELNS0_4arch9wavefront6targetE0EEEvT1_
                                        ; -- End function
	.set _ZN7rocprim17ROCPRIM_400000_NS6detail17trampoline_kernelINS0_14default_configENS1_27scan_by_key_config_selectorIiiEEZZNS1_16scan_by_key_implILNS1_25lookback_scan_determinismE0ELb0ES3_N6thrust23THRUST_200600_302600_NS16reverse_iteratorIPKiEESD_NSA_IPiEEiN6hipcub16HIPCUB_304000_NS3MaxENSH_8EqualityEiEE10hipError_tPvRmT2_T3_T4_T5_mT6_T7_P12ihipStream_tbENKUlT_T0_E_clISt17integral_constantIbLb1EES10_EEDaSV_SW_EUlSV_E_NS1_11comp_targetILNS1_3genE5ELNS1_11target_archE942ELNS1_3gpuE9ELNS1_3repE0EEENS1_30default_config_static_selectorELNS0_4arch9wavefront6targetE0EEEvT1_.num_vgpr, 0
	.set _ZN7rocprim17ROCPRIM_400000_NS6detail17trampoline_kernelINS0_14default_configENS1_27scan_by_key_config_selectorIiiEEZZNS1_16scan_by_key_implILNS1_25lookback_scan_determinismE0ELb0ES3_N6thrust23THRUST_200600_302600_NS16reverse_iteratorIPKiEESD_NSA_IPiEEiN6hipcub16HIPCUB_304000_NS3MaxENSH_8EqualityEiEE10hipError_tPvRmT2_T3_T4_T5_mT6_T7_P12ihipStream_tbENKUlT_T0_E_clISt17integral_constantIbLb1EES10_EEDaSV_SW_EUlSV_E_NS1_11comp_targetILNS1_3genE5ELNS1_11target_archE942ELNS1_3gpuE9ELNS1_3repE0EEENS1_30default_config_static_selectorELNS0_4arch9wavefront6targetE0EEEvT1_.num_agpr, 0
	.set _ZN7rocprim17ROCPRIM_400000_NS6detail17trampoline_kernelINS0_14default_configENS1_27scan_by_key_config_selectorIiiEEZZNS1_16scan_by_key_implILNS1_25lookback_scan_determinismE0ELb0ES3_N6thrust23THRUST_200600_302600_NS16reverse_iteratorIPKiEESD_NSA_IPiEEiN6hipcub16HIPCUB_304000_NS3MaxENSH_8EqualityEiEE10hipError_tPvRmT2_T3_T4_T5_mT6_T7_P12ihipStream_tbENKUlT_T0_E_clISt17integral_constantIbLb1EES10_EEDaSV_SW_EUlSV_E_NS1_11comp_targetILNS1_3genE5ELNS1_11target_archE942ELNS1_3gpuE9ELNS1_3repE0EEENS1_30default_config_static_selectorELNS0_4arch9wavefront6targetE0EEEvT1_.numbered_sgpr, 0
	.set _ZN7rocprim17ROCPRIM_400000_NS6detail17trampoline_kernelINS0_14default_configENS1_27scan_by_key_config_selectorIiiEEZZNS1_16scan_by_key_implILNS1_25lookback_scan_determinismE0ELb0ES3_N6thrust23THRUST_200600_302600_NS16reverse_iteratorIPKiEESD_NSA_IPiEEiN6hipcub16HIPCUB_304000_NS3MaxENSH_8EqualityEiEE10hipError_tPvRmT2_T3_T4_T5_mT6_T7_P12ihipStream_tbENKUlT_T0_E_clISt17integral_constantIbLb1EES10_EEDaSV_SW_EUlSV_E_NS1_11comp_targetILNS1_3genE5ELNS1_11target_archE942ELNS1_3gpuE9ELNS1_3repE0EEENS1_30default_config_static_selectorELNS0_4arch9wavefront6targetE0EEEvT1_.num_named_barrier, 0
	.set _ZN7rocprim17ROCPRIM_400000_NS6detail17trampoline_kernelINS0_14default_configENS1_27scan_by_key_config_selectorIiiEEZZNS1_16scan_by_key_implILNS1_25lookback_scan_determinismE0ELb0ES3_N6thrust23THRUST_200600_302600_NS16reverse_iteratorIPKiEESD_NSA_IPiEEiN6hipcub16HIPCUB_304000_NS3MaxENSH_8EqualityEiEE10hipError_tPvRmT2_T3_T4_T5_mT6_T7_P12ihipStream_tbENKUlT_T0_E_clISt17integral_constantIbLb1EES10_EEDaSV_SW_EUlSV_E_NS1_11comp_targetILNS1_3genE5ELNS1_11target_archE942ELNS1_3gpuE9ELNS1_3repE0EEENS1_30default_config_static_selectorELNS0_4arch9wavefront6targetE0EEEvT1_.private_seg_size, 0
	.set _ZN7rocprim17ROCPRIM_400000_NS6detail17trampoline_kernelINS0_14default_configENS1_27scan_by_key_config_selectorIiiEEZZNS1_16scan_by_key_implILNS1_25lookback_scan_determinismE0ELb0ES3_N6thrust23THRUST_200600_302600_NS16reverse_iteratorIPKiEESD_NSA_IPiEEiN6hipcub16HIPCUB_304000_NS3MaxENSH_8EqualityEiEE10hipError_tPvRmT2_T3_T4_T5_mT6_T7_P12ihipStream_tbENKUlT_T0_E_clISt17integral_constantIbLb1EES10_EEDaSV_SW_EUlSV_E_NS1_11comp_targetILNS1_3genE5ELNS1_11target_archE942ELNS1_3gpuE9ELNS1_3repE0EEENS1_30default_config_static_selectorELNS0_4arch9wavefront6targetE0EEEvT1_.uses_vcc, 0
	.set _ZN7rocprim17ROCPRIM_400000_NS6detail17trampoline_kernelINS0_14default_configENS1_27scan_by_key_config_selectorIiiEEZZNS1_16scan_by_key_implILNS1_25lookback_scan_determinismE0ELb0ES3_N6thrust23THRUST_200600_302600_NS16reverse_iteratorIPKiEESD_NSA_IPiEEiN6hipcub16HIPCUB_304000_NS3MaxENSH_8EqualityEiEE10hipError_tPvRmT2_T3_T4_T5_mT6_T7_P12ihipStream_tbENKUlT_T0_E_clISt17integral_constantIbLb1EES10_EEDaSV_SW_EUlSV_E_NS1_11comp_targetILNS1_3genE5ELNS1_11target_archE942ELNS1_3gpuE9ELNS1_3repE0EEENS1_30default_config_static_selectorELNS0_4arch9wavefront6targetE0EEEvT1_.uses_flat_scratch, 0
	.set _ZN7rocprim17ROCPRIM_400000_NS6detail17trampoline_kernelINS0_14default_configENS1_27scan_by_key_config_selectorIiiEEZZNS1_16scan_by_key_implILNS1_25lookback_scan_determinismE0ELb0ES3_N6thrust23THRUST_200600_302600_NS16reverse_iteratorIPKiEESD_NSA_IPiEEiN6hipcub16HIPCUB_304000_NS3MaxENSH_8EqualityEiEE10hipError_tPvRmT2_T3_T4_T5_mT6_T7_P12ihipStream_tbENKUlT_T0_E_clISt17integral_constantIbLb1EES10_EEDaSV_SW_EUlSV_E_NS1_11comp_targetILNS1_3genE5ELNS1_11target_archE942ELNS1_3gpuE9ELNS1_3repE0EEENS1_30default_config_static_selectorELNS0_4arch9wavefront6targetE0EEEvT1_.has_dyn_sized_stack, 0
	.set _ZN7rocprim17ROCPRIM_400000_NS6detail17trampoline_kernelINS0_14default_configENS1_27scan_by_key_config_selectorIiiEEZZNS1_16scan_by_key_implILNS1_25lookback_scan_determinismE0ELb0ES3_N6thrust23THRUST_200600_302600_NS16reverse_iteratorIPKiEESD_NSA_IPiEEiN6hipcub16HIPCUB_304000_NS3MaxENSH_8EqualityEiEE10hipError_tPvRmT2_T3_T4_T5_mT6_T7_P12ihipStream_tbENKUlT_T0_E_clISt17integral_constantIbLb1EES10_EEDaSV_SW_EUlSV_E_NS1_11comp_targetILNS1_3genE5ELNS1_11target_archE942ELNS1_3gpuE9ELNS1_3repE0EEENS1_30default_config_static_selectorELNS0_4arch9wavefront6targetE0EEEvT1_.has_recursion, 0
	.set _ZN7rocprim17ROCPRIM_400000_NS6detail17trampoline_kernelINS0_14default_configENS1_27scan_by_key_config_selectorIiiEEZZNS1_16scan_by_key_implILNS1_25lookback_scan_determinismE0ELb0ES3_N6thrust23THRUST_200600_302600_NS16reverse_iteratorIPKiEESD_NSA_IPiEEiN6hipcub16HIPCUB_304000_NS3MaxENSH_8EqualityEiEE10hipError_tPvRmT2_T3_T4_T5_mT6_T7_P12ihipStream_tbENKUlT_T0_E_clISt17integral_constantIbLb1EES10_EEDaSV_SW_EUlSV_E_NS1_11comp_targetILNS1_3genE5ELNS1_11target_archE942ELNS1_3gpuE9ELNS1_3repE0EEENS1_30default_config_static_selectorELNS0_4arch9wavefront6targetE0EEEvT1_.has_indirect_call, 0
	.section	.AMDGPU.csdata,"",@progbits
; Kernel info:
; codeLenInByte = 0
; TotalNumSgprs: 0
; NumVgprs: 0
; ScratchSize: 0
; MemoryBound: 0
; FloatMode: 240
; IeeeMode: 1
; LDSByteSize: 0 bytes/workgroup (compile time only)
; SGPRBlocks: 0
; VGPRBlocks: 0
; NumSGPRsForWavesPerEU: 1
; NumVGPRsForWavesPerEU: 1
; NamedBarCnt: 0
; Occupancy: 16
; WaveLimiterHint : 0
; COMPUTE_PGM_RSRC2:SCRATCH_EN: 0
; COMPUTE_PGM_RSRC2:USER_SGPR: 2
; COMPUTE_PGM_RSRC2:TRAP_HANDLER: 0
; COMPUTE_PGM_RSRC2:TGID_X_EN: 1
; COMPUTE_PGM_RSRC2:TGID_Y_EN: 0
; COMPUTE_PGM_RSRC2:TGID_Z_EN: 0
; COMPUTE_PGM_RSRC2:TIDIG_COMP_CNT: 0
	.section	.text._ZN7rocprim17ROCPRIM_400000_NS6detail17trampoline_kernelINS0_14default_configENS1_27scan_by_key_config_selectorIiiEEZZNS1_16scan_by_key_implILNS1_25lookback_scan_determinismE0ELb0ES3_N6thrust23THRUST_200600_302600_NS16reverse_iteratorIPKiEESD_NSA_IPiEEiN6hipcub16HIPCUB_304000_NS3MaxENSH_8EqualityEiEE10hipError_tPvRmT2_T3_T4_T5_mT6_T7_P12ihipStream_tbENKUlT_T0_E_clISt17integral_constantIbLb1EES10_EEDaSV_SW_EUlSV_E_NS1_11comp_targetILNS1_3genE4ELNS1_11target_archE910ELNS1_3gpuE8ELNS1_3repE0EEENS1_30default_config_static_selectorELNS0_4arch9wavefront6targetE0EEEvT1_,"axG",@progbits,_ZN7rocprim17ROCPRIM_400000_NS6detail17trampoline_kernelINS0_14default_configENS1_27scan_by_key_config_selectorIiiEEZZNS1_16scan_by_key_implILNS1_25lookback_scan_determinismE0ELb0ES3_N6thrust23THRUST_200600_302600_NS16reverse_iteratorIPKiEESD_NSA_IPiEEiN6hipcub16HIPCUB_304000_NS3MaxENSH_8EqualityEiEE10hipError_tPvRmT2_T3_T4_T5_mT6_T7_P12ihipStream_tbENKUlT_T0_E_clISt17integral_constantIbLb1EES10_EEDaSV_SW_EUlSV_E_NS1_11comp_targetILNS1_3genE4ELNS1_11target_archE910ELNS1_3gpuE8ELNS1_3repE0EEENS1_30default_config_static_selectorELNS0_4arch9wavefront6targetE0EEEvT1_,comdat
	.protected	_ZN7rocprim17ROCPRIM_400000_NS6detail17trampoline_kernelINS0_14default_configENS1_27scan_by_key_config_selectorIiiEEZZNS1_16scan_by_key_implILNS1_25lookback_scan_determinismE0ELb0ES3_N6thrust23THRUST_200600_302600_NS16reverse_iteratorIPKiEESD_NSA_IPiEEiN6hipcub16HIPCUB_304000_NS3MaxENSH_8EqualityEiEE10hipError_tPvRmT2_T3_T4_T5_mT6_T7_P12ihipStream_tbENKUlT_T0_E_clISt17integral_constantIbLb1EES10_EEDaSV_SW_EUlSV_E_NS1_11comp_targetILNS1_3genE4ELNS1_11target_archE910ELNS1_3gpuE8ELNS1_3repE0EEENS1_30default_config_static_selectorELNS0_4arch9wavefront6targetE0EEEvT1_ ; -- Begin function _ZN7rocprim17ROCPRIM_400000_NS6detail17trampoline_kernelINS0_14default_configENS1_27scan_by_key_config_selectorIiiEEZZNS1_16scan_by_key_implILNS1_25lookback_scan_determinismE0ELb0ES3_N6thrust23THRUST_200600_302600_NS16reverse_iteratorIPKiEESD_NSA_IPiEEiN6hipcub16HIPCUB_304000_NS3MaxENSH_8EqualityEiEE10hipError_tPvRmT2_T3_T4_T5_mT6_T7_P12ihipStream_tbENKUlT_T0_E_clISt17integral_constantIbLb1EES10_EEDaSV_SW_EUlSV_E_NS1_11comp_targetILNS1_3genE4ELNS1_11target_archE910ELNS1_3gpuE8ELNS1_3repE0EEENS1_30default_config_static_selectorELNS0_4arch9wavefront6targetE0EEEvT1_
	.globl	_ZN7rocprim17ROCPRIM_400000_NS6detail17trampoline_kernelINS0_14default_configENS1_27scan_by_key_config_selectorIiiEEZZNS1_16scan_by_key_implILNS1_25lookback_scan_determinismE0ELb0ES3_N6thrust23THRUST_200600_302600_NS16reverse_iteratorIPKiEESD_NSA_IPiEEiN6hipcub16HIPCUB_304000_NS3MaxENSH_8EqualityEiEE10hipError_tPvRmT2_T3_T4_T5_mT6_T7_P12ihipStream_tbENKUlT_T0_E_clISt17integral_constantIbLb1EES10_EEDaSV_SW_EUlSV_E_NS1_11comp_targetILNS1_3genE4ELNS1_11target_archE910ELNS1_3gpuE8ELNS1_3repE0EEENS1_30default_config_static_selectorELNS0_4arch9wavefront6targetE0EEEvT1_
	.p2align	8
	.type	_ZN7rocprim17ROCPRIM_400000_NS6detail17trampoline_kernelINS0_14default_configENS1_27scan_by_key_config_selectorIiiEEZZNS1_16scan_by_key_implILNS1_25lookback_scan_determinismE0ELb0ES3_N6thrust23THRUST_200600_302600_NS16reverse_iteratorIPKiEESD_NSA_IPiEEiN6hipcub16HIPCUB_304000_NS3MaxENSH_8EqualityEiEE10hipError_tPvRmT2_T3_T4_T5_mT6_T7_P12ihipStream_tbENKUlT_T0_E_clISt17integral_constantIbLb1EES10_EEDaSV_SW_EUlSV_E_NS1_11comp_targetILNS1_3genE4ELNS1_11target_archE910ELNS1_3gpuE8ELNS1_3repE0EEENS1_30default_config_static_selectorELNS0_4arch9wavefront6targetE0EEEvT1_,@function
_ZN7rocprim17ROCPRIM_400000_NS6detail17trampoline_kernelINS0_14default_configENS1_27scan_by_key_config_selectorIiiEEZZNS1_16scan_by_key_implILNS1_25lookback_scan_determinismE0ELb0ES3_N6thrust23THRUST_200600_302600_NS16reverse_iteratorIPKiEESD_NSA_IPiEEiN6hipcub16HIPCUB_304000_NS3MaxENSH_8EqualityEiEE10hipError_tPvRmT2_T3_T4_T5_mT6_T7_P12ihipStream_tbENKUlT_T0_E_clISt17integral_constantIbLb1EES10_EEDaSV_SW_EUlSV_E_NS1_11comp_targetILNS1_3genE4ELNS1_11target_archE910ELNS1_3gpuE8ELNS1_3repE0EEENS1_30default_config_static_selectorELNS0_4arch9wavefront6targetE0EEEvT1_: ; @_ZN7rocprim17ROCPRIM_400000_NS6detail17trampoline_kernelINS0_14default_configENS1_27scan_by_key_config_selectorIiiEEZZNS1_16scan_by_key_implILNS1_25lookback_scan_determinismE0ELb0ES3_N6thrust23THRUST_200600_302600_NS16reverse_iteratorIPKiEESD_NSA_IPiEEiN6hipcub16HIPCUB_304000_NS3MaxENSH_8EqualityEiEE10hipError_tPvRmT2_T3_T4_T5_mT6_T7_P12ihipStream_tbENKUlT_T0_E_clISt17integral_constantIbLb1EES10_EEDaSV_SW_EUlSV_E_NS1_11comp_targetILNS1_3genE4ELNS1_11target_archE910ELNS1_3gpuE8ELNS1_3repE0EEENS1_30default_config_static_selectorELNS0_4arch9wavefront6targetE0EEEvT1_
; %bb.0:
	.section	.rodata,"a",@progbits
	.p2align	6, 0x0
	.amdhsa_kernel _ZN7rocprim17ROCPRIM_400000_NS6detail17trampoline_kernelINS0_14default_configENS1_27scan_by_key_config_selectorIiiEEZZNS1_16scan_by_key_implILNS1_25lookback_scan_determinismE0ELb0ES3_N6thrust23THRUST_200600_302600_NS16reverse_iteratorIPKiEESD_NSA_IPiEEiN6hipcub16HIPCUB_304000_NS3MaxENSH_8EqualityEiEE10hipError_tPvRmT2_T3_T4_T5_mT6_T7_P12ihipStream_tbENKUlT_T0_E_clISt17integral_constantIbLb1EES10_EEDaSV_SW_EUlSV_E_NS1_11comp_targetILNS1_3genE4ELNS1_11target_archE910ELNS1_3gpuE8ELNS1_3repE0EEENS1_30default_config_static_selectorELNS0_4arch9wavefront6targetE0EEEvT1_
		.amdhsa_group_segment_fixed_size 0
		.amdhsa_private_segment_fixed_size 0
		.amdhsa_kernarg_size 112
		.amdhsa_user_sgpr_count 2
		.amdhsa_user_sgpr_dispatch_ptr 0
		.amdhsa_user_sgpr_queue_ptr 0
		.amdhsa_user_sgpr_kernarg_segment_ptr 1
		.amdhsa_user_sgpr_dispatch_id 0
		.amdhsa_user_sgpr_kernarg_preload_length 0
		.amdhsa_user_sgpr_kernarg_preload_offset 0
		.amdhsa_user_sgpr_private_segment_size 0
		.amdhsa_wavefront_size32 1
		.amdhsa_uses_dynamic_stack 0
		.amdhsa_enable_private_segment 0
		.amdhsa_system_sgpr_workgroup_id_x 1
		.amdhsa_system_sgpr_workgroup_id_y 0
		.amdhsa_system_sgpr_workgroup_id_z 0
		.amdhsa_system_sgpr_workgroup_info 0
		.amdhsa_system_vgpr_workitem_id 0
		.amdhsa_next_free_vgpr 1
		.amdhsa_next_free_sgpr 1
		.amdhsa_named_barrier_count 0
		.amdhsa_reserve_vcc 0
		.amdhsa_float_round_mode_32 0
		.amdhsa_float_round_mode_16_64 0
		.amdhsa_float_denorm_mode_32 3
		.amdhsa_float_denorm_mode_16_64 3
		.amdhsa_fp16_overflow 0
		.amdhsa_memory_ordered 1
		.amdhsa_forward_progress 1
		.amdhsa_inst_pref_size 0
		.amdhsa_round_robin_scheduling 0
		.amdhsa_exception_fp_ieee_invalid_op 0
		.amdhsa_exception_fp_denorm_src 0
		.amdhsa_exception_fp_ieee_div_zero 0
		.amdhsa_exception_fp_ieee_overflow 0
		.amdhsa_exception_fp_ieee_underflow 0
		.amdhsa_exception_fp_ieee_inexact 0
		.amdhsa_exception_int_div_zero 0
	.end_amdhsa_kernel
	.section	.text._ZN7rocprim17ROCPRIM_400000_NS6detail17trampoline_kernelINS0_14default_configENS1_27scan_by_key_config_selectorIiiEEZZNS1_16scan_by_key_implILNS1_25lookback_scan_determinismE0ELb0ES3_N6thrust23THRUST_200600_302600_NS16reverse_iteratorIPKiEESD_NSA_IPiEEiN6hipcub16HIPCUB_304000_NS3MaxENSH_8EqualityEiEE10hipError_tPvRmT2_T3_T4_T5_mT6_T7_P12ihipStream_tbENKUlT_T0_E_clISt17integral_constantIbLb1EES10_EEDaSV_SW_EUlSV_E_NS1_11comp_targetILNS1_3genE4ELNS1_11target_archE910ELNS1_3gpuE8ELNS1_3repE0EEENS1_30default_config_static_selectorELNS0_4arch9wavefront6targetE0EEEvT1_,"axG",@progbits,_ZN7rocprim17ROCPRIM_400000_NS6detail17trampoline_kernelINS0_14default_configENS1_27scan_by_key_config_selectorIiiEEZZNS1_16scan_by_key_implILNS1_25lookback_scan_determinismE0ELb0ES3_N6thrust23THRUST_200600_302600_NS16reverse_iteratorIPKiEESD_NSA_IPiEEiN6hipcub16HIPCUB_304000_NS3MaxENSH_8EqualityEiEE10hipError_tPvRmT2_T3_T4_T5_mT6_T7_P12ihipStream_tbENKUlT_T0_E_clISt17integral_constantIbLb1EES10_EEDaSV_SW_EUlSV_E_NS1_11comp_targetILNS1_3genE4ELNS1_11target_archE910ELNS1_3gpuE8ELNS1_3repE0EEENS1_30default_config_static_selectorELNS0_4arch9wavefront6targetE0EEEvT1_,comdat
.Lfunc_end66:
	.size	_ZN7rocprim17ROCPRIM_400000_NS6detail17trampoline_kernelINS0_14default_configENS1_27scan_by_key_config_selectorIiiEEZZNS1_16scan_by_key_implILNS1_25lookback_scan_determinismE0ELb0ES3_N6thrust23THRUST_200600_302600_NS16reverse_iteratorIPKiEESD_NSA_IPiEEiN6hipcub16HIPCUB_304000_NS3MaxENSH_8EqualityEiEE10hipError_tPvRmT2_T3_T4_T5_mT6_T7_P12ihipStream_tbENKUlT_T0_E_clISt17integral_constantIbLb1EES10_EEDaSV_SW_EUlSV_E_NS1_11comp_targetILNS1_3genE4ELNS1_11target_archE910ELNS1_3gpuE8ELNS1_3repE0EEENS1_30default_config_static_selectorELNS0_4arch9wavefront6targetE0EEEvT1_, .Lfunc_end66-_ZN7rocprim17ROCPRIM_400000_NS6detail17trampoline_kernelINS0_14default_configENS1_27scan_by_key_config_selectorIiiEEZZNS1_16scan_by_key_implILNS1_25lookback_scan_determinismE0ELb0ES3_N6thrust23THRUST_200600_302600_NS16reverse_iteratorIPKiEESD_NSA_IPiEEiN6hipcub16HIPCUB_304000_NS3MaxENSH_8EqualityEiEE10hipError_tPvRmT2_T3_T4_T5_mT6_T7_P12ihipStream_tbENKUlT_T0_E_clISt17integral_constantIbLb1EES10_EEDaSV_SW_EUlSV_E_NS1_11comp_targetILNS1_3genE4ELNS1_11target_archE910ELNS1_3gpuE8ELNS1_3repE0EEENS1_30default_config_static_selectorELNS0_4arch9wavefront6targetE0EEEvT1_
                                        ; -- End function
	.set _ZN7rocprim17ROCPRIM_400000_NS6detail17trampoline_kernelINS0_14default_configENS1_27scan_by_key_config_selectorIiiEEZZNS1_16scan_by_key_implILNS1_25lookback_scan_determinismE0ELb0ES3_N6thrust23THRUST_200600_302600_NS16reverse_iteratorIPKiEESD_NSA_IPiEEiN6hipcub16HIPCUB_304000_NS3MaxENSH_8EqualityEiEE10hipError_tPvRmT2_T3_T4_T5_mT6_T7_P12ihipStream_tbENKUlT_T0_E_clISt17integral_constantIbLb1EES10_EEDaSV_SW_EUlSV_E_NS1_11comp_targetILNS1_3genE4ELNS1_11target_archE910ELNS1_3gpuE8ELNS1_3repE0EEENS1_30default_config_static_selectorELNS0_4arch9wavefront6targetE0EEEvT1_.num_vgpr, 0
	.set _ZN7rocprim17ROCPRIM_400000_NS6detail17trampoline_kernelINS0_14default_configENS1_27scan_by_key_config_selectorIiiEEZZNS1_16scan_by_key_implILNS1_25lookback_scan_determinismE0ELb0ES3_N6thrust23THRUST_200600_302600_NS16reverse_iteratorIPKiEESD_NSA_IPiEEiN6hipcub16HIPCUB_304000_NS3MaxENSH_8EqualityEiEE10hipError_tPvRmT2_T3_T4_T5_mT6_T7_P12ihipStream_tbENKUlT_T0_E_clISt17integral_constantIbLb1EES10_EEDaSV_SW_EUlSV_E_NS1_11comp_targetILNS1_3genE4ELNS1_11target_archE910ELNS1_3gpuE8ELNS1_3repE0EEENS1_30default_config_static_selectorELNS0_4arch9wavefront6targetE0EEEvT1_.num_agpr, 0
	.set _ZN7rocprim17ROCPRIM_400000_NS6detail17trampoline_kernelINS0_14default_configENS1_27scan_by_key_config_selectorIiiEEZZNS1_16scan_by_key_implILNS1_25lookback_scan_determinismE0ELb0ES3_N6thrust23THRUST_200600_302600_NS16reverse_iteratorIPKiEESD_NSA_IPiEEiN6hipcub16HIPCUB_304000_NS3MaxENSH_8EqualityEiEE10hipError_tPvRmT2_T3_T4_T5_mT6_T7_P12ihipStream_tbENKUlT_T0_E_clISt17integral_constantIbLb1EES10_EEDaSV_SW_EUlSV_E_NS1_11comp_targetILNS1_3genE4ELNS1_11target_archE910ELNS1_3gpuE8ELNS1_3repE0EEENS1_30default_config_static_selectorELNS0_4arch9wavefront6targetE0EEEvT1_.numbered_sgpr, 0
	.set _ZN7rocprim17ROCPRIM_400000_NS6detail17trampoline_kernelINS0_14default_configENS1_27scan_by_key_config_selectorIiiEEZZNS1_16scan_by_key_implILNS1_25lookback_scan_determinismE0ELb0ES3_N6thrust23THRUST_200600_302600_NS16reverse_iteratorIPKiEESD_NSA_IPiEEiN6hipcub16HIPCUB_304000_NS3MaxENSH_8EqualityEiEE10hipError_tPvRmT2_T3_T4_T5_mT6_T7_P12ihipStream_tbENKUlT_T0_E_clISt17integral_constantIbLb1EES10_EEDaSV_SW_EUlSV_E_NS1_11comp_targetILNS1_3genE4ELNS1_11target_archE910ELNS1_3gpuE8ELNS1_3repE0EEENS1_30default_config_static_selectorELNS0_4arch9wavefront6targetE0EEEvT1_.num_named_barrier, 0
	.set _ZN7rocprim17ROCPRIM_400000_NS6detail17trampoline_kernelINS0_14default_configENS1_27scan_by_key_config_selectorIiiEEZZNS1_16scan_by_key_implILNS1_25lookback_scan_determinismE0ELb0ES3_N6thrust23THRUST_200600_302600_NS16reverse_iteratorIPKiEESD_NSA_IPiEEiN6hipcub16HIPCUB_304000_NS3MaxENSH_8EqualityEiEE10hipError_tPvRmT2_T3_T4_T5_mT6_T7_P12ihipStream_tbENKUlT_T0_E_clISt17integral_constantIbLb1EES10_EEDaSV_SW_EUlSV_E_NS1_11comp_targetILNS1_3genE4ELNS1_11target_archE910ELNS1_3gpuE8ELNS1_3repE0EEENS1_30default_config_static_selectorELNS0_4arch9wavefront6targetE0EEEvT1_.private_seg_size, 0
	.set _ZN7rocprim17ROCPRIM_400000_NS6detail17trampoline_kernelINS0_14default_configENS1_27scan_by_key_config_selectorIiiEEZZNS1_16scan_by_key_implILNS1_25lookback_scan_determinismE0ELb0ES3_N6thrust23THRUST_200600_302600_NS16reverse_iteratorIPKiEESD_NSA_IPiEEiN6hipcub16HIPCUB_304000_NS3MaxENSH_8EqualityEiEE10hipError_tPvRmT2_T3_T4_T5_mT6_T7_P12ihipStream_tbENKUlT_T0_E_clISt17integral_constantIbLb1EES10_EEDaSV_SW_EUlSV_E_NS1_11comp_targetILNS1_3genE4ELNS1_11target_archE910ELNS1_3gpuE8ELNS1_3repE0EEENS1_30default_config_static_selectorELNS0_4arch9wavefront6targetE0EEEvT1_.uses_vcc, 0
	.set _ZN7rocprim17ROCPRIM_400000_NS6detail17trampoline_kernelINS0_14default_configENS1_27scan_by_key_config_selectorIiiEEZZNS1_16scan_by_key_implILNS1_25lookback_scan_determinismE0ELb0ES3_N6thrust23THRUST_200600_302600_NS16reverse_iteratorIPKiEESD_NSA_IPiEEiN6hipcub16HIPCUB_304000_NS3MaxENSH_8EqualityEiEE10hipError_tPvRmT2_T3_T4_T5_mT6_T7_P12ihipStream_tbENKUlT_T0_E_clISt17integral_constantIbLb1EES10_EEDaSV_SW_EUlSV_E_NS1_11comp_targetILNS1_3genE4ELNS1_11target_archE910ELNS1_3gpuE8ELNS1_3repE0EEENS1_30default_config_static_selectorELNS0_4arch9wavefront6targetE0EEEvT1_.uses_flat_scratch, 0
	.set _ZN7rocprim17ROCPRIM_400000_NS6detail17trampoline_kernelINS0_14default_configENS1_27scan_by_key_config_selectorIiiEEZZNS1_16scan_by_key_implILNS1_25lookback_scan_determinismE0ELb0ES3_N6thrust23THRUST_200600_302600_NS16reverse_iteratorIPKiEESD_NSA_IPiEEiN6hipcub16HIPCUB_304000_NS3MaxENSH_8EqualityEiEE10hipError_tPvRmT2_T3_T4_T5_mT6_T7_P12ihipStream_tbENKUlT_T0_E_clISt17integral_constantIbLb1EES10_EEDaSV_SW_EUlSV_E_NS1_11comp_targetILNS1_3genE4ELNS1_11target_archE910ELNS1_3gpuE8ELNS1_3repE0EEENS1_30default_config_static_selectorELNS0_4arch9wavefront6targetE0EEEvT1_.has_dyn_sized_stack, 0
	.set _ZN7rocprim17ROCPRIM_400000_NS6detail17trampoline_kernelINS0_14default_configENS1_27scan_by_key_config_selectorIiiEEZZNS1_16scan_by_key_implILNS1_25lookback_scan_determinismE0ELb0ES3_N6thrust23THRUST_200600_302600_NS16reverse_iteratorIPKiEESD_NSA_IPiEEiN6hipcub16HIPCUB_304000_NS3MaxENSH_8EqualityEiEE10hipError_tPvRmT2_T3_T4_T5_mT6_T7_P12ihipStream_tbENKUlT_T0_E_clISt17integral_constantIbLb1EES10_EEDaSV_SW_EUlSV_E_NS1_11comp_targetILNS1_3genE4ELNS1_11target_archE910ELNS1_3gpuE8ELNS1_3repE0EEENS1_30default_config_static_selectorELNS0_4arch9wavefront6targetE0EEEvT1_.has_recursion, 0
	.set _ZN7rocprim17ROCPRIM_400000_NS6detail17trampoline_kernelINS0_14default_configENS1_27scan_by_key_config_selectorIiiEEZZNS1_16scan_by_key_implILNS1_25lookback_scan_determinismE0ELb0ES3_N6thrust23THRUST_200600_302600_NS16reverse_iteratorIPKiEESD_NSA_IPiEEiN6hipcub16HIPCUB_304000_NS3MaxENSH_8EqualityEiEE10hipError_tPvRmT2_T3_T4_T5_mT6_T7_P12ihipStream_tbENKUlT_T0_E_clISt17integral_constantIbLb1EES10_EEDaSV_SW_EUlSV_E_NS1_11comp_targetILNS1_3genE4ELNS1_11target_archE910ELNS1_3gpuE8ELNS1_3repE0EEENS1_30default_config_static_selectorELNS0_4arch9wavefront6targetE0EEEvT1_.has_indirect_call, 0
	.section	.AMDGPU.csdata,"",@progbits
; Kernel info:
; codeLenInByte = 0
; TotalNumSgprs: 0
; NumVgprs: 0
; ScratchSize: 0
; MemoryBound: 0
; FloatMode: 240
; IeeeMode: 1
; LDSByteSize: 0 bytes/workgroup (compile time only)
; SGPRBlocks: 0
; VGPRBlocks: 0
; NumSGPRsForWavesPerEU: 1
; NumVGPRsForWavesPerEU: 1
; NamedBarCnt: 0
; Occupancy: 16
; WaveLimiterHint : 0
; COMPUTE_PGM_RSRC2:SCRATCH_EN: 0
; COMPUTE_PGM_RSRC2:USER_SGPR: 2
; COMPUTE_PGM_RSRC2:TRAP_HANDLER: 0
; COMPUTE_PGM_RSRC2:TGID_X_EN: 1
; COMPUTE_PGM_RSRC2:TGID_Y_EN: 0
; COMPUTE_PGM_RSRC2:TGID_Z_EN: 0
; COMPUTE_PGM_RSRC2:TIDIG_COMP_CNT: 0
	.section	.text._ZN7rocprim17ROCPRIM_400000_NS6detail17trampoline_kernelINS0_14default_configENS1_27scan_by_key_config_selectorIiiEEZZNS1_16scan_by_key_implILNS1_25lookback_scan_determinismE0ELb0ES3_N6thrust23THRUST_200600_302600_NS16reverse_iteratorIPKiEESD_NSA_IPiEEiN6hipcub16HIPCUB_304000_NS3MaxENSH_8EqualityEiEE10hipError_tPvRmT2_T3_T4_T5_mT6_T7_P12ihipStream_tbENKUlT_T0_E_clISt17integral_constantIbLb1EES10_EEDaSV_SW_EUlSV_E_NS1_11comp_targetILNS1_3genE3ELNS1_11target_archE908ELNS1_3gpuE7ELNS1_3repE0EEENS1_30default_config_static_selectorELNS0_4arch9wavefront6targetE0EEEvT1_,"axG",@progbits,_ZN7rocprim17ROCPRIM_400000_NS6detail17trampoline_kernelINS0_14default_configENS1_27scan_by_key_config_selectorIiiEEZZNS1_16scan_by_key_implILNS1_25lookback_scan_determinismE0ELb0ES3_N6thrust23THRUST_200600_302600_NS16reverse_iteratorIPKiEESD_NSA_IPiEEiN6hipcub16HIPCUB_304000_NS3MaxENSH_8EqualityEiEE10hipError_tPvRmT2_T3_T4_T5_mT6_T7_P12ihipStream_tbENKUlT_T0_E_clISt17integral_constantIbLb1EES10_EEDaSV_SW_EUlSV_E_NS1_11comp_targetILNS1_3genE3ELNS1_11target_archE908ELNS1_3gpuE7ELNS1_3repE0EEENS1_30default_config_static_selectorELNS0_4arch9wavefront6targetE0EEEvT1_,comdat
	.protected	_ZN7rocprim17ROCPRIM_400000_NS6detail17trampoline_kernelINS0_14default_configENS1_27scan_by_key_config_selectorIiiEEZZNS1_16scan_by_key_implILNS1_25lookback_scan_determinismE0ELb0ES3_N6thrust23THRUST_200600_302600_NS16reverse_iteratorIPKiEESD_NSA_IPiEEiN6hipcub16HIPCUB_304000_NS3MaxENSH_8EqualityEiEE10hipError_tPvRmT2_T3_T4_T5_mT6_T7_P12ihipStream_tbENKUlT_T0_E_clISt17integral_constantIbLb1EES10_EEDaSV_SW_EUlSV_E_NS1_11comp_targetILNS1_3genE3ELNS1_11target_archE908ELNS1_3gpuE7ELNS1_3repE0EEENS1_30default_config_static_selectorELNS0_4arch9wavefront6targetE0EEEvT1_ ; -- Begin function _ZN7rocprim17ROCPRIM_400000_NS6detail17trampoline_kernelINS0_14default_configENS1_27scan_by_key_config_selectorIiiEEZZNS1_16scan_by_key_implILNS1_25lookback_scan_determinismE0ELb0ES3_N6thrust23THRUST_200600_302600_NS16reverse_iteratorIPKiEESD_NSA_IPiEEiN6hipcub16HIPCUB_304000_NS3MaxENSH_8EqualityEiEE10hipError_tPvRmT2_T3_T4_T5_mT6_T7_P12ihipStream_tbENKUlT_T0_E_clISt17integral_constantIbLb1EES10_EEDaSV_SW_EUlSV_E_NS1_11comp_targetILNS1_3genE3ELNS1_11target_archE908ELNS1_3gpuE7ELNS1_3repE0EEENS1_30default_config_static_selectorELNS0_4arch9wavefront6targetE0EEEvT1_
	.globl	_ZN7rocprim17ROCPRIM_400000_NS6detail17trampoline_kernelINS0_14default_configENS1_27scan_by_key_config_selectorIiiEEZZNS1_16scan_by_key_implILNS1_25lookback_scan_determinismE0ELb0ES3_N6thrust23THRUST_200600_302600_NS16reverse_iteratorIPKiEESD_NSA_IPiEEiN6hipcub16HIPCUB_304000_NS3MaxENSH_8EqualityEiEE10hipError_tPvRmT2_T3_T4_T5_mT6_T7_P12ihipStream_tbENKUlT_T0_E_clISt17integral_constantIbLb1EES10_EEDaSV_SW_EUlSV_E_NS1_11comp_targetILNS1_3genE3ELNS1_11target_archE908ELNS1_3gpuE7ELNS1_3repE0EEENS1_30default_config_static_selectorELNS0_4arch9wavefront6targetE0EEEvT1_
	.p2align	8
	.type	_ZN7rocprim17ROCPRIM_400000_NS6detail17trampoline_kernelINS0_14default_configENS1_27scan_by_key_config_selectorIiiEEZZNS1_16scan_by_key_implILNS1_25lookback_scan_determinismE0ELb0ES3_N6thrust23THRUST_200600_302600_NS16reverse_iteratorIPKiEESD_NSA_IPiEEiN6hipcub16HIPCUB_304000_NS3MaxENSH_8EqualityEiEE10hipError_tPvRmT2_T3_T4_T5_mT6_T7_P12ihipStream_tbENKUlT_T0_E_clISt17integral_constantIbLb1EES10_EEDaSV_SW_EUlSV_E_NS1_11comp_targetILNS1_3genE3ELNS1_11target_archE908ELNS1_3gpuE7ELNS1_3repE0EEENS1_30default_config_static_selectorELNS0_4arch9wavefront6targetE0EEEvT1_,@function
_ZN7rocprim17ROCPRIM_400000_NS6detail17trampoline_kernelINS0_14default_configENS1_27scan_by_key_config_selectorIiiEEZZNS1_16scan_by_key_implILNS1_25lookback_scan_determinismE0ELb0ES3_N6thrust23THRUST_200600_302600_NS16reverse_iteratorIPKiEESD_NSA_IPiEEiN6hipcub16HIPCUB_304000_NS3MaxENSH_8EqualityEiEE10hipError_tPvRmT2_T3_T4_T5_mT6_T7_P12ihipStream_tbENKUlT_T0_E_clISt17integral_constantIbLb1EES10_EEDaSV_SW_EUlSV_E_NS1_11comp_targetILNS1_3genE3ELNS1_11target_archE908ELNS1_3gpuE7ELNS1_3repE0EEENS1_30default_config_static_selectorELNS0_4arch9wavefront6targetE0EEEvT1_: ; @_ZN7rocprim17ROCPRIM_400000_NS6detail17trampoline_kernelINS0_14default_configENS1_27scan_by_key_config_selectorIiiEEZZNS1_16scan_by_key_implILNS1_25lookback_scan_determinismE0ELb0ES3_N6thrust23THRUST_200600_302600_NS16reverse_iteratorIPKiEESD_NSA_IPiEEiN6hipcub16HIPCUB_304000_NS3MaxENSH_8EqualityEiEE10hipError_tPvRmT2_T3_T4_T5_mT6_T7_P12ihipStream_tbENKUlT_T0_E_clISt17integral_constantIbLb1EES10_EEDaSV_SW_EUlSV_E_NS1_11comp_targetILNS1_3genE3ELNS1_11target_archE908ELNS1_3gpuE7ELNS1_3repE0EEENS1_30default_config_static_selectorELNS0_4arch9wavefront6targetE0EEEvT1_
; %bb.0:
	.section	.rodata,"a",@progbits
	.p2align	6, 0x0
	.amdhsa_kernel _ZN7rocprim17ROCPRIM_400000_NS6detail17trampoline_kernelINS0_14default_configENS1_27scan_by_key_config_selectorIiiEEZZNS1_16scan_by_key_implILNS1_25lookback_scan_determinismE0ELb0ES3_N6thrust23THRUST_200600_302600_NS16reverse_iteratorIPKiEESD_NSA_IPiEEiN6hipcub16HIPCUB_304000_NS3MaxENSH_8EqualityEiEE10hipError_tPvRmT2_T3_T4_T5_mT6_T7_P12ihipStream_tbENKUlT_T0_E_clISt17integral_constantIbLb1EES10_EEDaSV_SW_EUlSV_E_NS1_11comp_targetILNS1_3genE3ELNS1_11target_archE908ELNS1_3gpuE7ELNS1_3repE0EEENS1_30default_config_static_selectorELNS0_4arch9wavefront6targetE0EEEvT1_
		.amdhsa_group_segment_fixed_size 0
		.amdhsa_private_segment_fixed_size 0
		.amdhsa_kernarg_size 112
		.amdhsa_user_sgpr_count 2
		.amdhsa_user_sgpr_dispatch_ptr 0
		.amdhsa_user_sgpr_queue_ptr 0
		.amdhsa_user_sgpr_kernarg_segment_ptr 1
		.amdhsa_user_sgpr_dispatch_id 0
		.amdhsa_user_sgpr_kernarg_preload_length 0
		.amdhsa_user_sgpr_kernarg_preload_offset 0
		.amdhsa_user_sgpr_private_segment_size 0
		.amdhsa_wavefront_size32 1
		.amdhsa_uses_dynamic_stack 0
		.amdhsa_enable_private_segment 0
		.amdhsa_system_sgpr_workgroup_id_x 1
		.amdhsa_system_sgpr_workgroup_id_y 0
		.amdhsa_system_sgpr_workgroup_id_z 0
		.amdhsa_system_sgpr_workgroup_info 0
		.amdhsa_system_vgpr_workitem_id 0
		.amdhsa_next_free_vgpr 1
		.amdhsa_next_free_sgpr 1
		.amdhsa_named_barrier_count 0
		.amdhsa_reserve_vcc 0
		.amdhsa_float_round_mode_32 0
		.amdhsa_float_round_mode_16_64 0
		.amdhsa_float_denorm_mode_32 3
		.amdhsa_float_denorm_mode_16_64 3
		.amdhsa_fp16_overflow 0
		.amdhsa_memory_ordered 1
		.amdhsa_forward_progress 1
		.amdhsa_inst_pref_size 0
		.amdhsa_round_robin_scheduling 0
		.amdhsa_exception_fp_ieee_invalid_op 0
		.amdhsa_exception_fp_denorm_src 0
		.amdhsa_exception_fp_ieee_div_zero 0
		.amdhsa_exception_fp_ieee_overflow 0
		.amdhsa_exception_fp_ieee_underflow 0
		.amdhsa_exception_fp_ieee_inexact 0
		.amdhsa_exception_int_div_zero 0
	.end_amdhsa_kernel
	.section	.text._ZN7rocprim17ROCPRIM_400000_NS6detail17trampoline_kernelINS0_14default_configENS1_27scan_by_key_config_selectorIiiEEZZNS1_16scan_by_key_implILNS1_25lookback_scan_determinismE0ELb0ES3_N6thrust23THRUST_200600_302600_NS16reverse_iteratorIPKiEESD_NSA_IPiEEiN6hipcub16HIPCUB_304000_NS3MaxENSH_8EqualityEiEE10hipError_tPvRmT2_T3_T4_T5_mT6_T7_P12ihipStream_tbENKUlT_T0_E_clISt17integral_constantIbLb1EES10_EEDaSV_SW_EUlSV_E_NS1_11comp_targetILNS1_3genE3ELNS1_11target_archE908ELNS1_3gpuE7ELNS1_3repE0EEENS1_30default_config_static_selectorELNS0_4arch9wavefront6targetE0EEEvT1_,"axG",@progbits,_ZN7rocprim17ROCPRIM_400000_NS6detail17trampoline_kernelINS0_14default_configENS1_27scan_by_key_config_selectorIiiEEZZNS1_16scan_by_key_implILNS1_25lookback_scan_determinismE0ELb0ES3_N6thrust23THRUST_200600_302600_NS16reverse_iteratorIPKiEESD_NSA_IPiEEiN6hipcub16HIPCUB_304000_NS3MaxENSH_8EqualityEiEE10hipError_tPvRmT2_T3_T4_T5_mT6_T7_P12ihipStream_tbENKUlT_T0_E_clISt17integral_constantIbLb1EES10_EEDaSV_SW_EUlSV_E_NS1_11comp_targetILNS1_3genE3ELNS1_11target_archE908ELNS1_3gpuE7ELNS1_3repE0EEENS1_30default_config_static_selectorELNS0_4arch9wavefront6targetE0EEEvT1_,comdat
.Lfunc_end67:
	.size	_ZN7rocprim17ROCPRIM_400000_NS6detail17trampoline_kernelINS0_14default_configENS1_27scan_by_key_config_selectorIiiEEZZNS1_16scan_by_key_implILNS1_25lookback_scan_determinismE0ELb0ES3_N6thrust23THRUST_200600_302600_NS16reverse_iteratorIPKiEESD_NSA_IPiEEiN6hipcub16HIPCUB_304000_NS3MaxENSH_8EqualityEiEE10hipError_tPvRmT2_T3_T4_T5_mT6_T7_P12ihipStream_tbENKUlT_T0_E_clISt17integral_constantIbLb1EES10_EEDaSV_SW_EUlSV_E_NS1_11comp_targetILNS1_3genE3ELNS1_11target_archE908ELNS1_3gpuE7ELNS1_3repE0EEENS1_30default_config_static_selectorELNS0_4arch9wavefront6targetE0EEEvT1_, .Lfunc_end67-_ZN7rocprim17ROCPRIM_400000_NS6detail17trampoline_kernelINS0_14default_configENS1_27scan_by_key_config_selectorIiiEEZZNS1_16scan_by_key_implILNS1_25lookback_scan_determinismE0ELb0ES3_N6thrust23THRUST_200600_302600_NS16reverse_iteratorIPKiEESD_NSA_IPiEEiN6hipcub16HIPCUB_304000_NS3MaxENSH_8EqualityEiEE10hipError_tPvRmT2_T3_T4_T5_mT6_T7_P12ihipStream_tbENKUlT_T0_E_clISt17integral_constantIbLb1EES10_EEDaSV_SW_EUlSV_E_NS1_11comp_targetILNS1_3genE3ELNS1_11target_archE908ELNS1_3gpuE7ELNS1_3repE0EEENS1_30default_config_static_selectorELNS0_4arch9wavefront6targetE0EEEvT1_
                                        ; -- End function
	.set _ZN7rocprim17ROCPRIM_400000_NS6detail17trampoline_kernelINS0_14default_configENS1_27scan_by_key_config_selectorIiiEEZZNS1_16scan_by_key_implILNS1_25lookback_scan_determinismE0ELb0ES3_N6thrust23THRUST_200600_302600_NS16reverse_iteratorIPKiEESD_NSA_IPiEEiN6hipcub16HIPCUB_304000_NS3MaxENSH_8EqualityEiEE10hipError_tPvRmT2_T3_T4_T5_mT6_T7_P12ihipStream_tbENKUlT_T0_E_clISt17integral_constantIbLb1EES10_EEDaSV_SW_EUlSV_E_NS1_11comp_targetILNS1_3genE3ELNS1_11target_archE908ELNS1_3gpuE7ELNS1_3repE0EEENS1_30default_config_static_selectorELNS0_4arch9wavefront6targetE0EEEvT1_.num_vgpr, 0
	.set _ZN7rocprim17ROCPRIM_400000_NS6detail17trampoline_kernelINS0_14default_configENS1_27scan_by_key_config_selectorIiiEEZZNS1_16scan_by_key_implILNS1_25lookback_scan_determinismE0ELb0ES3_N6thrust23THRUST_200600_302600_NS16reverse_iteratorIPKiEESD_NSA_IPiEEiN6hipcub16HIPCUB_304000_NS3MaxENSH_8EqualityEiEE10hipError_tPvRmT2_T3_T4_T5_mT6_T7_P12ihipStream_tbENKUlT_T0_E_clISt17integral_constantIbLb1EES10_EEDaSV_SW_EUlSV_E_NS1_11comp_targetILNS1_3genE3ELNS1_11target_archE908ELNS1_3gpuE7ELNS1_3repE0EEENS1_30default_config_static_selectorELNS0_4arch9wavefront6targetE0EEEvT1_.num_agpr, 0
	.set _ZN7rocprim17ROCPRIM_400000_NS6detail17trampoline_kernelINS0_14default_configENS1_27scan_by_key_config_selectorIiiEEZZNS1_16scan_by_key_implILNS1_25lookback_scan_determinismE0ELb0ES3_N6thrust23THRUST_200600_302600_NS16reverse_iteratorIPKiEESD_NSA_IPiEEiN6hipcub16HIPCUB_304000_NS3MaxENSH_8EqualityEiEE10hipError_tPvRmT2_T3_T4_T5_mT6_T7_P12ihipStream_tbENKUlT_T0_E_clISt17integral_constantIbLb1EES10_EEDaSV_SW_EUlSV_E_NS1_11comp_targetILNS1_3genE3ELNS1_11target_archE908ELNS1_3gpuE7ELNS1_3repE0EEENS1_30default_config_static_selectorELNS0_4arch9wavefront6targetE0EEEvT1_.numbered_sgpr, 0
	.set _ZN7rocprim17ROCPRIM_400000_NS6detail17trampoline_kernelINS0_14default_configENS1_27scan_by_key_config_selectorIiiEEZZNS1_16scan_by_key_implILNS1_25lookback_scan_determinismE0ELb0ES3_N6thrust23THRUST_200600_302600_NS16reverse_iteratorIPKiEESD_NSA_IPiEEiN6hipcub16HIPCUB_304000_NS3MaxENSH_8EqualityEiEE10hipError_tPvRmT2_T3_T4_T5_mT6_T7_P12ihipStream_tbENKUlT_T0_E_clISt17integral_constantIbLb1EES10_EEDaSV_SW_EUlSV_E_NS1_11comp_targetILNS1_3genE3ELNS1_11target_archE908ELNS1_3gpuE7ELNS1_3repE0EEENS1_30default_config_static_selectorELNS0_4arch9wavefront6targetE0EEEvT1_.num_named_barrier, 0
	.set _ZN7rocprim17ROCPRIM_400000_NS6detail17trampoline_kernelINS0_14default_configENS1_27scan_by_key_config_selectorIiiEEZZNS1_16scan_by_key_implILNS1_25lookback_scan_determinismE0ELb0ES3_N6thrust23THRUST_200600_302600_NS16reverse_iteratorIPKiEESD_NSA_IPiEEiN6hipcub16HIPCUB_304000_NS3MaxENSH_8EqualityEiEE10hipError_tPvRmT2_T3_T4_T5_mT6_T7_P12ihipStream_tbENKUlT_T0_E_clISt17integral_constantIbLb1EES10_EEDaSV_SW_EUlSV_E_NS1_11comp_targetILNS1_3genE3ELNS1_11target_archE908ELNS1_3gpuE7ELNS1_3repE0EEENS1_30default_config_static_selectorELNS0_4arch9wavefront6targetE0EEEvT1_.private_seg_size, 0
	.set _ZN7rocprim17ROCPRIM_400000_NS6detail17trampoline_kernelINS0_14default_configENS1_27scan_by_key_config_selectorIiiEEZZNS1_16scan_by_key_implILNS1_25lookback_scan_determinismE0ELb0ES3_N6thrust23THRUST_200600_302600_NS16reverse_iteratorIPKiEESD_NSA_IPiEEiN6hipcub16HIPCUB_304000_NS3MaxENSH_8EqualityEiEE10hipError_tPvRmT2_T3_T4_T5_mT6_T7_P12ihipStream_tbENKUlT_T0_E_clISt17integral_constantIbLb1EES10_EEDaSV_SW_EUlSV_E_NS1_11comp_targetILNS1_3genE3ELNS1_11target_archE908ELNS1_3gpuE7ELNS1_3repE0EEENS1_30default_config_static_selectorELNS0_4arch9wavefront6targetE0EEEvT1_.uses_vcc, 0
	.set _ZN7rocprim17ROCPRIM_400000_NS6detail17trampoline_kernelINS0_14default_configENS1_27scan_by_key_config_selectorIiiEEZZNS1_16scan_by_key_implILNS1_25lookback_scan_determinismE0ELb0ES3_N6thrust23THRUST_200600_302600_NS16reverse_iteratorIPKiEESD_NSA_IPiEEiN6hipcub16HIPCUB_304000_NS3MaxENSH_8EqualityEiEE10hipError_tPvRmT2_T3_T4_T5_mT6_T7_P12ihipStream_tbENKUlT_T0_E_clISt17integral_constantIbLb1EES10_EEDaSV_SW_EUlSV_E_NS1_11comp_targetILNS1_3genE3ELNS1_11target_archE908ELNS1_3gpuE7ELNS1_3repE0EEENS1_30default_config_static_selectorELNS0_4arch9wavefront6targetE0EEEvT1_.uses_flat_scratch, 0
	.set _ZN7rocprim17ROCPRIM_400000_NS6detail17trampoline_kernelINS0_14default_configENS1_27scan_by_key_config_selectorIiiEEZZNS1_16scan_by_key_implILNS1_25lookback_scan_determinismE0ELb0ES3_N6thrust23THRUST_200600_302600_NS16reverse_iteratorIPKiEESD_NSA_IPiEEiN6hipcub16HIPCUB_304000_NS3MaxENSH_8EqualityEiEE10hipError_tPvRmT2_T3_T4_T5_mT6_T7_P12ihipStream_tbENKUlT_T0_E_clISt17integral_constantIbLb1EES10_EEDaSV_SW_EUlSV_E_NS1_11comp_targetILNS1_3genE3ELNS1_11target_archE908ELNS1_3gpuE7ELNS1_3repE0EEENS1_30default_config_static_selectorELNS0_4arch9wavefront6targetE0EEEvT1_.has_dyn_sized_stack, 0
	.set _ZN7rocprim17ROCPRIM_400000_NS6detail17trampoline_kernelINS0_14default_configENS1_27scan_by_key_config_selectorIiiEEZZNS1_16scan_by_key_implILNS1_25lookback_scan_determinismE0ELb0ES3_N6thrust23THRUST_200600_302600_NS16reverse_iteratorIPKiEESD_NSA_IPiEEiN6hipcub16HIPCUB_304000_NS3MaxENSH_8EqualityEiEE10hipError_tPvRmT2_T3_T4_T5_mT6_T7_P12ihipStream_tbENKUlT_T0_E_clISt17integral_constantIbLb1EES10_EEDaSV_SW_EUlSV_E_NS1_11comp_targetILNS1_3genE3ELNS1_11target_archE908ELNS1_3gpuE7ELNS1_3repE0EEENS1_30default_config_static_selectorELNS0_4arch9wavefront6targetE0EEEvT1_.has_recursion, 0
	.set _ZN7rocprim17ROCPRIM_400000_NS6detail17trampoline_kernelINS0_14default_configENS1_27scan_by_key_config_selectorIiiEEZZNS1_16scan_by_key_implILNS1_25lookback_scan_determinismE0ELb0ES3_N6thrust23THRUST_200600_302600_NS16reverse_iteratorIPKiEESD_NSA_IPiEEiN6hipcub16HIPCUB_304000_NS3MaxENSH_8EqualityEiEE10hipError_tPvRmT2_T3_T4_T5_mT6_T7_P12ihipStream_tbENKUlT_T0_E_clISt17integral_constantIbLb1EES10_EEDaSV_SW_EUlSV_E_NS1_11comp_targetILNS1_3genE3ELNS1_11target_archE908ELNS1_3gpuE7ELNS1_3repE0EEENS1_30default_config_static_selectorELNS0_4arch9wavefront6targetE0EEEvT1_.has_indirect_call, 0
	.section	.AMDGPU.csdata,"",@progbits
; Kernel info:
; codeLenInByte = 0
; TotalNumSgprs: 0
; NumVgprs: 0
; ScratchSize: 0
; MemoryBound: 0
; FloatMode: 240
; IeeeMode: 1
; LDSByteSize: 0 bytes/workgroup (compile time only)
; SGPRBlocks: 0
; VGPRBlocks: 0
; NumSGPRsForWavesPerEU: 1
; NumVGPRsForWavesPerEU: 1
; NamedBarCnt: 0
; Occupancy: 16
; WaveLimiterHint : 0
; COMPUTE_PGM_RSRC2:SCRATCH_EN: 0
; COMPUTE_PGM_RSRC2:USER_SGPR: 2
; COMPUTE_PGM_RSRC2:TRAP_HANDLER: 0
; COMPUTE_PGM_RSRC2:TGID_X_EN: 1
; COMPUTE_PGM_RSRC2:TGID_Y_EN: 0
; COMPUTE_PGM_RSRC2:TGID_Z_EN: 0
; COMPUTE_PGM_RSRC2:TIDIG_COMP_CNT: 0
	.section	.text._ZN7rocprim17ROCPRIM_400000_NS6detail17trampoline_kernelINS0_14default_configENS1_27scan_by_key_config_selectorIiiEEZZNS1_16scan_by_key_implILNS1_25lookback_scan_determinismE0ELb0ES3_N6thrust23THRUST_200600_302600_NS16reverse_iteratorIPKiEESD_NSA_IPiEEiN6hipcub16HIPCUB_304000_NS3MaxENSH_8EqualityEiEE10hipError_tPvRmT2_T3_T4_T5_mT6_T7_P12ihipStream_tbENKUlT_T0_E_clISt17integral_constantIbLb1EES10_EEDaSV_SW_EUlSV_E_NS1_11comp_targetILNS1_3genE2ELNS1_11target_archE906ELNS1_3gpuE6ELNS1_3repE0EEENS1_30default_config_static_selectorELNS0_4arch9wavefront6targetE0EEEvT1_,"axG",@progbits,_ZN7rocprim17ROCPRIM_400000_NS6detail17trampoline_kernelINS0_14default_configENS1_27scan_by_key_config_selectorIiiEEZZNS1_16scan_by_key_implILNS1_25lookback_scan_determinismE0ELb0ES3_N6thrust23THRUST_200600_302600_NS16reverse_iteratorIPKiEESD_NSA_IPiEEiN6hipcub16HIPCUB_304000_NS3MaxENSH_8EqualityEiEE10hipError_tPvRmT2_T3_T4_T5_mT6_T7_P12ihipStream_tbENKUlT_T0_E_clISt17integral_constantIbLb1EES10_EEDaSV_SW_EUlSV_E_NS1_11comp_targetILNS1_3genE2ELNS1_11target_archE906ELNS1_3gpuE6ELNS1_3repE0EEENS1_30default_config_static_selectorELNS0_4arch9wavefront6targetE0EEEvT1_,comdat
	.protected	_ZN7rocprim17ROCPRIM_400000_NS6detail17trampoline_kernelINS0_14default_configENS1_27scan_by_key_config_selectorIiiEEZZNS1_16scan_by_key_implILNS1_25lookback_scan_determinismE0ELb0ES3_N6thrust23THRUST_200600_302600_NS16reverse_iteratorIPKiEESD_NSA_IPiEEiN6hipcub16HIPCUB_304000_NS3MaxENSH_8EqualityEiEE10hipError_tPvRmT2_T3_T4_T5_mT6_T7_P12ihipStream_tbENKUlT_T0_E_clISt17integral_constantIbLb1EES10_EEDaSV_SW_EUlSV_E_NS1_11comp_targetILNS1_3genE2ELNS1_11target_archE906ELNS1_3gpuE6ELNS1_3repE0EEENS1_30default_config_static_selectorELNS0_4arch9wavefront6targetE0EEEvT1_ ; -- Begin function _ZN7rocprim17ROCPRIM_400000_NS6detail17trampoline_kernelINS0_14default_configENS1_27scan_by_key_config_selectorIiiEEZZNS1_16scan_by_key_implILNS1_25lookback_scan_determinismE0ELb0ES3_N6thrust23THRUST_200600_302600_NS16reverse_iteratorIPKiEESD_NSA_IPiEEiN6hipcub16HIPCUB_304000_NS3MaxENSH_8EqualityEiEE10hipError_tPvRmT2_T3_T4_T5_mT6_T7_P12ihipStream_tbENKUlT_T0_E_clISt17integral_constantIbLb1EES10_EEDaSV_SW_EUlSV_E_NS1_11comp_targetILNS1_3genE2ELNS1_11target_archE906ELNS1_3gpuE6ELNS1_3repE0EEENS1_30default_config_static_selectorELNS0_4arch9wavefront6targetE0EEEvT1_
	.globl	_ZN7rocprim17ROCPRIM_400000_NS6detail17trampoline_kernelINS0_14default_configENS1_27scan_by_key_config_selectorIiiEEZZNS1_16scan_by_key_implILNS1_25lookback_scan_determinismE0ELb0ES3_N6thrust23THRUST_200600_302600_NS16reverse_iteratorIPKiEESD_NSA_IPiEEiN6hipcub16HIPCUB_304000_NS3MaxENSH_8EqualityEiEE10hipError_tPvRmT2_T3_T4_T5_mT6_T7_P12ihipStream_tbENKUlT_T0_E_clISt17integral_constantIbLb1EES10_EEDaSV_SW_EUlSV_E_NS1_11comp_targetILNS1_3genE2ELNS1_11target_archE906ELNS1_3gpuE6ELNS1_3repE0EEENS1_30default_config_static_selectorELNS0_4arch9wavefront6targetE0EEEvT1_
	.p2align	8
	.type	_ZN7rocprim17ROCPRIM_400000_NS6detail17trampoline_kernelINS0_14default_configENS1_27scan_by_key_config_selectorIiiEEZZNS1_16scan_by_key_implILNS1_25lookback_scan_determinismE0ELb0ES3_N6thrust23THRUST_200600_302600_NS16reverse_iteratorIPKiEESD_NSA_IPiEEiN6hipcub16HIPCUB_304000_NS3MaxENSH_8EqualityEiEE10hipError_tPvRmT2_T3_T4_T5_mT6_T7_P12ihipStream_tbENKUlT_T0_E_clISt17integral_constantIbLb1EES10_EEDaSV_SW_EUlSV_E_NS1_11comp_targetILNS1_3genE2ELNS1_11target_archE906ELNS1_3gpuE6ELNS1_3repE0EEENS1_30default_config_static_selectorELNS0_4arch9wavefront6targetE0EEEvT1_,@function
_ZN7rocprim17ROCPRIM_400000_NS6detail17trampoline_kernelINS0_14default_configENS1_27scan_by_key_config_selectorIiiEEZZNS1_16scan_by_key_implILNS1_25lookback_scan_determinismE0ELb0ES3_N6thrust23THRUST_200600_302600_NS16reverse_iteratorIPKiEESD_NSA_IPiEEiN6hipcub16HIPCUB_304000_NS3MaxENSH_8EqualityEiEE10hipError_tPvRmT2_T3_T4_T5_mT6_T7_P12ihipStream_tbENKUlT_T0_E_clISt17integral_constantIbLb1EES10_EEDaSV_SW_EUlSV_E_NS1_11comp_targetILNS1_3genE2ELNS1_11target_archE906ELNS1_3gpuE6ELNS1_3repE0EEENS1_30default_config_static_selectorELNS0_4arch9wavefront6targetE0EEEvT1_: ; @_ZN7rocprim17ROCPRIM_400000_NS6detail17trampoline_kernelINS0_14default_configENS1_27scan_by_key_config_selectorIiiEEZZNS1_16scan_by_key_implILNS1_25lookback_scan_determinismE0ELb0ES3_N6thrust23THRUST_200600_302600_NS16reverse_iteratorIPKiEESD_NSA_IPiEEiN6hipcub16HIPCUB_304000_NS3MaxENSH_8EqualityEiEE10hipError_tPvRmT2_T3_T4_T5_mT6_T7_P12ihipStream_tbENKUlT_T0_E_clISt17integral_constantIbLb1EES10_EEDaSV_SW_EUlSV_E_NS1_11comp_targetILNS1_3genE2ELNS1_11target_archE906ELNS1_3gpuE6ELNS1_3repE0EEENS1_30default_config_static_selectorELNS0_4arch9wavefront6targetE0EEEvT1_
; %bb.0:
	.section	.rodata,"a",@progbits
	.p2align	6, 0x0
	.amdhsa_kernel _ZN7rocprim17ROCPRIM_400000_NS6detail17trampoline_kernelINS0_14default_configENS1_27scan_by_key_config_selectorIiiEEZZNS1_16scan_by_key_implILNS1_25lookback_scan_determinismE0ELb0ES3_N6thrust23THRUST_200600_302600_NS16reverse_iteratorIPKiEESD_NSA_IPiEEiN6hipcub16HIPCUB_304000_NS3MaxENSH_8EqualityEiEE10hipError_tPvRmT2_T3_T4_T5_mT6_T7_P12ihipStream_tbENKUlT_T0_E_clISt17integral_constantIbLb1EES10_EEDaSV_SW_EUlSV_E_NS1_11comp_targetILNS1_3genE2ELNS1_11target_archE906ELNS1_3gpuE6ELNS1_3repE0EEENS1_30default_config_static_selectorELNS0_4arch9wavefront6targetE0EEEvT1_
		.amdhsa_group_segment_fixed_size 0
		.amdhsa_private_segment_fixed_size 0
		.amdhsa_kernarg_size 112
		.amdhsa_user_sgpr_count 2
		.amdhsa_user_sgpr_dispatch_ptr 0
		.amdhsa_user_sgpr_queue_ptr 0
		.amdhsa_user_sgpr_kernarg_segment_ptr 1
		.amdhsa_user_sgpr_dispatch_id 0
		.amdhsa_user_sgpr_kernarg_preload_length 0
		.amdhsa_user_sgpr_kernarg_preload_offset 0
		.amdhsa_user_sgpr_private_segment_size 0
		.amdhsa_wavefront_size32 1
		.amdhsa_uses_dynamic_stack 0
		.amdhsa_enable_private_segment 0
		.amdhsa_system_sgpr_workgroup_id_x 1
		.amdhsa_system_sgpr_workgroup_id_y 0
		.amdhsa_system_sgpr_workgroup_id_z 0
		.amdhsa_system_sgpr_workgroup_info 0
		.amdhsa_system_vgpr_workitem_id 0
		.amdhsa_next_free_vgpr 1
		.amdhsa_next_free_sgpr 1
		.amdhsa_named_barrier_count 0
		.amdhsa_reserve_vcc 0
		.amdhsa_float_round_mode_32 0
		.amdhsa_float_round_mode_16_64 0
		.amdhsa_float_denorm_mode_32 3
		.amdhsa_float_denorm_mode_16_64 3
		.amdhsa_fp16_overflow 0
		.amdhsa_memory_ordered 1
		.amdhsa_forward_progress 1
		.amdhsa_inst_pref_size 0
		.amdhsa_round_robin_scheduling 0
		.amdhsa_exception_fp_ieee_invalid_op 0
		.amdhsa_exception_fp_denorm_src 0
		.amdhsa_exception_fp_ieee_div_zero 0
		.amdhsa_exception_fp_ieee_overflow 0
		.amdhsa_exception_fp_ieee_underflow 0
		.amdhsa_exception_fp_ieee_inexact 0
		.amdhsa_exception_int_div_zero 0
	.end_amdhsa_kernel
	.section	.text._ZN7rocprim17ROCPRIM_400000_NS6detail17trampoline_kernelINS0_14default_configENS1_27scan_by_key_config_selectorIiiEEZZNS1_16scan_by_key_implILNS1_25lookback_scan_determinismE0ELb0ES3_N6thrust23THRUST_200600_302600_NS16reverse_iteratorIPKiEESD_NSA_IPiEEiN6hipcub16HIPCUB_304000_NS3MaxENSH_8EqualityEiEE10hipError_tPvRmT2_T3_T4_T5_mT6_T7_P12ihipStream_tbENKUlT_T0_E_clISt17integral_constantIbLb1EES10_EEDaSV_SW_EUlSV_E_NS1_11comp_targetILNS1_3genE2ELNS1_11target_archE906ELNS1_3gpuE6ELNS1_3repE0EEENS1_30default_config_static_selectorELNS0_4arch9wavefront6targetE0EEEvT1_,"axG",@progbits,_ZN7rocprim17ROCPRIM_400000_NS6detail17trampoline_kernelINS0_14default_configENS1_27scan_by_key_config_selectorIiiEEZZNS1_16scan_by_key_implILNS1_25lookback_scan_determinismE0ELb0ES3_N6thrust23THRUST_200600_302600_NS16reverse_iteratorIPKiEESD_NSA_IPiEEiN6hipcub16HIPCUB_304000_NS3MaxENSH_8EqualityEiEE10hipError_tPvRmT2_T3_T4_T5_mT6_T7_P12ihipStream_tbENKUlT_T0_E_clISt17integral_constantIbLb1EES10_EEDaSV_SW_EUlSV_E_NS1_11comp_targetILNS1_3genE2ELNS1_11target_archE906ELNS1_3gpuE6ELNS1_3repE0EEENS1_30default_config_static_selectorELNS0_4arch9wavefront6targetE0EEEvT1_,comdat
.Lfunc_end68:
	.size	_ZN7rocprim17ROCPRIM_400000_NS6detail17trampoline_kernelINS0_14default_configENS1_27scan_by_key_config_selectorIiiEEZZNS1_16scan_by_key_implILNS1_25lookback_scan_determinismE0ELb0ES3_N6thrust23THRUST_200600_302600_NS16reverse_iteratorIPKiEESD_NSA_IPiEEiN6hipcub16HIPCUB_304000_NS3MaxENSH_8EqualityEiEE10hipError_tPvRmT2_T3_T4_T5_mT6_T7_P12ihipStream_tbENKUlT_T0_E_clISt17integral_constantIbLb1EES10_EEDaSV_SW_EUlSV_E_NS1_11comp_targetILNS1_3genE2ELNS1_11target_archE906ELNS1_3gpuE6ELNS1_3repE0EEENS1_30default_config_static_selectorELNS0_4arch9wavefront6targetE0EEEvT1_, .Lfunc_end68-_ZN7rocprim17ROCPRIM_400000_NS6detail17trampoline_kernelINS0_14default_configENS1_27scan_by_key_config_selectorIiiEEZZNS1_16scan_by_key_implILNS1_25lookback_scan_determinismE0ELb0ES3_N6thrust23THRUST_200600_302600_NS16reverse_iteratorIPKiEESD_NSA_IPiEEiN6hipcub16HIPCUB_304000_NS3MaxENSH_8EqualityEiEE10hipError_tPvRmT2_T3_T4_T5_mT6_T7_P12ihipStream_tbENKUlT_T0_E_clISt17integral_constantIbLb1EES10_EEDaSV_SW_EUlSV_E_NS1_11comp_targetILNS1_3genE2ELNS1_11target_archE906ELNS1_3gpuE6ELNS1_3repE0EEENS1_30default_config_static_selectorELNS0_4arch9wavefront6targetE0EEEvT1_
                                        ; -- End function
	.set _ZN7rocprim17ROCPRIM_400000_NS6detail17trampoline_kernelINS0_14default_configENS1_27scan_by_key_config_selectorIiiEEZZNS1_16scan_by_key_implILNS1_25lookback_scan_determinismE0ELb0ES3_N6thrust23THRUST_200600_302600_NS16reverse_iteratorIPKiEESD_NSA_IPiEEiN6hipcub16HIPCUB_304000_NS3MaxENSH_8EqualityEiEE10hipError_tPvRmT2_T3_T4_T5_mT6_T7_P12ihipStream_tbENKUlT_T0_E_clISt17integral_constantIbLb1EES10_EEDaSV_SW_EUlSV_E_NS1_11comp_targetILNS1_3genE2ELNS1_11target_archE906ELNS1_3gpuE6ELNS1_3repE0EEENS1_30default_config_static_selectorELNS0_4arch9wavefront6targetE0EEEvT1_.num_vgpr, 0
	.set _ZN7rocprim17ROCPRIM_400000_NS6detail17trampoline_kernelINS0_14default_configENS1_27scan_by_key_config_selectorIiiEEZZNS1_16scan_by_key_implILNS1_25lookback_scan_determinismE0ELb0ES3_N6thrust23THRUST_200600_302600_NS16reverse_iteratorIPKiEESD_NSA_IPiEEiN6hipcub16HIPCUB_304000_NS3MaxENSH_8EqualityEiEE10hipError_tPvRmT2_T3_T4_T5_mT6_T7_P12ihipStream_tbENKUlT_T0_E_clISt17integral_constantIbLb1EES10_EEDaSV_SW_EUlSV_E_NS1_11comp_targetILNS1_3genE2ELNS1_11target_archE906ELNS1_3gpuE6ELNS1_3repE0EEENS1_30default_config_static_selectorELNS0_4arch9wavefront6targetE0EEEvT1_.num_agpr, 0
	.set _ZN7rocprim17ROCPRIM_400000_NS6detail17trampoline_kernelINS0_14default_configENS1_27scan_by_key_config_selectorIiiEEZZNS1_16scan_by_key_implILNS1_25lookback_scan_determinismE0ELb0ES3_N6thrust23THRUST_200600_302600_NS16reverse_iteratorIPKiEESD_NSA_IPiEEiN6hipcub16HIPCUB_304000_NS3MaxENSH_8EqualityEiEE10hipError_tPvRmT2_T3_T4_T5_mT6_T7_P12ihipStream_tbENKUlT_T0_E_clISt17integral_constantIbLb1EES10_EEDaSV_SW_EUlSV_E_NS1_11comp_targetILNS1_3genE2ELNS1_11target_archE906ELNS1_3gpuE6ELNS1_3repE0EEENS1_30default_config_static_selectorELNS0_4arch9wavefront6targetE0EEEvT1_.numbered_sgpr, 0
	.set _ZN7rocprim17ROCPRIM_400000_NS6detail17trampoline_kernelINS0_14default_configENS1_27scan_by_key_config_selectorIiiEEZZNS1_16scan_by_key_implILNS1_25lookback_scan_determinismE0ELb0ES3_N6thrust23THRUST_200600_302600_NS16reverse_iteratorIPKiEESD_NSA_IPiEEiN6hipcub16HIPCUB_304000_NS3MaxENSH_8EqualityEiEE10hipError_tPvRmT2_T3_T4_T5_mT6_T7_P12ihipStream_tbENKUlT_T0_E_clISt17integral_constantIbLb1EES10_EEDaSV_SW_EUlSV_E_NS1_11comp_targetILNS1_3genE2ELNS1_11target_archE906ELNS1_3gpuE6ELNS1_3repE0EEENS1_30default_config_static_selectorELNS0_4arch9wavefront6targetE0EEEvT1_.num_named_barrier, 0
	.set _ZN7rocprim17ROCPRIM_400000_NS6detail17trampoline_kernelINS0_14default_configENS1_27scan_by_key_config_selectorIiiEEZZNS1_16scan_by_key_implILNS1_25lookback_scan_determinismE0ELb0ES3_N6thrust23THRUST_200600_302600_NS16reverse_iteratorIPKiEESD_NSA_IPiEEiN6hipcub16HIPCUB_304000_NS3MaxENSH_8EqualityEiEE10hipError_tPvRmT2_T3_T4_T5_mT6_T7_P12ihipStream_tbENKUlT_T0_E_clISt17integral_constantIbLb1EES10_EEDaSV_SW_EUlSV_E_NS1_11comp_targetILNS1_3genE2ELNS1_11target_archE906ELNS1_3gpuE6ELNS1_3repE0EEENS1_30default_config_static_selectorELNS0_4arch9wavefront6targetE0EEEvT1_.private_seg_size, 0
	.set _ZN7rocprim17ROCPRIM_400000_NS6detail17trampoline_kernelINS0_14default_configENS1_27scan_by_key_config_selectorIiiEEZZNS1_16scan_by_key_implILNS1_25lookback_scan_determinismE0ELb0ES3_N6thrust23THRUST_200600_302600_NS16reverse_iteratorIPKiEESD_NSA_IPiEEiN6hipcub16HIPCUB_304000_NS3MaxENSH_8EqualityEiEE10hipError_tPvRmT2_T3_T4_T5_mT6_T7_P12ihipStream_tbENKUlT_T0_E_clISt17integral_constantIbLb1EES10_EEDaSV_SW_EUlSV_E_NS1_11comp_targetILNS1_3genE2ELNS1_11target_archE906ELNS1_3gpuE6ELNS1_3repE0EEENS1_30default_config_static_selectorELNS0_4arch9wavefront6targetE0EEEvT1_.uses_vcc, 0
	.set _ZN7rocprim17ROCPRIM_400000_NS6detail17trampoline_kernelINS0_14default_configENS1_27scan_by_key_config_selectorIiiEEZZNS1_16scan_by_key_implILNS1_25lookback_scan_determinismE0ELb0ES3_N6thrust23THRUST_200600_302600_NS16reverse_iteratorIPKiEESD_NSA_IPiEEiN6hipcub16HIPCUB_304000_NS3MaxENSH_8EqualityEiEE10hipError_tPvRmT2_T3_T4_T5_mT6_T7_P12ihipStream_tbENKUlT_T0_E_clISt17integral_constantIbLb1EES10_EEDaSV_SW_EUlSV_E_NS1_11comp_targetILNS1_3genE2ELNS1_11target_archE906ELNS1_3gpuE6ELNS1_3repE0EEENS1_30default_config_static_selectorELNS0_4arch9wavefront6targetE0EEEvT1_.uses_flat_scratch, 0
	.set _ZN7rocprim17ROCPRIM_400000_NS6detail17trampoline_kernelINS0_14default_configENS1_27scan_by_key_config_selectorIiiEEZZNS1_16scan_by_key_implILNS1_25lookback_scan_determinismE0ELb0ES3_N6thrust23THRUST_200600_302600_NS16reverse_iteratorIPKiEESD_NSA_IPiEEiN6hipcub16HIPCUB_304000_NS3MaxENSH_8EqualityEiEE10hipError_tPvRmT2_T3_T4_T5_mT6_T7_P12ihipStream_tbENKUlT_T0_E_clISt17integral_constantIbLb1EES10_EEDaSV_SW_EUlSV_E_NS1_11comp_targetILNS1_3genE2ELNS1_11target_archE906ELNS1_3gpuE6ELNS1_3repE0EEENS1_30default_config_static_selectorELNS0_4arch9wavefront6targetE0EEEvT1_.has_dyn_sized_stack, 0
	.set _ZN7rocprim17ROCPRIM_400000_NS6detail17trampoline_kernelINS0_14default_configENS1_27scan_by_key_config_selectorIiiEEZZNS1_16scan_by_key_implILNS1_25lookback_scan_determinismE0ELb0ES3_N6thrust23THRUST_200600_302600_NS16reverse_iteratorIPKiEESD_NSA_IPiEEiN6hipcub16HIPCUB_304000_NS3MaxENSH_8EqualityEiEE10hipError_tPvRmT2_T3_T4_T5_mT6_T7_P12ihipStream_tbENKUlT_T0_E_clISt17integral_constantIbLb1EES10_EEDaSV_SW_EUlSV_E_NS1_11comp_targetILNS1_3genE2ELNS1_11target_archE906ELNS1_3gpuE6ELNS1_3repE0EEENS1_30default_config_static_selectorELNS0_4arch9wavefront6targetE0EEEvT1_.has_recursion, 0
	.set _ZN7rocprim17ROCPRIM_400000_NS6detail17trampoline_kernelINS0_14default_configENS1_27scan_by_key_config_selectorIiiEEZZNS1_16scan_by_key_implILNS1_25lookback_scan_determinismE0ELb0ES3_N6thrust23THRUST_200600_302600_NS16reverse_iteratorIPKiEESD_NSA_IPiEEiN6hipcub16HIPCUB_304000_NS3MaxENSH_8EqualityEiEE10hipError_tPvRmT2_T3_T4_T5_mT6_T7_P12ihipStream_tbENKUlT_T0_E_clISt17integral_constantIbLb1EES10_EEDaSV_SW_EUlSV_E_NS1_11comp_targetILNS1_3genE2ELNS1_11target_archE906ELNS1_3gpuE6ELNS1_3repE0EEENS1_30default_config_static_selectorELNS0_4arch9wavefront6targetE0EEEvT1_.has_indirect_call, 0
	.section	.AMDGPU.csdata,"",@progbits
; Kernel info:
; codeLenInByte = 0
; TotalNumSgprs: 0
; NumVgprs: 0
; ScratchSize: 0
; MemoryBound: 0
; FloatMode: 240
; IeeeMode: 1
; LDSByteSize: 0 bytes/workgroup (compile time only)
; SGPRBlocks: 0
; VGPRBlocks: 0
; NumSGPRsForWavesPerEU: 1
; NumVGPRsForWavesPerEU: 1
; NamedBarCnt: 0
; Occupancy: 16
; WaveLimiterHint : 0
; COMPUTE_PGM_RSRC2:SCRATCH_EN: 0
; COMPUTE_PGM_RSRC2:USER_SGPR: 2
; COMPUTE_PGM_RSRC2:TRAP_HANDLER: 0
; COMPUTE_PGM_RSRC2:TGID_X_EN: 1
; COMPUTE_PGM_RSRC2:TGID_Y_EN: 0
; COMPUTE_PGM_RSRC2:TGID_Z_EN: 0
; COMPUTE_PGM_RSRC2:TIDIG_COMP_CNT: 0
	.section	.text._ZN7rocprim17ROCPRIM_400000_NS6detail17trampoline_kernelINS0_14default_configENS1_27scan_by_key_config_selectorIiiEEZZNS1_16scan_by_key_implILNS1_25lookback_scan_determinismE0ELb0ES3_N6thrust23THRUST_200600_302600_NS16reverse_iteratorIPKiEESD_NSA_IPiEEiN6hipcub16HIPCUB_304000_NS3MaxENSH_8EqualityEiEE10hipError_tPvRmT2_T3_T4_T5_mT6_T7_P12ihipStream_tbENKUlT_T0_E_clISt17integral_constantIbLb1EES10_EEDaSV_SW_EUlSV_E_NS1_11comp_targetILNS1_3genE10ELNS1_11target_archE1200ELNS1_3gpuE4ELNS1_3repE0EEENS1_30default_config_static_selectorELNS0_4arch9wavefront6targetE0EEEvT1_,"axG",@progbits,_ZN7rocprim17ROCPRIM_400000_NS6detail17trampoline_kernelINS0_14default_configENS1_27scan_by_key_config_selectorIiiEEZZNS1_16scan_by_key_implILNS1_25lookback_scan_determinismE0ELb0ES3_N6thrust23THRUST_200600_302600_NS16reverse_iteratorIPKiEESD_NSA_IPiEEiN6hipcub16HIPCUB_304000_NS3MaxENSH_8EqualityEiEE10hipError_tPvRmT2_T3_T4_T5_mT6_T7_P12ihipStream_tbENKUlT_T0_E_clISt17integral_constantIbLb1EES10_EEDaSV_SW_EUlSV_E_NS1_11comp_targetILNS1_3genE10ELNS1_11target_archE1200ELNS1_3gpuE4ELNS1_3repE0EEENS1_30default_config_static_selectorELNS0_4arch9wavefront6targetE0EEEvT1_,comdat
	.protected	_ZN7rocprim17ROCPRIM_400000_NS6detail17trampoline_kernelINS0_14default_configENS1_27scan_by_key_config_selectorIiiEEZZNS1_16scan_by_key_implILNS1_25lookback_scan_determinismE0ELb0ES3_N6thrust23THRUST_200600_302600_NS16reverse_iteratorIPKiEESD_NSA_IPiEEiN6hipcub16HIPCUB_304000_NS3MaxENSH_8EqualityEiEE10hipError_tPvRmT2_T3_T4_T5_mT6_T7_P12ihipStream_tbENKUlT_T0_E_clISt17integral_constantIbLb1EES10_EEDaSV_SW_EUlSV_E_NS1_11comp_targetILNS1_3genE10ELNS1_11target_archE1200ELNS1_3gpuE4ELNS1_3repE0EEENS1_30default_config_static_selectorELNS0_4arch9wavefront6targetE0EEEvT1_ ; -- Begin function _ZN7rocprim17ROCPRIM_400000_NS6detail17trampoline_kernelINS0_14default_configENS1_27scan_by_key_config_selectorIiiEEZZNS1_16scan_by_key_implILNS1_25lookback_scan_determinismE0ELb0ES3_N6thrust23THRUST_200600_302600_NS16reverse_iteratorIPKiEESD_NSA_IPiEEiN6hipcub16HIPCUB_304000_NS3MaxENSH_8EqualityEiEE10hipError_tPvRmT2_T3_T4_T5_mT6_T7_P12ihipStream_tbENKUlT_T0_E_clISt17integral_constantIbLb1EES10_EEDaSV_SW_EUlSV_E_NS1_11comp_targetILNS1_3genE10ELNS1_11target_archE1200ELNS1_3gpuE4ELNS1_3repE0EEENS1_30default_config_static_selectorELNS0_4arch9wavefront6targetE0EEEvT1_
	.globl	_ZN7rocprim17ROCPRIM_400000_NS6detail17trampoline_kernelINS0_14default_configENS1_27scan_by_key_config_selectorIiiEEZZNS1_16scan_by_key_implILNS1_25lookback_scan_determinismE0ELb0ES3_N6thrust23THRUST_200600_302600_NS16reverse_iteratorIPKiEESD_NSA_IPiEEiN6hipcub16HIPCUB_304000_NS3MaxENSH_8EqualityEiEE10hipError_tPvRmT2_T3_T4_T5_mT6_T7_P12ihipStream_tbENKUlT_T0_E_clISt17integral_constantIbLb1EES10_EEDaSV_SW_EUlSV_E_NS1_11comp_targetILNS1_3genE10ELNS1_11target_archE1200ELNS1_3gpuE4ELNS1_3repE0EEENS1_30default_config_static_selectorELNS0_4arch9wavefront6targetE0EEEvT1_
	.p2align	8
	.type	_ZN7rocprim17ROCPRIM_400000_NS6detail17trampoline_kernelINS0_14default_configENS1_27scan_by_key_config_selectorIiiEEZZNS1_16scan_by_key_implILNS1_25lookback_scan_determinismE0ELb0ES3_N6thrust23THRUST_200600_302600_NS16reverse_iteratorIPKiEESD_NSA_IPiEEiN6hipcub16HIPCUB_304000_NS3MaxENSH_8EqualityEiEE10hipError_tPvRmT2_T3_T4_T5_mT6_T7_P12ihipStream_tbENKUlT_T0_E_clISt17integral_constantIbLb1EES10_EEDaSV_SW_EUlSV_E_NS1_11comp_targetILNS1_3genE10ELNS1_11target_archE1200ELNS1_3gpuE4ELNS1_3repE0EEENS1_30default_config_static_selectorELNS0_4arch9wavefront6targetE0EEEvT1_,@function
_ZN7rocprim17ROCPRIM_400000_NS6detail17trampoline_kernelINS0_14default_configENS1_27scan_by_key_config_selectorIiiEEZZNS1_16scan_by_key_implILNS1_25lookback_scan_determinismE0ELb0ES3_N6thrust23THRUST_200600_302600_NS16reverse_iteratorIPKiEESD_NSA_IPiEEiN6hipcub16HIPCUB_304000_NS3MaxENSH_8EqualityEiEE10hipError_tPvRmT2_T3_T4_T5_mT6_T7_P12ihipStream_tbENKUlT_T0_E_clISt17integral_constantIbLb1EES10_EEDaSV_SW_EUlSV_E_NS1_11comp_targetILNS1_3genE10ELNS1_11target_archE1200ELNS1_3gpuE4ELNS1_3repE0EEENS1_30default_config_static_selectorELNS0_4arch9wavefront6targetE0EEEvT1_: ; @_ZN7rocprim17ROCPRIM_400000_NS6detail17trampoline_kernelINS0_14default_configENS1_27scan_by_key_config_selectorIiiEEZZNS1_16scan_by_key_implILNS1_25lookback_scan_determinismE0ELb0ES3_N6thrust23THRUST_200600_302600_NS16reverse_iteratorIPKiEESD_NSA_IPiEEiN6hipcub16HIPCUB_304000_NS3MaxENSH_8EqualityEiEE10hipError_tPvRmT2_T3_T4_T5_mT6_T7_P12ihipStream_tbENKUlT_T0_E_clISt17integral_constantIbLb1EES10_EEDaSV_SW_EUlSV_E_NS1_11comp_targetILNS1_3genE10ELNS1_11target_archE1200ELNS1_3gpuE4ELNS1_3repE0EEENS1_30default_config_static_selectorELNS0_4arch9wavefront6targetE0EEEvT1_
; %bb.0:
	.section	.rodata,"a",@progbits
	.p2align	6, 0x0
	.amdhsa_kernel _ZN7rocprim17ROCPRIM_400000_NS6detail17trampoline_kernelINS0_14default_configENS1_27scan_by_key_config_selectorIiiEEZZNS1_16scan_by_key_implILNS1_25lookback_scan_determinismE0ELb0ES3_N6thrust23THRUST_200600_302600_NS16reverse_iteratorIPKiEESD_NSA_IPiEEiN6hipcub16HIPCUB_304000_NS3MaxENSH_8EqualityEiEE10hipError_tPvRmT2_T3_T4_T5_mT6_T7_P12ihipStream_tbENKUlT_T0_E_clISt17integral_constantIbLb1EES10_EEDaSV_SW_EUlSV_E_NS1_11comp_targetILNS1_3genE10ELNS1_11target_archE1200ELNS1_3gpuE4ELNS1_3repE0EEENS1_30default_config_static_selectorELNS0_4arch9wavefront6targetE0EEEvT1_
		.amdhsa_group_segment_fixed_size 0
		.amdhsa_private_segment_fixed_size 0
		.amdhsa_kernarg_size 112
		.amdhsa_user_sgpr_count 2
		.amdhsa_user_sgpr_dispatch_ptr 0
		.amdhsa_user_sgpr_queue_ptr 0
		.amdhsa_user_sgpr_kernarg_segment_ptr 1
		.amdhsa_user_sgpr_dispatch_id 0
		.amdhsa_user_sgpr_kernarg_preload_length 0
		.amdhsa_user_sgpr_kernarg_preload_offset 0
		.amdhsa_user_sgpr_private_segment_size 0
		.amdhsa_wavefront_size32 1
		.amdhsa_uses_dynamic_stack 0
		.amdhsa_enable_private_segment 0
		.amdhsa_system_sgpr_workgroup_id_x 1
		.amdhsa_system_sgpr_workgroup_id_y 0
		.amdhsa_system_sgpr_workgroup_id_z 0
		.amdhsa_system_sgpr_workgroup_info 0
		.amdhsa_system_vgpr_workitem_id 0
		.amdhsa_next_free_vgpr 1
		.amdhsa_next_free_sgpr 1
		.amdhsa_named_barrier_count 0
		.amdhsa_reserve_vcc 0
		.amdhsa_float_round_mode_32 0
		.amdhsa_float_round_mode_16_64 0
		.amdhsa_float_denorm_mode_32 3
		.amdhsa_float_denorm_mode_16_64 3
		.amdhsa_fp16_overflow 0
		.amdhsa_memory_ordered 1
		.amdhsa_forward_progress 1
		.amdhsa_inst_pref_size 0
		.amdhsa_round_robin_scheduling 0
		.amdhsa_exception_fp_ieee_invalid_op 0
		.amdhsa_exception_fp_denorm_src 0
		.amdhsa_exception_fp_ieee_div_zero 0
		.amdhsa_exception_fp_ieee_overflow 0
		.amdhsa_exception_fp_ieee_underflow 0
		.amdhsa_exception_fp_ieee_inexact 0
		.amdhsa_exception_int_div_zero 0
	.end_amdhsa_kernel
	.section	.text._ZN7rocprim17ROCPRIM_400000_NS6detail17trampoline_kernelINS0_14default_configENS1_27scan_by_key_config_selectorIiiEEZZNS1_16scan_by_key_implILNS1_25lookback_scan_determinismE0ELb0ES3_N6thrust23THRUST_200600_302600_NS16reverse_iteratorIPKiEESD_NSA_IPiEEiN6hipcub16HIPCUB_304000_NS3MaxENSH_8EqualityEiEE10hipError_tPvRmT2_T3_T4_T5_mT6_T7_P12ihipStream_tbENKUlT_T0_E_clISt17integral_constantIbLb1EES10_EEDaSV_SW_EUlSV_E_NS1_11comp_targetILNS1_3genE10ELNS1_11target_archE1200ELNS1_3gpuE4ELNS1_3repE0EEENS1_30default_config_static_selectorELNS0_4arch9wavefront6targetE0EEEvT1_,"axG",@progbits,_ZN7rocprim17ROCPRIM_400000_NS6detail17trampoline_kernelINS0_14default_configENS1_27scan_by_key_config_selectorIiiEEZZNS1_16scan_by_key_implILNS1_25lookback_scan_determinismE0ELb0ES3_N6thrust23THRUST_200600_302600_NS16reverse_iteratorIPKiEESD_NSA_IPiEEiN6hipcub16HIPCUB_304000_NS3MaxENSH_8EqualityEiEE10hipError_tPvRmT2_T3_T4_T5_mT6_T7_P12ihipStream_tbENKUlT_T0_E_clISt17integral_constantIbLb1EES10_EEDaSV_SW_EUlSV_E_NS1_11comp_targetILNS1_3genE10ELNS1_11target_archE1200ELNS1_3gpuE4ELNS1_3repE0EEENS1_30default_config_static_selectorELNS0_4arch9wavefront6targetE0EEEvT1_,comdat
.Lfunc_end69:
	.size	_ZN7rocprim17ROCPRIM_400000_NS6detail17trampoline_kernelINS0_14default_configENS1_27scan_by_key_config_selectorIiiEEZZNS1_16scan_by_key_implILNS1_25lookback_scan_determinismE0ELb0ES3_N6thrust23THRUST_200600_302600_NS16reverse_iteratorIPKiEESD_NSA_IPiEEiN6hipcub16HIPCUB_304000_NS3MaxENSH_8EqualityEiEE10hipError_tPvRmT2_T3_T4_T5_mT6_T7_P12ihipStream_tbENKUlT_T0_E_clISt17integral_constantIbLb1EES10_EEDaSV_SW_EUlSV_E_NS1_11comp_targetILNS1_3genE10ELNS1_11target_archE1200ELNS1_3gpuE4ELNS1_3repE0EEENS1_30default_config_static_selectorELNS0_4arch9wavefront6targetE0EEEvT1_, .Lfunc_end69-_ZN7rocprim17ROCPRIM_400000_NS6detail17trampoline_kernelINS0_14default_configENS1_27scan_by_key_config_selectorIiiEEZZNS1_16scan_by_key_implILNS1_25lookback_scan_determinismE0ELb0ES3_N6thrust23THRUST_200600_302600_NS16reverse_iteratorIPKiEESD_NSA_IPiEEiN6hipcub16HIPCUB_304000_NS3MaxENSH_8EqualityEiEE10hipError_tPvRmT2_T3_T4_T5_mT6_T7_P12ihipStream_tbENKUlT_T0_E_clISt17integral_constantIbLb1EES10_EEDaSV_SW_EUlSV_E_NS1_11comp_targetILNS1_3genE10ELNS1_11target_archE1200ELNS1_3gpuE4ELNS1_3repE0EEENS1_30default_config_static_selectorELNS0_4arch9wavefront6targetE0EEEvT1_
                                        ; -- End function
	.set _ZN7rocprim17ROCPRIM_400000_NS6detail17trampoline_kernelINS0_14default_configENS1_27scan_by_key_config_selectorIiiEEZZNS1_16scan_by_key_implILNS1_25lookback_scan_determinismE0ELb0ES3_N6thrust23THRUST_200600_302600_NS16reverse_iteratorIPKiEESD_NSA_IPiEEiN6hipcub16HIPCUB_304000_NS3MaxENSH_8EqualityEiEE10hipError_tPvRmT2_T3_T4_T5_mT6_T7_P12ihipStream_tbENKUlT_T0_E_clISt17integral_constantIbLb1EES10_EEDaSV_SW_EUlSV_E_NS1_11comp_targetILNS1_3genE10ELNS1_11target_archE1200ELNS1_3gpuE4ELNS1_3repE0EEENS1_30default_config_static_selectorELNS0_4arch9wavefront6targetE0EEEvT1_.num_vgpr, 0
	.set _ZN7rocprim17ROCPRIM_400000_NS6detail17trampoline_kernelINS0_14default_configENS1_27scan_by_key_config_selectorIiiEEZZNS1_16scan_by_key_implILNS1_25lookback_scan_determinismE0ELb0ES3_N6thrust23THRUST_200600_302600_NS16reverse_iteratorIPKiEESD_NSA_IPiEEiN6hipcub16HIPCUB_304000_NS3MaxENSH_8EqualityEiEE10hipError_tPvRmT2_T3_T4_T5_mT6_T7_P12ihipStream_tbENKUlT_T0_E_clISt17integral_constantIbLb1EES10_EEDaSV_SW_EUlSV_E_NS1_11comp_targetILNS1_3genE10ELNS1_11target_archE1200ELNS1_3gpuE4ELNS1_3repE0EEENS1_30default_config_static_selectorELNS0_4arch9wavefront6targetE0EEEvT1_.num_agpr, 0
	.set _ZN7rocprim17ROCPRIM_400000_NS6detail17trampoline_kernelINS0_14default_configENS1_27scan_by_key_config_selectorIiiEEZZNS1_16scan_by_key_implILNS1_25lookback_scan_determinismE0ELb0ES3_N6thrust23THRUST_200600_302600_NS16reverse_iteratorIPKiEESD_NSA_IPiEEiN6hipcub16HIPCUB_304000_NS3MaxENSH_8EqualityEiEE10hipError_tPvRmT2_T3_T4_T5_mT6_T7_P12ihipStream_tbENKUlT_T0_E_clISt17integral_constantIbLb1EES10_EEDaSV_SW_EUlSV_E_NS1_11comp_targetILNS1_3genE10ELNS1_11target_archE1200ELNS1_3gpuE4ELNS1_3repE0EEENS1_30default_config_static_selectorELNS0_4arch9wavefront6targetE0EEEvT1_.numbered_sgpr, 0
	.set _ZN7rocprim17ROCPRIM_400000_NS6detail17trampoline_kernelINS0_14default_configENS1_27scan_by_key_config_selectorIiiEEZZNS1_16scan_by_key_implILNS1_25lookback_scan_determinismE0ELb0ES3_N6thrust23THRUST_200600_302600_NS16reverse_iteratorIPKiEESD_NSA_IPiEEiN6hipcub16HIPCUB_304000_NS3MaxENSH_8EqualityEiEE10hipError_tPvRmT2_T3_T4_T5_mT6_T7_P12ihipStream_tbENKUlT_T0_E_clISt17integral_constantIbLb1EES10_EEDaSV_SW_EUlSV_E_NS1_11comp_targetILNS1_3genE10ELNS1_11target_archE1200ELNS1_3gpuE4ELNS1_3repE0EEENS1_30default_config_static_selectorELNS0_4arch9wavefront6targetE0EEEvT1_.num_named_barrier, 0
	.set _ZN7rocprim17ROCPRIM_400000_NS6detail17trampoline_kernelINS0_14default_configENS1_27scan_by_key_config_selectorIiiEEZZNS1_16scan_by_key_implILNS1_25lookback_scan_determinismE0ELb0ES3_N6thrust23THRUST_200600_302600_NS16reverse_iteratorIPKiEESD_NSA_IPiEEiN6hipcub16HIPCUB_304000_NS3MaxENSH_8EqualityEiEE10hipError_tPvRmT2_T3_T4_T5_mT6_T7_P12ihipStream_tbENKUlT_T0_E_clISt17integral_constantIbLb1EES10_EEDaSV_SW_EUlSV_E_NS1_11comp_targetILNS1_3genE10ELNS1_11target_archE1200ELNS1_3gpuE4ELNS1_3repE0EEENS1_30default_config_static_selectorELNS0_4arch9wavefront6targetE0EEEvT1_.private_seg_size, 0
	.set _ZN7rocprim17ROCPRIM_400000_NS6detail17trampoline_kernelINS0_14default_configENS1_27scan_by_key_config_selectorIiiEEZZNS1_16scan_by_key_implILNS1_25lookback_scan_determinismE0ELb0ES3_N6thrust23THRUST_200600_302600_NS16reverse_iteratorIPKiEESD_NSA_IPiEEiN6hipcub16HIPCUB_304000_NS3MaxENSH_8EqualityEiEE10hipError_tPvRmT2_T3_T4_T5_mT6_T7_P12ihipStream_tbENKUlT_T0_E_clISt17integral_constantIbLb1EES10_EEDaSV_SW_EUlSV_E_NS1_11comp_targetILNS1_3genE10ELNS1_11target_archE1200ELNS1_3gpuE4ELNS1_3repE0EEENS1_30default_config_static_selectorELNS0_4arch9wavefront6targetE0EEEvT1_.uses_vcc, 0
	.set _ZN7rocprim17ROCPRIM_400000_NS6detail17trampoline_kernelINS0_14default_configENS1_27scan_by_key_config_selectorIiiEEZZNS1_16scan_by_key_implILNS1_25lookback_scan_determinismE0ELb0ES3_N6thrust23THRUST_200600_302600_NS16reverse_iteratorIPKiEESD_NSA_IPiEEiN6hipcub16HIPCUB_304000_NS3MaxENSH_8EqualityEiEE10hipError_tPvRmT2_T3_T4_T5_mT6_T7_P12ihipStream_tbENKUlT_T0_E_clISt17integral_constantIbLb1EES10_EEDaSV_SW_EUlSV_E_NS1_11comp_targetILNS1_3genE10ELNS1_11target_archE1200ELNS1_3gpuE4ELNS1_3repE0EEENS1_30default_config_static_selectorELNS0_4arch9wavefront6targetE0EEEvT1_.uses_flat_scratch, 0
	.set _ZN7rocprim17ROCPRIM_400000_NS6detail17trampoline_kernelINS0_14default_configENS1_27scan_by_key_config_selectorIiiEEZZNS1_16scan_by_key_implILNS1_25lookback_scan_determinismE0ELb0ES3_N6thrust23THRUST_200600_302600_NS16reverse_iteratorIPKiEESD_NSA_IPiEEiN6hipcub16HIPCUB_304000_NS3MaxENSH_8EqualityEiEE10hipError_tPvRmT2_T3_T4_T5_mT6_T7_P12ihipStream_tbENKUlT_T0_E_clISt17integral_constantIbLb1EES10_EEDaSV_SW_EUlSV_E_NS1_11comp_targetILNS1_3genE10ELNS1_11target_archE1200ELNS1_3gpuE4ELNS1_3repE0EEENS1_30default_config_static_selectorELNS0_4arch9wavefront6targetE0EEEvT1_.has_dyn_sized_stack, 0
	.set _ZN7rocprim17ROCPRIM_400000_NS6detail17trampoline_kernelINS0_14default_configENS1_27scan_by_key_config_selectorIiiEEZZNS1_16scan_by_key_implILNS1_25lookback_scan_determinismE0ELb0ES3_N6thrust23THRUST_200600_302600_NS16reverse_iteratorIPKiEESD_NSA_IPiEEiN6hipcub16HIPCUB_304000_NS3MaxENSH_8EqualityEiEE10hipError_tPvRmT2_T3_T4_T5_mT6_T7_P12ihipStream_tbENKUlT_T0_E_clISt17integral_constantIbLb1EES10_EEDaSV_SW_EUlSV_E_NS1_11comp_targetILNS1_3genE10ELNS1_11target_archE1200ELNS1_3gpuE4ELNS1_3repE0EEENS1_30default_config_static_selectorELNS0_4arch9wavefront6targetE0EEEvT1_.has_recursion, 0
	.set _ZN7rocprim17ROCPRIM_400000_NS6detail17trampoline_kernelINS0_14default_configENS1_27scan_by_key_config_selectorIiiEEZZNS1_16scan_by_key_implILNS1_25lookback_scan_determinismE0ELb0ES3_N6thrust23THRUST_200600_302600_NS16reverse_iteratorIPKiEESD_NSA_IPiEEiN6hipcub16HIPCUB_304000_NS3MaxENSH_8EqualityEiEE10hipError_tPvRmT2_T3_T4_T5_mT6_T7_P12ihipStream_tbENKUlT_T0_E_clISt17integral_constantIbLb1EES10_EEDaSV_SW_EUlSV_E_NS1_11comp_targetILNS1_3genE10ELNS1_11target_archE1200ELNS1_3gpuE4ELNS1_3repE0EEENS1_30default_config_static_selectorELNS0_4arch9wavefront6targetE0EEEvT1_.has_indirect_call, 0
	.section	.AMDGPU.csdata,"",@progbits
; Kernel info:
; codeLenInByte = 0
; TotalNumSgprs: 0
; NumVgprs: 0
; ScratchSize: 0
; MemoryBound: 0
; FloatMode: 240
; IeeeMode: 1
; LDSByteSize: 0 bytes/workgroup (compile time only)
; SGPRBlocks: 0
; VGPRBlocks: 0
; NumSGPRsForWavesPerEU: 1
; NumVGPRsForWavesPerEU: 1
; NamedBarCnt: 0
; Occupancy: 16
; WaveLimiterHint : 0
; COMPUTE_PGM_RSRC2:SCRATCH_EN: 0
; COMPUTE_PGM_RSRC2:USER_SGPR: 2
; COMPUTE_PGM_RSRC2:TRAP_HANDLER: 0
; COMPUTE_PGM_RSRC2:TGID_X_EN: 1
; COMPUTE_PGM_RSRC2:TGID_Y_EN: 0
; COMPUTE_PGM_RSRC2:TGID_Z_EN: 0
; COMPUTE_PGM_RSRC2:TIDIG_COMP_CNT: 0
	.section	.text._ZN7rocprim17ROCPRIM_400000_NS6detail17trampoline_kernelINS0_14default_configENS1_27scan_by_key_config_selectorIiiEEZZNS1_16scan_by_key_implILNS1_25lookback_scan_determinismE0ELb0ES3_N6thrust23THRUST_200600_302600_NS16reverse_iteratorIPKiEESD_NSA_IPiEEiN6hipcub16HIPCUB_304000_NS3MaxENSH_8EqualityEiEE10hipError_tPvRmT2_T3_T4_T5_mT6_T7_P12ihipStream_tbENKUlT_T0_E_clISt17integral_constantIbLb1EES10_EEDaSV_SW_EUlSV_E_NS1_11comp_targetILNS1_3genE9ELNS1_11target_archE1100ELNS1_3gpuE3ELNS1_3repE0EEENS1_30default_config_static_selectorELNS0_4arch9wavefront6targetE0EEEvT1_,"axG",@progbits,_ZN7rocprim17ROCPRIM_400000_NS6detail17trampoline_kernelINS0_14default_configENS1_27scan_by_key_config_selectorIiiEEZZNS1_16scan_by_key_implILNS1_25lookback_scan_determinismE0ELb0ES3_N6thrust23THRUST_200600_302600_NS16reverse_iteratorIPKiEESD_NSA_IPiEEiN6hipcub16HIPCUB_304000_NS3MaxENSH_8EqualityEiEE10hipError_tPvRmT2_T3_T4_T5_mT6_T7_P12ihipStream_tbENKUlT_T0_E_clISt17integral_constantIbLb1EES10_EEDaSV_SW_EUlSV_E_NS1_11comp_targetILNS1_3genE9ELNS1_11target_archE1100ELNS1_3gpuE3ELNS1_3repE0EEENS1_30default_config_static_selectorELNS0_4arch9wavefront6targetE0EEEvT1_,comdat
	.protected	_ZN7rocprim17ROCPRIM_400000_NS6detail17trampoline_kernelINS0_14default_configENS1_27scan_by_key_config_selectorIiiEEZZNS1_16scan_by_key_implILNS1_25lookback_scan_determinismE0ELb0ES3_N6thrust23THRUST_200600_302600_NS16reverse_iteratorIPKiEESD_NSA_IPiEEiN6hipcub16HIPCUB_304000_NS3MaxENSH_8EqualityEiEE10hipError_tPvRmT2_T3_T4_T5_mT6_T7_P12ihipStream_tbENKUlT_T0_E_clISt17integral_constantIbLb1EES10_EEDaSV_SW_EUlSV_E_NS1_11comp_targetILNS1_3genE9ELNS1_11target_archE1100ELNS1_3gpuE3ELNS1_3repE0EEENS1_30default_config_static_selectorELNS0_4arch9wavefront6targetE0EEEvT1_ ; -- Begin function _ZN7rocprim17ROCPRIM_400000_NS6detail17trampoline_kernelINS0_14default_configENS1_27scan_by_key_config_selectorIiiEEZZNS1_16scan_by_key_implILNS1_25lookback_scan_determinismE0ELb0ES3_N6thrust23THRUST_200600_302600_NS16reverse_iteratorIPKiEESD_NSA_IPiEEiN6hipcub16HIPCUB_304000_NS3MaxENSH_8EqualityEiEE10hipError_tPvRmT2_T3_T4_T5_mT6_T7_P12ihipStream_tbENKUlT_T0_E_clISt17integral_constantIbLb1EES10_EEDaSV_SW_EUlSV_E_NS1_11comp_targetILNS1_3genE9ELNS1_11target_archE1100ELNS1_3gpuE3ELNS1_3repE0EEENS1_30default_config_static_selectorELNS0_4arch9wavefront6targetE0EEEvT1_
	.globl	_ZN7rocprim17ROCPRIM_400000_NS6detail17trampoline_kernelINS0_14default_configENS1_27scan_by_key_config_selectorIiiEEZZNS1_16scan_by_key_implILNS1_25lookback_scan_determinismE0ELb0ES3_N6thrust23THRUST_200600_302600_NS16reverse_iteratorIPKiEESD_NSA_IPiEEiN6hipcub16HIPCUB_304000_NS3MaxENSH_8EqualityEiEE10hipError_tPvRmT2_T3_T4_T5_mT6_T7_P12ihipStream_tbENKUlT_T0_E_clISt17integral_constantIbLb1EES10_EEDaSV_SW_EUlSV_E_NS1_11comp_targetILNS1_3genE9ELNS1_11target_archE1100ELNS1_3gpuE3ELNS1_3repE0EEENS1_30default_config_static_selectorELNS0_4arch9wavefront6targetE0EEEvT1_
	.p2align	8
	.type	_ZN7rocprim17ROCPRIM_400000_NS6detail17trampoline_kernelINS0_14default_configENS1_27scan_by_key_config_selectorIiiEEZZNS1_16scan_by_key_implILNS1_25lookback_scan_determinismE0ELb0ES3_N6thrust23THRUST_200600_302600_NS16reverse_iteratorIPKiEESD_NSA_IPiEEiN6hipcub16HIPCUB_304000_NS3MaxENSH_8EqualityEiEE10hipError_tPvRmT2_T3_T4_T5_mT6_T7_P12ihipStream_tbENKUlT_T0_E_clISt17integral_constantIbLb1EES10_EEDaSV_SW_EUlSV_E_NS1_11comp_targetILNS1_3genE9ELNS1_11target_archE1100ELNS1_3gpuE3ELNS1_3repE0EEENS1_30default_config_static_selectorELNS0_4arch9wavefront6targetE0EEEvT1_,@function
_ZN7rocprim17ROCPRIM_400000_NS6detail17trampoline_kernelINS0_14default_configENS1_27scan_by_key_config_selectorIiiEEZZNS1_16scan_by_key_implILNS1_25lookback_scan_determinismE0ELb0ES3_N6thrust23THRUST_200600_302600_NS16reverse_iteratorIPKiEESD_NSA_IPiEEiN6hipcub16HIPCUB_304000_NS3MaxENSH_8EqualityEiEE10hipError_tPvRmT2_T3_T4_T5_mT6_T7_P12ihipStream_tbENKUlT_T0_E_clISt17integral_constantIbLb1EES10_EEDaSV_SW_EUlSV_E_NS1_11comp_targetILNS1_3genE9ELNS1_11target_archE1100ELNS1_3gpuE3ELNS1_3repE0EEENS1_30default_config_static_selectorELNS0_4arch9wavefront6targetE0EEEvT1_: ; @_ZN7rocprim17ROCPRIM_400000_NS6detail17trampoline_kernelINS0_14default_configENS1_27scan_by_key_config_selectorIiiEEZZNS1_16scan_by_key_implILNS1_25lookback_scan_determinismE0ELb0ES3_N6thrust23THRUST_200600_302600_NS16reverse_iteratorIPKiEESD_NSA_IPiEEiN6hipcub16HIPCUB_304000_NS3MaxENSH_8EqualityEiEE10hipError_tPvRmT2_T3_T4_T5_mT6_T7_P12ihipStream_tbENKUlT_T0_E_clISt17integral_constantIbLb1EES10_EEDaSV_SW_EUlSV_E_NS1_11comp_targetILNS1_3genE9ELNS1_11target_archE1100ELNS1_3gpuE3ELNS1_3repE0EEENS1_30default_config_static_selectorELNS0_4arch9wavefront6targetE0EEEvT1_
; %bb.0:
	.section	.rodata,"a",@progbits
	.p2align	6, 0x0
	.amdhsa_kernel _ZN7rocprim17ROCPRIM_400000_NS6detail17trampoline_kernelINS0_14default_configENS1_27scan_by_key_config_selectorIiiEEZZNS1_16scan_by_key_implILNS1_25lookback_scan_determinismE0ELb0ES3_N6thrust23THRUST_200600_302600_NS16reverse_iteratorIPKiEESD_NSA_IPiEEiN6hipcub16HIPCUB_304000_NS3MaxENSH_8EqualityEiEE10hipError_tPvRmT2_T3_T4_T5_mT6_T7_P12ihipStream_tbENKUlT_T0_E_clISt17integral_constantIbLb1EES10_EEDaSV_SW_EUlSV_E_NS1_11comp_targetILNS1_3genE9ELNS1_11target_archE1100ELNS1_3gpuE3ELNS1_3repE0EEENS1_30default_config_static_selectorELNS0_4arch9wavefront6targetE0EEEvT1_
		.amdhsa_group_segment_fixed_size 0
		.amdhsa_private_segment_fixed_size 0
		.amdhsa_kernarg_size 112
		.amdhsa_user_sgpr_count 2
		.amdhsa_user_sgpr_dispatch_ptr 0
		.amdhsa_user_sgpr_queue_ptr 0
		.amdhsa_user_sgpr_kernarg_segment_ptr 1
		.amdhsa_user_sgpr_dispatch_id 0
		.amdhsa_user_sgpr_kernarg_preload_length 0
		.amdhsa_user_sgpr_kernarg_preload_offset 0
		.amdhsa_user_sgpr_private_segment_size 0
		.amdhsa_wavefront_size32 1
		.amdhsa_uses_dynamic_stack 0
		.amdhsa_enable_private_segment 0
		.amdhsa_system_sgpr_workgroup_id_x 1
		.amdhsa_system_sgpr_workgroup_id_y 0
		.amdhsa_system_sgpr_workgroup_id_z 0
		.amdhsa_system_sgpr_workgroup_info 0
		.amdhsa_system_vgpr_workitem_id 0
		.amdhsa_next_free_vgpr 1
		.amdhsa_next_free_sgpr 1
		.amdhsa_named_barrier_count 0
		.amdhsa_reserve_vcc 0
		.amdhsa_float_round_mode_32 0
		.amdhsa_float_round_mode_16_64 0
		.amdhsa_float_denorm_mode_32 3
		.amdhsa_float_denorm_mode_16_64 3
		.amdhsa_fp16_overflow 0
		.amdhsa_memory_ordered 1
		.amdhsa_forward_progress 1
		.amdhsa_inst_pref_size 0
		.amdhsa_round_robin_scheduling 0
		.amdhsa_exception_fp_ieee_invalid_op 0
		.amdhsa_exception_fp_denorm_src 0
		.amdhsa_exception_fp_ieee_div_zero 0
		.amdhsa_exception_fp_ieee_overflow 0
		.amdhsa_exception_fp_ieee_underflow 0
		.amdhsa_exception_fp_ieee_inexact 0
		.amdhsa_exception_int_div_zero 0
	.end_amdhsa_kernel
	.section	.text._ZN7rocprim17ROCPRIM_400000_NS6detail17trampoline_kernelINS0_14default_configENS1_27scan_by_key_config_selectorIiiEEZZNS1_16scan_by_key_implILNS1_25lookback_scan_determinismE0ELb0ES3_N6thrust23THRUST_200600_302600_NS16reverse_iteratorIPKiEESD_NSA_IPiEEiN6hipcub16HIPCUB_304000_NS3MaxENSH_8EqualityEiEE10hipError_tPvRmT2_T3_T4_T5_mT6_T7_P12ihipStream_tbENKUlT_T0_E_clISt17integral_constantIbLb1EES10_EEDaSV_SW_EUlSV_E_NS1_11comp_targetILNS1_3genE9ELNS1_11target_archE1100ELNS1_3gpuE3ELNS1_3repE0EEENS1_30default_config_static_selectorELNS0_4arch9wavefront6targetE0EEEvT1_,"axG",@progbits,_ZN7rocprim17ROCPRIM_400000_NS6detail17trampoline_kernelINS0_14default_configENS1_27scan_by_key_config_selectorIiiEEZZNS1_16scan_by_key_implILNS1_25lookback_scan_determinismE0ELb0ES3_N6thrust23THRUST_200600_302600_NS16reverse_iteratorIPKiEESD_NSA_IPiEEiN6hipcub16HIPCUB_304000_NS3MaxENSH_8EqualityEiEE10hipError_tPvRmT2_T3_T4_T5_mT6_T7_P12ihipStream_tbENKUlT_T0_E_clISt17integral_constantIbLb1EES10_EEDaSV_SW_EUlSV_E_NS1_11comp_targetILNS1_3genE9ELNS1_11target_archE1100ELNS1_3gpuE3ELNS1_3repE0EEENS1_30default_config_static_selectorELNS0_4arch9wavefront6targetE0EEEvT1_,comdat
.Lfunc_end70:
	.size	_ZN7rocprim17ROCPRIM_400000_NS6detail17trampoline_kernelINS0_14default_configENS1_27scan_by_key_config_selectorIiiEEZZNS1_16scan_by_key_implILNS1_25lookback_scan_determinismE0ELb0ES3_N6thrust23THRUST_200600_302600_NS16reverse_iteratorIPKiEESD_NSA_IPiEEiN6hipcub16HIPCUB_304000_NS3MaxENSH_8EqualityEiEE10hipError_tPvRmT2_T3_T4_T5_mT6_T7_P12ihipStream_tbENKUlT_T0_E_clISt17integral_constantIbLb1EES10_EEDaSV_SW_EUlSV_E_NS1_11comp_targetILNS1_3genE9ELNS1_11target_archE1100ELNS1_3gpuE3ELNS1_3repE0EEENS1_30default_config_static_selectorELNS0_4arch9wavefront6targetE0EEEvT1_, .Lfunc_end70-_ZN7rocprim17ROCPRIM_400000_NS6detail17trampoline_kernelINS0_14default_configENS1_27scan_by_key_config_selectorIiiEEZZNS1_16scan_by_key_implILNS1_25lookback_scan_determinismE0ELb0ES3_N6thrust23THRUST_200600_302600_NS16reverse_iteratorIPKiEESD_NSA_IPiEEiN6hipcub16HIPCUB_304000_NS3MaxENSH_8EqualityEiEE10hipError_tPvRmT2_T3_T4_T5_mT6_T7_P12ihipStream_tbENKUlT_T0_E_clISt17integral_constantIbLb1EES10_EEDaSV_SW_EUlSV_E_NS1_11comp_targetILNS1_3genE9ELNS1_11target_archE1100ELNS1_3gpuE3ELNS1_3repE0EEENS1_30default_config_static_selectorELNS0_4arch9wavefront6targetE0EEEvT1_
                                        ; -- End function
	.set _ZN7rocprim17ROCPRIM_400000_NS6detail17trampoline_kernelINS0_14default_configENS1_27scan_by_key_config_selectorIiiEEZZNS1_16scan_by_key_implILNS1_25lookback_scan_determinismE0ELb0ES3_N6thrust23THRUST_200600_302600_NS16reverse_iteratorIPKiEESD_NSA_IPiEEiN6hipcub16HIPCUB_304000_NS3MaxENSH_8EqualityEiEE10hipError_tPvRmT2_T3_T4_T5_mT6_T7_P12ihipStream_tbENKUlT_T0_E_clISt17integral_constantIbLb1EES10_EEDaSV_SW_EUlSV_E_NS1_11comp_targetILNS1_3genE9ELNS1_11target_archE1100ELNS1_3gpuE3ELNS1_3repE0EEENS1_30default_config_static_selectorELNS0_4arch9wavefront6targetE0EEEvT1_.num_vgpr, 0
	.set _ZN7rocprim17ROCPRIM_400000_NS6detail17trampoline_kernelINS0_14default_configENS1_27scan_by_key_config_selectorIiiEEZZNS1_16scan_by_key_implILNS1_25lookback_scan_determinismE0ELb0ES3_N6thrust23THRUST_200600_302600_NS16reverse_iteratorIPKiEESD_NSA_IPiEEiN6hipcub16HIPCUB_304000_NS3MaxENSH_8EqualityEiEE10hipError_tPvRmT2_T3_T4_T5_mT6_T7_P12ihipStream_tbENKUlT_T0_E_clISt17integral_constantIbLb1EES10_EEDaSV_SW_EUlSV_E_NS1_11comp_targetILNS1_3genE9ELNS1_11target_archE1100ELNS1_3gpuE3ELNS1_3repE0EEENS1_30default_config_static_selectorELNS0_4arch9wavefront6targetE0EEEvT1_.num_agpr, 0
	.set _ZN7rocprim17ROCPRIM_400000_NS6detail17trampoline_kernelINS0_14default_configENS1_27scan_by_key_config_selectorIiiEEZZNS1_16scan_by_key_implILNS1_25lookback_scan_determinismE0ELb0ES3_N6thrust23THRUST_200600_302600_NS16reverse_iteratorIPKiEESD_NSA_IPiEEiN6hipcub16HIPCUB_304000_NS3MaxENSH_8EqualityEiEE10hipError_tPvRmT2_T3_T4_T5_mT6_T7_P12ihipStream_tbENKUlT_T0_E_clISt17integral_constantIbLb1EES10_EEDaSV_SW_EUlSV_E_NS1_11comp_targetILNS1_3genE9ELNS1_11target_archE1100ELNS1_3gpuE3ELNS1_3repE0EEENS1_30default_config_static_selectorELNS0_4arch9wavefront6targetE0EEEvT1_.numbered_sgpr, 0
	.set _ZN7rocprim17ROCPRIM_400000_NS6detail17trampoline_kernelINS0_14default_configENS1_27scan_by_key_config_selectorIiiEEZZNS1_16scan_by_key_implILNS1_25lookback_scan_determinismE0ELb0ES3_N6thrust23THRUST_200600_302600_NS16reverse_iteratorIPKiEESD_NSA_IPiEEiN6hipcub16HIPCUB_304000_NS3MaxENSH_8EqualityEiEE10hipError_tPvRmT2_T3_T4_T5_mT6_T7_P12ihipStream_tbENKUlT_T0_E_clISt17integral_constantIbLb1EES10_EEDaSV_SW_EUlSV_E_NS1_11comp_targetILNS1_3genE9ELNS1_11target_archE1100ELNS1_3gpuE3ELNS1_3repE0EEENS1_30default_config_static_selectorELNS0_4arch9wavefront6targetE0EEEvT1_.num_named_barrier, 0
	.set _ZN7rocprim17ROCPRIM_400000_NS6detail17trampoline_kernelINS0_14default_configENS1_27scan_by_key_config_selectorIiiEEZZNS1_16scan_by_key_implILNS1_25lookback_scan_determinismE0ELb0ES3_N6thrust23THRUST_200600_302600_NS16reverse_iteratorIPKiEESD_NSA_IPiEEiN6hipcub16HIPCUB_304000_NS3MaxENSH_8EqualityEiEE10hipError_tPvRmT2_T3_T4_T5_mT6_T7_P12ihipStream_tbENKUlT_T0_E_clISt17integral_constantIbLb1EES10_EEDaSV_SW_EUlSV_E_NS1_11comp_targetILNS1_3genE9ELNS1_11target_archE1100ELNS1_3gpuE3ELNS1_3repE0EEENS1_30default_config_static_selectorELNS0_4arch9wavefront6targetE0EEEvT1_.private_seg_size, 0
	.set _ZN7rocprim17ROCPRIM_400000_NS6detail17trampoline_kernelINS0_14default_configENS1_27scan_by_key_config_selectorIiiEEZZNS1_16scan_by_key_implILNS1_25lookback_scan_determinismE0ELb0ES3_N6thrust23THRUST_200600_302600_NS16reverse_iteratorIPKiEESD_NSA_IPiEEiN6hipcub16HIPCUB_304000_NS3MaxENSH_8EqualityEiEE10hipError_tPvRmT2_T3_T4_T5_mT6_T7_P12ihipStream_tbENKUlT_T0_E_clISt17integral_constantIbLb1EES10_EEDaSV_SW_EUlSV_E_NS1_11comp_targetILNS1_3genE9ELNS1_11target_archE1100ELNS1_3gpuE3ELNS1_3repE0EEENS1_30default_config_static_selectorELNS0_4arch9wavefront6targetE0EEEvT1_.uses_vcc, 0
	.set _ZN7rocprim17ROCPRIM_400000_NS6detail17trampoline_kernelINS0_14default_configENS1_27scan_by_key_config_selectorIiiEEZZNS1_16scan_by_key_implILNS1_25lookback_scan_determinismE0ELb0ES3_N6thrust23THRUST_200600_302600_NS16reverse_iteratorIPKiEESD_NSA_IPiEEiN6hipcub16HIPCUB_304000_NS3MaxENSH_8EqualityEiEE10hipError_tPvRmT2_T3_T4_T5_mT6_T7_P12ihipStream_tbENKUlT_T0_E_clISt17integral_constantIbLb1EES10_EEDaSV_SW_EUlSV_E_NS1_11comp_targetILNS1_3genE9ELNS1_11target_archE1100ELNS1_3gpuE3ELNS1_3repE0EEENS1_30default_config_static_selectorELNS0_4arch9wavefront6targetE0EEEvT1_.uses_flat_scratch, 0
	.set _ZN7rocprim17ROCPRIM_400000_NS6detail17trampoline_kernelINS0_14default_configENS1_27scan_by_key_config_selectorIiiEEZZNS1_16scan_by_key_implILNS1_25lookback_scan_determinismE0ELb0ES3_N6thrust23THRUST_200600_302600_NS16reverse_iteratorIPKiEESD_NSA_IPiEEiN6hipcub16HIPCUB_304000_NS3MaxENSH_8EqualityEiEE10hipError_tPvRmT2_T3_T4_T5_mT6_T7_P12ihipStream_tbENKUlT_T0_E_clISt17integral_constantIbLb1EES10_EEDaSV_SW_EUlSV_E_NS1_11comp_targetILNS1_3genE9ELNS1_11target_archE1100ELNS1_3gpuE3ELNS1_3repE0EEENS1_30default_config_static_selectorELNS0_4arch9wavefront6targetE0EEEvT1_.has_dyn_sized_stack, 0
	.set _ZN7rocprim17ROCPRIM_400000_NS6detail17trampoline_kernelINS0_14default_configENS1_27scan_by_key_config_selectorIiiEEZZNS1_16scan_by_key_implILNS1_25lookback_scan_determinismE0ELb0ES3_N6thrust23THRUST_200600_302600_NS16reverse_iteratorIPKiEESD_NSA_IPiEEiN6hipcub16HIPCUB_304000_NS3MaxENSH_8EqualityEiEE10hipError_tPvRmT2_T3_T4_T5_mT6_T7_P12ihipStream_tbENKUlT_T0_E_clISt17integral_constantIbLb1EES10_EEDaSV_SW_EUlSV_E_NS1_11comp_targetILNS1_3genE9ELNS1_11target_archE1100ELNS1_3gpuE3ELNS1_3repE0EEENS1_30default_config_static_selectorELNS0_4arch9wavefront6targetE0EEEvT1_.has_recursion, 0
	.set _ZN7rocprim17ROCPRIM_400000_NS6detail17trampoline_kernelINS0_14default_configENS1_27scan_by_key_config_selectorIiiEEZZNS1_16scan_by_key_implILNS1_25lookback_scan_determinismE0ELb0ES3_N6thrust23THRUST_200600_302600_NS16reverse_iteratorIPKiEESD_NSA_IPiEEiN6hipcub16HIPCUB_304000_NS3MaxENSH_8EqualityEiEE10hipError_tPvRmT2_T3_T4_T5_mT6_T7_P12ihipStream_tbENKUlT_T0_E_clISt17integral_constantIbLb1EES10_EEDaSV_SW_EUlSV_E_NS1_11comp_targetILNS1_3genE9ELNS1_11target_archE1100ELNS1_3gpuE3ELNS1_3repE0EEENS1_30default_config_static_selectorELNS0_4arch9wavefront6targetE0EEEvT1_.has_indirect_call, 0
	.section	.AMDGPU.csdata,"",@progbits
; Kernel info:
; codeLenInByte = 0
; TotalNumSgprs: 0
; NumVgprs: 0
; ScratchSize: 0
; MemoryBound: 0
; FloatMode: 240
; IeeeMode: 1
; LDSByteSize: 0 bytes/workgroup (compile time only)
; SGPRBlocks: 0
; VGPRBlocks: 0
; NumSGPRsForWavesPerEU: 1
; NumVGPRsForWavesPerEU: 1
; NamedBarCnt: 0
; Occupancy: 16
; WaveLimiterHint : 0
; COMPUTE_PGM_RSRC2:SCRATCH_EN: 0
; COMPUTE_PGM_RSRC2:USER_SGPR: 2
; COMPUTE_PGM_RSRC2:TRAP_HANDLER: 0
; COMPUTE_PGM_RSRC2:TGID_X_EN: 1
; COMPUTE_PGM_RSRC2:TGID_Y_EN: 0
; COMPUTE_PGM_RSRC2:TGID_Z_EN: 0
; COMPUTE_PGM_RSRC2:TIDIG_COMP_CNT: 0
	.section	.text._ZN7rocprim17ROCPRIM_400000_NS6detail17trampoline_kernelINS0_14default_configENS1_27scan_by_key_config_selectorIiiEEZZNS1_16scan_by_key_implILNS1_25lookback_scan_determinismE0ELb0ES3_N6thrust23THRUST_200600_302600_NS16reverse_iteratorIPKiEESD_NSA_IPiEEiN6hipcub16HIPCUB_304000_NS3MaxENSH_8EqualityEiEE10hipError_tPvRmT2_T3_T4_T5_mT6_T7_P12ihipStream_tbENKUlT_T0_E_clISt17integral_constantIbLb1EES10_EEDaSV_SW_EUlSV_E_NS1_11comp_targetILNS1_3genE8ELNS1_11target_archE1030ELNS1_3gpuE2ELNS1_3repE0EEENS1_30default_config_static_selectorELNS0_4arch9wavefront6targetE0EEEvT1_,"axG",@progbits,_ZN7rocprim17ROCPRIM_400000_NS6detail17trampoline_kernelINS0_14default_configENS1_27scan_by_key_config_selectorIiiEEZZNS1_16scan_by_key_implILNS1_25lookback_scan_determinismE0ELb0ES3_N6thrust23THRUST_200600_302600_NS16reverse_iteratorIPKiEESD_NSA_IPiEEiN6hipcub16HIPCUB_304000_NS3MaxENSH_8EqualityEiEE10hipError_tPvRmT2_T3_T4_T5_mT6_T7_P12ihipStream_tbENKUlT_T0_E_clISt17integral_constantIbLb1EES10_EEDaSV_SW_EUlSV_E_NS1_11comp_targetILNS1_3genE8ELNS1_11target_archE1030ELNS1_3gpuE2ELNS1_3repE0EEENS1_30default_config_static_selectorELNS0_4arch9wavefront6targetE0EEEvT1_,comdat
	.protected	_ZN7rocprim17ROCPRIM_400000_NS6detail17trampoline_kernelINS0_14default_configENS1_27scan_by_key_config_selectorIiiEEZZNS1_16scan_by_key_implILNS1_25lookback_scan_determinismE0ELb0ES3_N6thrust23THRUST_200600_302600_NS16reverse_iteratorIPKiEESD_NSA_IPiEEiN6hipcub16HIPCUB_304000_NS3MaxENSH_8EqualityEiEE10hipError_tPvRmT2_T3_T4_T5_mT6_T7_P12ihipStream_tbENKUlT_T0_E_clISt17integral_constantIbLb1EES10_EEDaSV_SW_EUlSV_E_NS1_11comp_targetILNS1_3genE8ELNS1_11target_archE1030ELNS1_3gpuE2ELNS1_3repE0EEENS1_30default_config_static_selectorELNS0_4arch9wavefront6targetE0EEEvT1_ ; -- Begin function _ZN7rocprim17ROCPRIM_400000_NS6detail17trampoline_kernelINS0_14default_configENS1_27scan_by_key_config_selectorIiiEEZZNS1_16scan_by_key_implILNS1_25lookback_scan_determinismE0ELb0ES3_N6thrust23THRUST_200600_302600_NS16reverse_iteratorIPKiEESD_NSA_IPiEEiN6hipcub16HIPCUB_304000_NS3MaxENSH_8EqualityEiEE10hipError_tPvRmT2_T3_T4_T5_mT6_T7_P12ihipStream_tbENKUlT_T0_E_clISt17integral_constantIbLb1EES10_EEDaSV_SW_EUlSV_E_NS1_11comp_targetILNS1_3genE8ELNS1_11target_archE1030ELNS1_3gpuE2ELNS1_3repE0EEENS1_30default_config_static_selectorELNS0_4arch9wavefront6targetE0EEEvT1_
	.globl	_ZN7rocprim17ROCPRIM_400000_NS6detail17trampoline_kernelINS0_14default_configENS1_27scan_by_key_config_selectorIiiEEZZNS1_16scan_by_key_implILNS1_25lookback_scan_determinismE0ELb0ES3_N6thrust23THRUST_200600_302600_NS16reverse_iteratorIPKiEESD_NSA_IPiEEiN6hipcub16HIPCUB_304000_NS3MaxENSH_8EqualityEiEE10hipError_tPvRmT2_T3_T4_T5_mT6_T7_P12ihipStream_tbENKUlT_T0_E_clISt17integral_constantIbLb1EES10_EEDaSV_SW_EUlSV_E_NS1_11comp_targetILNS1_3genE8ELNS1_11target_archE1030ELNS1_3gpuE2ELNS1_3repE0EEENS1_30default_config_static_selectorELNS0_4arch9wavefront6targetE0EEEvT1_
	.p2align	8
	.type	_ZN7rocprim17ROCPRIM_400000_NS6detail17trampoline_kernelINS0_14default_configENS1_27scan_by_key_config_selectorIiiEEZZNS1_16scan_by_key_implILNS1_25lookback_scan_determinismE0ELb0ES3_N6thrust23THRUST_200600_302600_NS16reverse_iteratorIPKiEESD_NSA_IPiEEiN6hipcub16HIPCUB_304000_NS3MaxENSH_8EqualityEiEE10hipError_tPvRmT2_T3_T4_T5_mT6_T7_P12ihipStream_tbENKUlT_T0_E_clISt17integral_constantIbLb1EES10_EEDaSV_SW_EUlSV_E_NS1_11comp_targetILNS1_3genE8ELNS1_11target_archE1030ELNS1_3gpuE2ELNS1_3repE0EEENS1_30default_config_static_selectorELNS0_4arch9wavefront6targetE0EEEvT1_,@function
_ZN7rocprim17ROCPRIM_400000_NS6detail17trampoline_kernelINS0_14default_configENS1_27scan_by_key_config_selectorIiiEEZZNS1_16scan_by_key_implILNS1_25lookback_scan_determinismE0ELb0ES3_N6thrust23THRUST_200600_302600_NS16reverse_iteratorIPKiEESD_NSA_IPiEEiN6hipcub16HIPCUB_304000_NS3MaxENSH_8EqualityEiEE10hipError_tPvRmT2_T3_T4_T5_mT6_T7_P12ihipStream_tbENKUlT_T0_E_clISt17integral_constantIbLb1EES10_EEDaSV_SW_EUlSV_E_NS1_11comp_targetILNS1_3genE8ELNS1_11target_archE1030ELNS1_3gpuE2ELNS1_3repE0EEENS1_30default_config_static_selectorELNS0_4arch9wavefront6targetE0EEEvT1_: ; @_ZN7rocprim17ROCPRIM_400000_NS6detail17trampoline_kernelINS0_14default_configENS1_27scan_by_key_config_selectorIiiEEZZNS1_16scan_by_key_implILNS1_25lookback_scan_determinismE0ELb0ES3_N6thrust23THRUST_200600_302600_NS16reverse_iteratorIPKiEESD_NSA_IPiEEiN6hipcub16HIPCUB_304000_NS3MaxENSH_8EqualityEiEE10hipError_tPvRmT2_T3_T4_T5_mT6_T7_P12ihipStream_tbENKUlT_T0_E_clISt17integral_constantIbLb1EES10_EEDaSV_SW_EUlSV_E_NS1_11comp_targetILNS1_3genE8ELNS1_11target_archE1030ELNS1_3gpuE2ELNS1_3repE0EEENS1_30default_config_static_selectorELNS0_4arch9wavefront6targetE0EEEvT1_
; %bb.0:
	.section	.rodata,"a",@progbits
	.p2align	6, 0x0
	.amdhsa_kernel _ZN7rocprim17ROCPRIM_400000_NS6detail17trampoline_kernelINS0_14default_configENS1_27scan_by_key_config_selectorIiiEEZZNS1_16scan_by_key_implILNS1_25lookback_scan_determinismE0ELb0ES3_N6thrust23THRUST_200600_302600_NS16reverse_iteratorIPKiEESD_NSA_IPiEEiN6hipcub16HIPCUB_304000_NS3MaxENSH_8EqualityEiEE10hipError_tPvRmT2_T3_T4_T5_mT6_T7_P12ihipStream_tbENKUlT_T0_E_clISt17integral_constantIbLb1EES10_EEDaSV_SW_EUlSV_E_NS1_11comp_targetILNS1_3genE8ELNS1_11target_archE1030ELNS1_3gpuE2ELNS1_3repE0EEENS1_30default_config_static_selectorELNS0_4arch9wavefront6targetE0EEEvT1_
		.amdhsa_group_segment_fixed_size 0
		.amdhsa_private_segment_fixed_size 0
		.amdhsa_kernarg_size 112
		.amdhsa_user_sgpr_count 2
		.amdhsa_user_sgpr_dispatch_ptr 0
		.amdhsa_user_sgpr_queue_ptr 0
		.amdhsa_user_sgpr_kernarg_segment_ptr 1
		.amdhsa_user_sgpr_dispatch_id 0
		.amdhsa_user_sgpr_kernarg_preload_length 0
		.amdhsa_user_sgpr_kernarg_preload_offset 0
		.amdhsa_user_sgpr_private_segment_size 0
		.amdhsa_wavefront_size32 1
		.amdhsa_uses_dynamic_stack 0
		.amdhsa_enable_private_segment 0
		.amdhsa_system_sgpr_workgroup_id_x 1
		.amdhsa_system_sgpr_workgroup_id_y 0
		.amdhsa_system_sgpr_workgroup_id_z 0
		.amdhsa_system_sgpr_workgroup_info 0
		.amdhsa_system_vgpr_workitem_id 0
		.amdhsa_next_free_vgpr 1
		.amdhsa_next_free_sgpr 1
		.amdhsa_named_barrier_count 0
		.amdhsa_reserve_vcc 0
		.amdhsa_float_round_mode_32 0
		.amdhsa_float_round_mode_16_64 0
		.amdhsa_float_denorm_mode_32 3
		.amdhsa_float_denorm_mode_16_64 3
		.amdhsa_fp16_overflow 0
		.amdhsa_memory_ordered 1
		.amdhsa_forward_progress 1
		.amdhsa_inst_pref_size 0
		.amdhsa_round_robin_scheduling 0
		.amdhsa_exception_fp_ieee_invalid_op 0
		.amdhsa_exception_fp_denorm_src 0
		.amdhsa_exception_fp_ieee_div_zero 0
		.amdhsa_exception_fp_ieee_overflow 0
		.amdhsa_exception_fp_ieee_underflow 0
		.amdhsa_exception_fp_ieee_inexact 0
		.amdhsa_exception_int_div_zero 0
	.end_amdhsa_kernel
	.section	.text._ZN7rocprim17ROCPRIM_400000_NS6detail17trampoline_kernelINS0_14default_configENS1_27scan_by_key_config_selectorIiiEEZZNS1_16scan_by_key_implILNS1_25lookback_scan_determinismE0ELb0ES3_N6thrust23THRUST_200600_302600_NS16reverse_iteratorIPKiEESD_NSA_IPiEEiN6hipcub16HIPCUB_304000_NS3MaxENSH_8EqualityEiEE10hipError_tPvRmT2_T3_T4_T5_mT6_T7_P12ihipStream_tbENKUlT_T0_E_clISt17integral_constantIbLb1EES10_EEDaSV_SW_EUlSV_E_NS1_11comp_targetILNS1_3genE8ELNS1_11target_archE1030ELNS1_3gpuE2ELNS1_3repE0EEENS1_30default_config_static_selectorELNS0_4arch9wavefront6targetE0EEEvT1_,"axG",@progbits,_ZN7rocprim17ROCPRIM_400000_NS6detail17trampoline_kernelINS0_14default_configENS1_27scan_by_key_config_selectorIiiEEZZNS1_16scan_by_key_implILNS1_25lookback_scan_determinismE0ELb0ES3_N6thrust23THRUST_200600_302600_NS16reverse_iteratorIPKiEESD_NSA_IPiEEiN6hipcub16HIPCUB_304000_NS3MaxENSH_8EqualityEiEE10hipError_tPvRmT2_T3_T4_T5_mT6_T7_P12ihipStream_tbENKUlT_T0_E_clISt17integral_constantIbLb1EES10_EEDaSV_SW_EUlSV_E_NS1_11comp_targetILNS1_3genE8ELNS1_11target_archE1030ELNS1_3gpuE2ELNS1_3repE0EEENS1_30default_config_static_selectorELNS0_4arch9wavefront6targetE0EEEvT1_,comdat
.Lfunc_end71:
	.size	_ZN7rocprim17ROCPRIM_400000_NS6detail17trampoline_kernelINS0_14default_configENS1_27scan_by_key_config_selectorIiiEEZZNS1_16scan_by_key_implILNS1_25lookback_scan_determinismE0ELb0ES3_N6thrust23THRUST_200600_302600_NS16reverse_iteratorIPKiEESD_NSA_IPiEEiN6hipcub16HIPCUB_304000_NS3MaxENSH_8EqualityEiEE10hipError_tPvRmT2_T3_T4_T5_mT6_T7_P12ihipStream_tbENKUlT_T0_E_clISt17integral_constantIbLb1EES10_EEDaSV_SW_EUlSV_E_NS1_11comp_targetILNS1_3genE8ELNS1_11target_archE1030ELNS1_3gpuE2ELNS1_3repE0EEENS1_30default_config_static_selectorELNS0_4arch9wavefront6targetE0EEEvT1_, .Lfunc_end71-_ZN7rocprim17ROCPRIM_400000_NS6detail17trampoline_kernelINS0_14default_configENS1_27scan_by_key_config_selectorIiiEEZZNS1_16scan_by_key_implILNS1_25lookback_scan_determinismE0ELb0ES3_N6thrust23THRUST_200600_302600_NS16reverse_iteratorIPKiEESD_NSA_IPiEEiN6hipcub16HIPCUB_304000_NS3MaxENSH_8EqualityEiEE10hipError_tPvRmT2_T3_T4_T5_mT6_T7_P12ihipStream_tbENKUlT_T0_E_clISt17integral_constantIbLb1EES10_EEDaSV_SW_EUlSV_E_NS1_11comp_targetILNS1_3genE8ELNS1_11target_archE1030ELNS1_3gpuE2ELNS1_3repE0EEENS1_30default_config_static_selectorELNS0_4arch9wavefront6targetE0EEEvT1_
                                        ; -- End function
	.set _ZN7rocprim17ROCPRIM_400000_NS6detail17trampoline_kernelINS0_14default_configENS1_27scan_by_key_config_selectorIiiEEZZNS1_16scan_by_key_implILNS1_25lookback_scan_determinismE0ELb0ES3_N6thrust23THRUST_200600_302600_NS16reverse_iteratorIPKiEESD_NSA_IPiEEiN6hipcub16HIPCUB_304000_NS3MaxENSH_8EqualityEiEE10hipError_tPvRmT2_T3_T4_T5_mT6_T7_P12ihipStream_tbENKUlT_T0_E_clISt17integral_constantIbLb1EES10_EEDaSV_SW_EUlSV_E_NS1_11comp_targetILNS1_3genE8ELNS1_11target_archE1030ELNS1_3gpuE2ELNS1_3repE0EEENS1_30default_config_static_selectorELNS0_4arch9wavefront6targetE0EEEvT1_.num_vgpr, 0
	.set _ZN7rocprim17ROCPRIM_400000_NS6detail17trampoline_kernelINS0_14default_configENS1_27scan_by_key_config_selectorIiiEEZZNS1_16scan_by_key_implILNS1_25lookback_scan_determinismE0ELb0ES3_N6thrust23THRUST_200600_302600_NS16reverse_iteratorIPKiEESD_NSA_IPiEEiN6hipcub16HIPCUB_304000_NS3MaxENSH_8EqualityEiEE10hipError_tPvRmT2_T3_T4_T5_mT6_T7_P12ihipStream_tbENKUlT_T0_E_clISt17integral_constantIbLb1EES10_EEDaSV_SW_EUlSV_E_NS1_11comp_targetILNS1_3genE8ELNS1_11target_archE1030ELNS1_3gpuE2ELNS1_3repE0EEENS1_30default_config_static_selectorELNS0_4arch9wavefront6targetE0EEEvT1_.num_agpr, 0
	.set _ZN7rocprim17ROCPRIM_400000_NS6detail17trampoline_kernelINS0_14default_configENS1_27scan_by_key_config_selectorIiiEEZZNS1_16scan_by_key_implILNS1_25lookback_scan_determinismE0ELb0ES3_N6thrust23THRUST_200600_302600_NS16reverse_iteratorIPKiEESD_NSA_IPiEEiN6hipcub16HIPCUB_304000_NS3MaxENSH_8EqualityEiEE10hipError_tPvRmT2_T3_T4_T5_mT6_T7_P12ihipStream_tbENKUlT_T0_E_clISt17integral_constantIbLb1EES10_EEDaSV_SW_EUlSV_E_NS1_11comp_targetILNS1_3genE8ELNS1_11target_archE1030ELNS1_3gpuE2ELNS1_3repE0EEENS1_30default_config_static_selectorELNS0_4arch9wavefront6targetE0EEEvT1_.numbered_sgpr, 0
	.set _ZN7rocprim17ROCPRIM_400000_NS6detail17trampoline_kernelINS0_14default_configENS1_27scan_by_key_config_selectorIiiEEZZNS1_16scan_by_key_implILNS1_25lookback_scan_determinismE0ELb0ES3_N6thrust23THRUST_200600_302600_NS16reverse_iteratorIPKiEESD_NSA_IPiEEiN6hipcub16HIPCUB_304000_NS3MaxENSH_8EqualityEiEE10hipError_tPvRmT2_T3_T4_T5_mT6_T7_P12ihipStream_tbENKUlT_T0_E_clISt17integral_constantIbLb1EES10_EEDaSV_SW_EUlSV_E_NS1_11comp_targetILNS1_3genE8ELNS1_11target_archE1030ELNS1_3gpuE2ELNS1_3repE0EEENS1_30default_config_static_selectorELNS0_4arch9wavefront6targetE0EEEvT1_.num_named_barrier, 0
	.set _ZN7rocprim17ROCPRIM_400000_NS6detail17trampoline_kernelINS0_14default_configENS1_27scan_by_key_config_selectorIiiEEZZNS1_16scan_by_key_implILNS1_25lookback_scan_determinismE0ELb0ES3_N6thrust23THRUST_200600_302600_NS16reverse_iteratorIPKiEESD_NSA_IPiEEiN6hipcub16HIPCUB_304000_NS3MaxENSH_8EqualityEiEE10hipError_tPvRmT2_T3_T4_T5_mT6_T7_P12ihipStream_tbENKUlT_T0_E_clISt17integral_constantIbLb1EES10_EEDaSV_SW_EUlSV_E_NS1_11comp_targetILNS1_3genE8ELNS1_11target_archE1030ELNS1_3gpuE2ELNS1_3repE0EEENS1_30default_config_static_selectorELNS0_4arch9wavefront6targetE0EEEvT1_.private_seg_size, 0
	.set _ZN7rocprim17ROCPRIM_400000_NS6detail17trampoline_kernelINS0_14default_configENS1_27scan_by_key_config_selectorIiiEEZZNS1_16scan_by_key_implILNS1_25lookback_scan_determinismE0ELb0ES3_N6thrust23THRUST_200600_302600_NS16reverse_iteratorIPKiEESD_NSA_IPiEEiN6hipcub16HIPCUB_304000_NS3MaxENSH_8EqualityEiEE10hipError_tPvRmT2_T3_T4_T5_mT6_T7_P12ihipStream_tbENKUlT_T0_E_clISt17integral_constantIbLb1EES10_EEDaSV_SW_EUlSV_E_NS1_11comp_targetILNS1_3genE8ELNS1_11target_archE1030ELNS1_3gpuE2ELNS1_3repE0EEENS1_30default_config_static_selectorELNS0_4arch9wavefront6targetE0EEEvT1_.uses_vcc, 0
	.set _ZN7rocprim17ROCPRIM_400000_NS6detail17trampoline_kernelINS0_14default_configENS1_27scan_by_key_config_selectorIiiEEZZNS1_16scan_by_key_implILNS1_25lookback_scan_determinismE0ELb0ES3_N6thrust23THRUST_200600_302600_NS16reverse_iteratorIPKiEESD_NSA_IPiEEiN6hipcub16HIPCUB_304000_NS3MaxENSH_8EqualityEiEE10hipError_tPvRmT2_T3_T4_T5_mT6_T7_P12ihipStream_tbENKUlT_T0_E_clISt17integral_constantIbLb1EES10_EEDaSV_SW_EUlSV_E_NS1_11comp_targetILNS1_3genE8ELNS1_11target_archE1030ELNS1_3gpuE2ELNS1_3repE0EEENS1_30default_config_static_selectorELNS0_4arch9wavefront6targetE0EEEvT1_.uses_flat_scratch, 0
	.set _ZN7rocprim17ROCPRIM_400000_NS6detail17trampoline_kernelINS0_14default_configENS1_27scan_by_key_config_selectorIiiEEZZNS1_16scan_by_key_implILNS1_25lookback_scan_determinismE0ELb0ES3_N6thrust23THRUST_200600_302600_NS16reverse_iteratorIPKiEESD_NSA_IPiEEiN6hipcub16HIPCUB_304000_NS3MaxENSH_8EqualityEiEE10hipError_tPvRmT2_T3_T4_T5_mT6_T7_P12ihipStream_tbENKUlT_T0_E_clISt17integral_constantIbLb1EES10_EEDaSV_SW_EUlSV_E_NS1_11comp_targetILNS1_3genE8ELNS1_11target_archE1030ELNS1_3gpuE2ELNS1_3repE0EEENS1_30default_config_static_selectorELNS0_4arch9wavefront6targetE0EEEvT1_.has_dyn_sized_stack, 0
	.set _ZN7rocprim17ROCPRIM_400000_NS6detail17trampoline_kernelINS0_14default_configENS1_27scan_by_key_config_selectorIiiEEZZNS1_16scan_by_key_implILNS1_25lookback_scan_determinismE0ELb0ES3_N6thrust23THRUST_200600_302600_NS16reverse_iteratorIPKiEESD_NSA_IPiEEiN6hipcub16HIPCUB_304000_NS3MaxENSH_8EqualityEiEE10hipError_tPvRmT2_T3_T4_T5_mT6_T7_P12ihipStream_tbENKUlT_T0_E_clISt17integral_constantIbLb1EES10_EEDaSV_SW_EUlSV_E_NS1_11comp_targetILNS1_3genE8ELNS1_11target_archE1030ELNS1_3gpuE2ELNS1_3repE0EEENS1_30default_config_static_selectorELNS0_4arch9wavefront6targetE0EEEvT1_.has_recursion, 0
	.set _ZN7rocprim17ROCPRIM_400000_NS6detail17trampoline_kernelINS0_14default_configENS1_27scan_by_key_config_selectorIiiEEZZNS1_16scan_by_key_implILNS1_25lookback_scan_determinismE0ELb0ES3_N6thrust23THRUST_200600_302600_NS16reverse_iteratorIPKiEESD_NSA_IPiEEiN6hipcub16HIPCUB_304000_NS3MaxENSH_8EqualityEiEE10hipError_tPvRmT2_T3_T4_T5_mT6_T7_P12ihipStream_tbENKUlT_T0_E_clISt17integral_constantIbLb1EES10_EEDaSV_SW_EUlSV_E_NS1_11comp_targetILNS1_3genE8ELNS1_11target_archE1030ELNS1_3gpuE2ELNS1_3repE0EEENS1_30default_config_static_selectorELNS0_4arch9wavefront6targetE0EEEvT1_.has_indirect_call, 0
	.section	.AMDGPU.csdata,"",@progbits
; Kernel info:
; codeLenInByte = 0
; TotalNumSgprs: 0
; NumVgprs: 0
; ScratchSize: 0
; MemoryBound: 0
; FloatMode: 240
; IeeeMode: 1
; LDSByteSize: 0 bytes/workgroup (compile time only)
; SGPRBlocks: 0
; VGPRBlocks: 0
; NumSGPRsForWavesPerEU: 1
; NumVGPRsForWavesPerEU: 1
; NamedBarCnt: 0
; Occupancy: 16
; WaveLimiterHint : 0
; COMPUTE_PGM_RSRC2:SCRATCH_EN: 0
; COMPUTE_PGM_RSRC2:USER_SGPR: 2
; COMPUTE_PGM_RSRC2:TRAP_HANDLER: 0
; COMPUTE_PGM_RSRC2:TGID_X_EN: 1
; COMPUTE_PGM_RSRC2:TGID_Y_EN: 0
; COMPUTE_PGM_RSRC2:TGID_Z_EN: 0
; COMPUTE_PGM_RSRC2:TIDIG_COMP_CNT: 0
	.section	.text._ZN7rocprim17ROCPRIM_400000_NS6detail30init_device_scan_by_key_kernelINS1_19lookback_scan_stateINS0_5tupleIJibEEELb1ELb1EEEN6thrust23THRUST_200600_302600_NS16reverse_iteratorIPKiEEjNS1_16block_id_wrapperIjLb0EEEEEvT_jjPNSF_10value_typeET0_PNSt15iterator_traitsISI_E10value_typeEmT1_T2_,"axG",@progbits,_ZN7rocprim17ROCPRIM_400000_NS6detail30init_device_scan_by_key_kernelINS1_19lookback_scan_stateINS0_5tupleIJibEEELb1ELb1EEEN6thrust23THRUST_200600_302600_NS16reverse_iteratorIPKiEEjNS1_16block_id_wrapperIjLb0EEEEEvT_jjPNSF_10value_typeET0_PNSt15iterator_traitsISI_E10value_typeEmT1_T2_,comdat
	.protected	_ZN7rocprim17ROCPRIM_400000_NS6detail30init_device_scan_by_key_kernelINS1_19lookback_scan_stateINS0_5tupleIJibEEELb1ELb1EEEN6thrust23THRUST_200600_302600_NS16reverse_iteratorIPKiEEjNS1_16block_id_wrapperIjLb0EEEEEvT_jjPNSF_10value_typeET0_PNSt15iterator_traitsISI_E10value_typeEmT1_T2_ ; -- Begin function _ZN7rocprim17ROCPRIM_400000_NS6detail30init_device_scan_by_key_kernelINS1_19lookback_scan_stateINS0_5tupleIJibEEELb1ELb1EEEN6thrust23THRUST_200600_302600_NS16reverse_iteratorIPKiEEjNS1_16block_id_wrapperIjLb0EEEEEvT_jjPNSF_10value_typeET0_PNSt15iterator_traitsISI_E10value_typeEmT1_T2_
	.globl	_ZN7rocprim17ROCPRIM_400000_NS6detail30init_device_scan_by_key_kernelINS1_19lookback_scan_stateINS0_5tupleIJibEEELb1ELb1EEEN6thrust23THRUST_200600_302600_NS16reverse_iteratorIPKiEEjNS1_16block_id_wrapperIjLb0EEEEEvT_jjPNSF_10value_typeET0_PNSt15iterator_traitsISI_E10value_typeEmT1_T2_
	.p2align	8
	.type	_ZN7rocprim17ROCPRIM_400000_NS6detail30init_device_scan_by_key_kernelINS1_19lookback_scan_stateINS0_5tupleIJibEEELb1ELb1EEEN6thrust23THRUST_200600_302600_NS16reverse_iteratorIPKiEEjNS1_16block_id_wrapperIjLb0EEEEEvT_jjPNSF_10value_typeET0_PNSt15iterator_traitsISI_E10value_typeEmT1_T2_,@function
_ZN7rocprim17ROCPRIM_400000_NS6detail30init_device_scan_by_key_kernelINS1_19lookback_scan_stateINS0_5tupleIJibEEELb1ELb1EEEN6thrust23THRUST_200600_302600_NS16reverse_iteratorIPKiEEjNS1_16block_id_wrapperIjLb0EEEEEvT_jjPNSF_10value_typeET0_PNSt15iterator_traitsISI_E10value_typeEmT1_T2_: ; @_ZN7rocprim17ROCPRIM_400000_NS6detail30init_device_scan_by_key_kernelINS1_19lookback_scan_stateINS0_5tupleIJibEEELb1ELb1EEEN6thrust23THRUST_200600_302600_NS16reverse_iteratorIPKiEEjNS1_16block_id_wrapperIjLb0EEEEEvT_jjPNSF_10value_typeET0_PNSt15iterator_traitsISI_E10value_typeEmT1_T2_
; %bb.0:
	s_clause 0x2
	s_load_b32 s2, s[0:1], 0x44
	s_load_b32 s14, s[0:1], 0x38
	s_load_b256 s[4:11], s[0:1], 0x0
	s_bfe_u32 s3, ttmp6, 0x4000c
	s_and_b32 s12, ttmp6, 15
	s_add_co_i32 s3, s3, 1
	s_getreg_b32 s13, hwreg(HW_REG_IB_STS2, 6, 4)
	s_mul_i32 s3, ttmp9, s3
	s_delay_alu instid0(SALU_CYCLE_1)
	s_add_co_i32 s12, s12, s3
	s_wait_kmcnt 0x0
	s_and_b32 s15, s2, 0xffff
	s_cmp_eq_u32 s13, 0
	s_cselect_b32 s2, ttmp9, s12
	s_cmp_eq_u64 s[8:9], 0
	v_mad_u32 v4, s2, s15, v0
	s_cbranch_scc1 .LBB72_10
; %bb.1:
	s_cmp_lt_u32 s7, s6
	s_mov_b32 s16, exec_lo
	s_cselect_b32 s2, s7, 0
	s_delay_alu instid0(VALU_DEP_1) | instid1(SALU_CYCLE_1)
	v_cmpx_eq_u32_e64 s2, v4
	s_cbranch_execz .LBB72_9
; %bb.2:
	s_add_co_i32 s2, s7, 32
	s_mov_b32 s3, 0
	v_mov_b32_e32 v7, 0
	s_lshl_b64 s[12:13], s[2:3], 4
	s_mov_b32 s2, exec_lo
	s_add_nc_u64 s[12:13], s[4:5], s[12:13]
	s_delay_alu instid0(SALU_CYCLE_1) | instskip(SKIP_2) | instid1(VALU_DEP_1)
	v_mov_b64_e32 v[0:1], s[12:13]
	;;#ASMSTART
	global_load_b128 v[0:3], v[0:1] off scope:SCOPE_DEV	
s_wait_loadcnt 0x0
	;;#ASMEND
	v_and_b32_e32 v6, 0xff, v2
	v_cmpx_eq_u64_e32 0, v[6:7]
	s_cbranch_execz .LBB72_8
; %bb.3:
	v_mov_b64_e32 v[8:9], s[12:13]
	s_mov_b32 s7, 1
.LBB72_4:                               ; =>This Loop Header: Depth=1
                                        ;     Child Loop BB72_5 Depth 2
	s_delay_alu instid0(SALU_CYCLE_1)
	s_mov_b32 s12, s7
.LBB72_5:                               ;   Parent Loop BB72_4 Depth=1
                                        ; =>  This Inner Loop Header: Depth=2
	s_delay_alu instid0(SALU_CYCLE_1)
	s_add_co_i32 s12, s12, -1
	s_sleep 1
	s_cmp_eq_u32 s12, 0
	s_cbranch_scc0 .LBB72_5
; %bb.6:                                ;   in Loop: Header=BB72_4 Depth=1
	;;#ASMSTART
	global_load_b128 v[0:3], v[8:9] off scope:SCOPE_DEV	
s_wait_loadcnt 0x0
	;;#ASMEND
	v_and_b32_e32 v6, 0xff, v2
	s_cmp_lt_u32 s7, 32
	s_cselect_b32 s12, -1, 0
	s_delay_alu instid0(VALU_DEP_1) | instskip(SKIP_3) | instid1(SALU_CYCLE_1)
	v_cmp_ne_u64_e32 vcc_lo, 0, v[6:7]
	s_cmp_lg_u32 s12, 0
	s_add_co_ci_u32 s7, s7, 0
	s_or_b32 s3, vcc_lo, s3
	s_and_not1_b32 exec_lo, exec_lo, s3
	s_cbranch_execnz .LBB72_4
; %bb.7:
	s_or_b32 exec_lo, exec_lo, s3
.LBB72_8:
	s_delay_alu instid0(SALU_CYCLE_1)
	s_or_b32 exec_lo, exec_lo, s2
	v_mov_b32_e32 v2, 0
	s_clause 0x1
	global_store_b32 v2, v0, s[8:9]
	global_store_b8 v2, v1, s[8:9] offset:4
.LBB72_9:
	s_wait_xcnt 0x0
	s_or_b32 exec_lo, exec_lo, s16
.LBB72_10:
	s_delay_alu instid0(SALU_CYCLE_1) | instskip(NEXT) | instid1(VALU_DEP_1)
	s_mov_b32 s2, exec_lo
	v_cmpx_gt_u32_e64 s6, v4
	s_cbranch_execz .LBB72_12
; %bb.11:
	v_dual_mov_b32 v0, 0 :: v_dual_add_nc_u32 v5, 32, v4
	s_delay_alu instid0(VALU_DEP_1)
	v_dual_mov_b32 v1, v0 :: v_dual_mov_b32 v2, v0
	v_mov_b32_e32 v3, v0
	global_store_b128 v5, v[0:3], s[4:5] scale_offset
.LBB72_12:
	s_wait_xcnt 0x0
	s_or_b32 exec_lo, exec_lo, s2
	v_mov_b32_e32 v5, 0
	s_mov_b32 s2, exec_lo
	v_cmpx_gt_u32_e32 32, v4
	s_cbranch_execz .LBB72_14
; %bb.13:
	s_delay_alu instid0(VALU_DEP_2)
	v_lshl_add_u64 v[6:7], v[4:5], 4, s[4:5]
	v_dual_mov_b32 v2, 0xff :: v_dual_mov_b32 v1, v5
	v_dual_mov_b32 v0, v5 :: v_dual_mov_b32 v3, v5
	global_store_b128 v[6:7], v[0:3], off
.LBB72_14:
	s_wait_xcnt 0x0
	s_or_b32 exec_lo, exec_lo, s2
	s_load_b64 s[2:3], s[0:1], 0x28
	s_mov_b32 s4, exec_lo
	s_wait_kmcnt 0x0
	v_cmpx_gt_u64_e64 s[2:3], v[4:5]
	s_cbranch_execz .LBB72_17
; %bb.15:
	s_clause 0x1
	s_load_b32 s4, s[0:1], 0x30
	s_load_b64 s[6:7], s[0:1], 0x20
	s_mov_b32 s5, 0
	s_wait_xcnt 0x0
	s_mov_b32 s1, s5
	s_wait_kmcnt 0x0
	s_add_co_i32 s0, s4, -1
	v_lshl_add_u64 v[2:3], v[4:5], 2, s[6:7]
	v_mad_nc_u64_u32 v[0:1], s4, v4, s[0:1]
	s_mul_i32 s0, s14, s15
	s_delay_alu instid0(SALU_CYCLE_1) | instskip(NEXT) | instid1(SALU_CYCLE_1)
	s_mul_u64 s[8:9], s[4:5], s[0:1]
	s_lshl_b64 s[8:9], s[8:9], 2
	s_delay_alu instid0(SALU_CYCLE_1) | instskip(SKIP_1) | instid1(VALU_DEP_1)
	s_sub_nc_u64 s[6:7], 0, s[8:9]
	s_lshl_b64 s[8:9], s[0:1], 2
	v_not_b32_e32 v1, v1
	s_delay_alu instid0(VALU_DEP_2) | instskip(NEXT) | instid1(VALU_DEP_1)
	v_not_b32_e32 v0, v0
	v_lshl_add_u64 v[0:1], v[0:1], 2, s[10:11]
.LBB72_16:                              ; =>This Inner Loop Header: Depth=1
	global_load_b32 v6, v[0:1], off
	v_add_nc_u64_e32 v[4:5], s[0:1], v[4:5]
	s_wait_xcnt 0x0
	v_add_nc_u64_e32 v[0:1], s[6:7], v[0:1]
	s_delay_alu instid0(VALU_DEP_2)
	v_cmp_le_u64_e32 vcc_lo, s[2:3], v[4:5]
	s_or_b32 s5, vcc_lo, s5
	s_wait_loadcnt 0x0
	global_store_b32 v[2:3], v6, off
	s_wait_xcnt 0x0
	v_add_nc_u64_e32 v[2:3], s[8:9], v[2:3]
	s_and_not1_b32 exec_lo, exec_lo, s5
	s_cbranch_execnz .LBB72_16
.LBB72_17:
	s_endpgm
	.section	.rodata,"a",@progbits
	.p2align	6, 0x0
	.amdhsa_kernel _ZN7rocprim17ROCPRIM_400000_NS6detail30init_device_scan_by_key_kernelINS1_19lookback_scan_stateINS0_5tupleIJibEEELb1ELb1EEEN6thrust23THRUST_200600_302600_NS16reverse_iteratorIPKiEEjNS1_16block_id_wrapperIjLb0EEEEEvT_jjPNSF_10value_typeET0_PNSt15iterator_traitsISI_E10value_typeEmT1_T2_
		.amdhsa_group_segment_fixed_size 0
		.amdhsa_private_segment_fixed_size 0
		.amdhsa_kernarg_size 312
		.amdhsa_user_sgpr_count 2
		.amdhsa_user_sgpr_dispatch_ptr 0
		.amdhsa_user_sgpr_queue_ptr 0
		.amdhsa_user_sgpr_kernarg_segment_ptr 1
		.amdhsa_user_sgpr_dispatch_id 0
		.amdhsa_user_sgpr_kernarg_preload_length 0
		.amdhsa_user_sgpr_kernarg_preload_offset 0
		.amdhsa_user_sgpr_private_segment_size 0
		.amdhsa_wavefront_size32 1
		.amdhsa_uses_dynamic_stack 0
		.amdhsa_enable_private_segment 0
		.amdhsa_system_sgpr_workgroup_id_x 1
		.amdhsa_system_sgpr_workgroup_id_y 0
		.amdhsa_system_sgpr_workgroup_id_z 0
		.amdhsa_system_sgpr_workgroup_info 0
		.amdhsa_system_vgpr_workitem_id 0
		.amdhsa_next_free_vgpr 10
		.amdhsa_next_free_sgpr 17
		.amdhsa_named_barrier_count 0
		.amdhsa_reserve_vcc 1
		.amdhsa_float_round_mode_32 0
		.amdhsa_float_round_mode_16_64 0
		.amdhsa_float_denorm_mode_32 3
		.amdhsa_float_denorm_mode_16_64 3
		.amdhsa_fp16_overflow 0
		.amdhsa_memory_ordered 1
		.amdhsa_forward_progress 1
		.amdhsa_inst_pref_size 5
		.amdhsa_round_robin_scheduling 0
		.amdhsa_exception_fp_ieee_invalid_op 0
		.amdhsa_exception_fp_denorm_src 0
		.amdhsa_exception_fp_ieee_div_zero 0
		.amdhsa_exception_fp_ieee_overflow 0
		.amdhsa_exception_fp_ieee_underflow 0
		.amdhsa_exception_fp_ieee_inexact 0
		.amdhsa_exception_int_div_zero 0
	.end_amdhsa_kernel
	.section	.text._ZN7rocprim17ROCPRIM_400000_NS6detail30init_device_scan_by_key_kernelINS1_19lookback_scan_stateINS0_5tupleIJibEEELb1ELb1EEEN6thrust23THRUST_200600_302600_NS16reverse_iteratorIPKiEEjNS1_16block_id_wrapperIjLb0EEEEEvT_jjPNSF_10value_typeET0_PNSt15iterator_traitsISI_E10value_typeEmT1_T2_,"axG",@progbits,_ZN7rocprim17ROCPRIM_400000_NS6detail30init_device_scan_by_key_kernelINS1_19lookback_scan_stateINS0_5tupleIJibEEELb1ELb1EEEN6thrust23THRUST_200600_302600_NS16reverse_iteratorIPKiEEjNS1_16block_id_wrapperIjLb0EEEEEvT_jjPNSF_10value_typeET0_PNSt15iterator_traitsISI_E10value_typeEmT1_T2_,comdat
.Lfunc_end72:
	.size	_ZN7rocprim17ROCPRIM_400000_NS6detail30init_device_scan_by_key_kernelINS1_19lookback_scan_stateINS0_5tupleIJibEEELb1ELb1EEEN6thrust23THRUST_200600_302600_NS16reverse_iteratorIPKiEEjNS1_16block_id_wrapperIjLb0EEEEEvT_jjPNSF_10value_typeET0_PNSt15iterator_traitsISI_E10value_typeEmT1_T2_, .Lfunc_end72-_ZN7rocprim17ROCPRIM_400000_NS6detail30init_device_scan_by_key_kernelINS1_19lookback_scan_stateINS0_5tupleIJibEEELb1ELb1EEEN6thrust23THRUST_200600_302600_NS16reverse_iteratorIPKiEEjNS1_16block_id_wrapperIjLb0EEEEEvT_jjPNSF_10value_typeET0_PNSt15iterator_traitsISI_E10value_typeEmT1_T2_
                                        ; -- End function
	.set _ZN7rocprim17ROCPRIM_400000_NS6detail30init_device_scan_by_key_kernelINS1_19lookback_scan_stateINS0_5tupleIJibEEELb1ELb1EEEN6thrust23THRUST_200600_302600_NS16reverse_iteratorIPKiEEjNS1_16block_id_wrapperIjLb0EEEEEvT_jjPNSF_10value_typeET0_PNSt15iterator_traitsISI_E10value_typeEmT1_T2_.num_vgpr, 10
	.set _ZN7rocprim17ROCPRIM_400000_NS6detail30init_device_scan_by_key_kernelINS1_19lookback_scan_stateINS0_5tupleIJibEEELb1ELb1EEEN6thrust23THRUST_200600_302600_NS16reverse_iteratorIPKiEEjNS1_16block_id_wrapperIjLb0EEEEEvT_jjPNSF_10value_typeET0_PNSt15iterator_traitsISI_E10value_typeEmT1_T2_.num_agpr, 0
	.set _ZN7rocprim17ROCPRIM_400000_NS6detail30init_device_scan_by_key_kernelINS1_19lookback_scan_stateINS0_5tupleIJibEEELb1ELb1EEEN6thrust23THRUST_200600_302600_NS16reverse_iteratorIPKiEEjNS1_16block_id_wrapperIjLb0EEEEEvT_jjPNSF_10value_typeET0_PNSt15iterator_traitsISI_E10value_typeEmT1_T2_.numbered_sgpr, 17
	.set _ZN7rocprim17ROCPRIM_400000_NS6detail30init_device_scan_by_key_kernelINS1_19lookback_scan_stateINS0_5tupleIJibEEELb1ELb1EEEN6thrust23THRUST_200600_302600_NS16reverse_iteratorIPKiEEjNS1_16block_id_wrapperIjLb0EEEEEvT_jjPNSF_10value_typeET0_PNSt15iterator_traitsISI_E10value_typeEmT1_T2_.num_named_barrier, 0
	.set _ZN7rocprim17ROCPRIM_400000_NS6detail30init_device_scan_by_key_kernelINS1_19lookback_scan_stateINS0_5tupleIJibEEELb1ELb1EEEN6thrust23THRUST_200600_302600_NS16reverse_iteratorIPKiEEjNS1_16block_id_wrapperIjLb0EEEEEvT_jjPNSF_10value_typeET0_PNSt15iterator_traitsISI_E10value_typeEmT1_T2_.private_seg_size, 0
	.set _ZN7rocprim17ROCPRIM_400000_NS6detail30init_device_scan_by_key_kernelINS1_19lookback_scan_stateINS0_5tupleIJibEEELb1ELb1EEEN6thrust23THRUST_200600_302600_NS16reverse_iteratorIPKiEEjNS1_16block_id_wrapperIjLb0EEEEEvT_jjPNSF_10value_typeET0_PNSt15iterator_traitsISI_E10value_typeEmT1_T2_.uses_vcc, 1
	.set _ZN7rocprim17ROCPRIM_400000_NS6detail30init_device_scan_by_key_kernelINS1_19lookback_scan_stateINS0_5tupleIJibEEELb1ELb1EEEN6thrust23THRUST_200600_302600_NS16reverse_iteratorIPKiEEjNS1_16block_id_wrapperIjLb0EEEEEvT_jjPNSF_10value_typeET0_PNSt15iterator_traitsISI_E10value_typeEmT1_T2_.uses_flat_scratch, 0
	.set _ZN7rocprim17ROCPRIM_400000_NS6detail30init_device_scan_by_key_kernelINS1_19lookback_scan_stateINS0_5tupleIJibEEELb1ELb1EEEN6thrust23THRUST_200600_302600_NS16reverse_iteratorIPKiEEjNS1_16block_id_wrapperIjLb0EEEEEvT_jjPNSF_10value_typeET0_PNSt15iterator_traitsISI_E10value_typeEmT1_T2_.has_dyn_sized_stack, 0
	.set _ZN7rocprim17ROCPRIM_400000_NS6detail30init_device_scan_by_key_kernelINS1_19lookback_scan_stateINS0_5tupleIJibEEELb1ELb1EEEN6thrust23THRUST_200600_302600_NS16reverse_iteratorIPKiEEjNS1_16block_id_wrapperIjLb0EEEEEvT_jjPNSF_10value_typeET0_PNSt15iterator_traitsISI_E10value_typeEmT1_T2_.has_recursion, 0
	.set _ZN7rocprim17ROCPRIM_400000_NS6detail30init_device_scan_by_key_kernelINS1_19lookback_scan_stateINS0_5tupleIJibEEELb1ELb1EEEN6thrust23THRUST_200600_302600_NS16reverse_iteratorIPKiEEjNS1_16block_id_wrapperIjLb0EEEEEvT_jjPNSF_10value_typeET0_PNSt15iterator_traitsISI_E10value_typeEmT1_T2_.has_indirect_call, 0
	.section	.AMDGPU.csdata,"",@progbits
; Kernel info:
; codeLenInByte = 640
; TotalNumSgprs: 19
; NumVgprs: 10
; ScratchSize: 0
; MemoryBound: 0
; FloatMode: 240
; IeeeMode: 1
; LDSByteSize: 0 bytes/workgroup (compile time only)
; SGPRBlocks: 0
; VGPRBlocks: 0
; NumSGPRsForWavesPerEU: 19
; NumVGPRsForWavesPerEU: 10
; NamedBarCnt: 0
; Occupancy: 16
; WaveLimiterHint : 0
; COMPUTE_PGM_RSRC2:SCRATCH_EN: 0
; COMPUTE_PGM_RSRC2:USER_SGPR: 2
; COMPUTE_PGM_RSRC2:TRAP_HANDLER: 0
; COMPUTE_PGM_RSRC2:TGID_X_EN: 1
; COMPUTE_PGM_RSRC2:TGID_Y_EN: 0
; COMPUTE_PGM_RSRC2:TGID_Z_EN: 0
; COMPUTE_PGM_RSRC2:TIDIG_COMP_CNT: 0
	.section	.text._ZN7rocprim17ROCPRIM_400000_NS6detail17trampoline_kernelINS0_14default_configENS1_27scan_by_key_config_selectorIiiEEZZNS1_16scan_by_key_implILNS1_25lookback_scan_determinismE0ELb0ES3_N6thrust23THRUST_200600_302600_NS16reverse_iteratorIPKiEESD_NSA_IPiEEiN6hipcub16HIPCUB_304000_NS3MaxENSH_8EqualityEiEE10hipError_tPvRmT2_T3_T4_T5_mT6_T7_P12ihipStream_tbENKUlT_T0_E_clISt17integral_constantIbLb1EESZ_IbLb0EEEEDaSV_SW_EUlSV_E_NS1_11comp_targetILNS1_3genE0ELNS1_11target_archE4294967295ELNS1_3gpuE0ELNS1_3repE0EEENS1_30default_config_static_selectorELNS0_4arch9wavefront6targetE0EEEvT1_,"axG",@progbits,_ZN7rocprim17ROCPRIM_400000_NS6detail17trampoline_kernelINS0_14default_configENS1_27scan_by_key_config_selectorIiiEEZZNS1_16scan_by_key_implILNS1_25lookback_scan_determinismE0ELb0ES3_N6thrust23THRUST_200600_302600_NS16reverse_iteratorIPKiEESD_NSA_IPiEEiN6hipcub16HIPCUB_304000_NS3MaxENSH_8EqualityEiEE10hipError_tPvRmT2_T3_T4_T5_mT6_T7_P12ihipStream_tbENKUlT_T0_E_clISt17integral_constantIbLb1EESZ_IbLb0EEEEDaSV_SW_EUlSV_E_NS1_11comp_targetILNS1_3genE0ELNS1_11target_archE4294967295ELNS1_3gpuE0ELNS1_3repE0EEENS1_30default_config_static_selectorELNS0_4arch9wavefront6targetE0EEEvT1_,comdat
	.protected	_ZN7rocprim17ROCPRIM_400000_NS6detail17trampoline_kernelINS0_14default_configENS1_27scan_by_key_config_selectorIiiEEZZNS1_16scan_by_key_implILNS1_25lookback_scan_determinismE0ELb0ES3_N6thrust23THRUST_200600_302600_NS16reverse_iteratorIPKiEESD_NSA_IPiEEiN6hipcub16HIPCUB_304000_NS3MaxENSH_8EqualityEiEE10hipError_tPvRmT2_T3_T4_T5_mT6_T7_P12ihipStream_tbENKUlT_T0_E_clISt17integral_constantIbLb1EESZ_IbLb0EEEEDaSV_SW_EUlSV_E_NS1_11comp_targetILNS1_3genE0ELNS1_11target_archE4294967295ELNS1_3gpuE0ELNS1_3repE0EEENS1_30default_config_static_selectorELNS0_4arch9wavefront6targetE0EEEvT1_ ; -- Begin function _ZN7rocprim17ROCPRIM_400000_NS6detail17trampoline_kernelINS0_14default_configENS1_27scan_by_key_config_selectorIiiEEZZNS1_16scan_by_key_implILNS1_25lookback_scan_determinismE0ELb0ES3_N6thrust23THRUST_200600_302600_NS16reverse_iteratorIPKiEESD_NSA_IPiEEiN6hipcub16HIPCUB_304000_NS3MaxENSH_8EqualityEiEE10hipError_tPvRmT2_T3_T4_T5_mT6_T7_P12ihipStream_tbENKUlT_T0_E_clISt17integral_constantIbLb1EESZ_IbLb0EEEEDaSV_SW_EUlSV_E_NS1_11comp_targetILNS1_3genE0ELNS1_11target_archE4294967295ELNS1_3gpuE0ELNS1_3repE0EEENS1_30default_config_static_selectorELNS0_4arch9wavefront6targetE0EEEvT1_
	.globl	_ZN7rocprim17ROCPRIM_400000_NS6detail17trampoline_kernelINS0_14default_configENS1_27scan_by_key_config_selectorIiiEEZZNS1_16scan_by_key_implILNS1_25lookback_scan_determinismE0ELb0ES3_N6thrust23THRUST_200600_302600_NS16reverse_iteratorIPKiEESD_NSA_IPiEEiN6hipcub16HIPCUB_304000_NS3MaxENSH_8EqualityEiEE10hipError_tPvRmT2_T3_T4_T5_mT6_T7_P12ihipStream_tbENKUlT_T0_E_clISt17integral_constantIbLb1EESZ_IbLb0EEEEDaSV_SW_EUlSV_E_NS1_11comp_targetILNS1_3genE0ELNS1_11target_archE4294967295ELNS1_3gpuE0ELNS1_3repE0EEENS1_30default_config_static_selectorELNS0_4arch9wavefront6targetE0EEEvT1_
	.p2align	8
	.type	_ZN7rocprim17ROCPRIM_400000_NS6detail17trampoline_kernelINS0_14default_configENS1_27scan_by_key_config_selectorIiiEEZZNS1_16scan_by_key_implILNS1_25lookback_scan_determinismE0ELb0ES3_N6thrust23THRUST_200600_302600_NS16reverse_iteratorIPKiEESD_NSA_IPiEEiN6hipcub16HIPCUB_304000_NS3MaxENSH_8EqualityEiEE10hipError_tPvRmT2_T3_T4_T5_mT6_T7_P12ihipStream_tbENKUlT_T0_E_clISt17integral_constantIbLb1EESZ_IbLb0EEEEDaSV_SW_EUlSV_E_NS1_11comp_targetILNS1_3genE0ELNS1_11target_archE4294967295ELNS1_3gpuE0ELNS1_3repE0EEENS1_30default_config_static_selectorELNS0_4arch9wavefront6targetE0EEEvT1_,@function
_ZN7rocprim17ROCPRIM_400000_NS6detail17trampoline_kernelINS0_14default_configENS1_27scan_by_key_config_selectorIiiEEZZNS1_16scan_by_key_implILNS1_25lookback_scan_determinismE0ELb0ES3_N6thrust23THRUST_200600_302600_NS16reverse_iteratorIPKiEESD_NSA_IPiEEiN6hipcub16HIPCUB_304000_NS3MaxENSH_8EqualityEiEE10hipError_tPvRmT2_T3_T4_T5_mT6_T7_P12ihipStream_tbENKUlT_T0_E_clISt17integral_constantIbLb1EESZ_IbLb0EEEEDaSV_SW_EUlSV_E_NS1_11comp_targetILNS1_3genE0ELNS1_11target_archE4294967295ELNS1_3gpuE0ELNS1_3repE0EEENS1_30default_config_static_selectorELNS0_4arch9wavefront6targetE0EEEvT1_: ; @_ZN7rocprim17ROCPRIM_400000_NS6detail17trampoline_kernelINS0_14default_configENS1_27scan_by_key_config_selectorIiiEEZZNS1_16scan_by_key_implILNS1_25lookback_scan_determinismE0ELb0ES3_N6thrust23THRUST_200600_302600_NS16reverse_iteratorIPKiEESD_NSA_IPiEEiN6hipcub16HIPCUB_304000_NS3MaxENSH_8EqualityEiEE10hipError_tPvRmT2_T3_T4_T5_mT6_T7_P12ihipStream_tbENKUlT_T0_E_clISt17integral_constantIbLb1EESZ_IbLb0EEEEDaSV_SW_EUlSV_E_NS1_11comp_targetILNS1_3genE0ELNS1_11target_archE4294967295ELNS1_3gpuE0ELNS1_3repE0EEENS1_30default_config_static_selectorELNS0_4arch9wavefront6targetE0EEEvT1_
; %bb.0:
	s_endpgm
	.section	.rodata,"a",@progbits
	.p2align	6, 0x0
	.amdhsa_kernel _ZN7rocprim17ROCPRIM_400000_NS6detail17trampoline_kernelINS0_14default_configENS1_27scan_by_key_config_selectorIiiEEZZNS1_16scan_by_key_implILNS1_25lookback_scan_determinismE0ELb0ES3_N6thrust23THRUST_200600_302600_NS16reverse_iteratorIPKiEESD_NSA_IPiEEiN6hipcub16HIPCUB_304000_NS3MaxENSH_8EqualityEiEE10hipError_tPvRmT2_T3_T4_T5_mT6_T7_P12ihipStream_tbENKUlT_T0_E_clISt17integral_constantIbLb1EESZ_IbLb0EEEEDaSV_SW_EUlSV_E_NS1_11comp_targetILNS1_3genE0ELNS1_11target_archE4294967295ELNS1_3gpuE0ELNS1_3repE0EEENS1_30default_config_static_selectorELNS0_4arch9wavefront6targetE0EEEvT1_
		.amdhsa_group_segment_fixed_size 0
		.amdhsa_private_segment_fixed_size 0
		.amdhsa_kernarg_size 112
		.amdhsa_user_sgpr_count 2
		.amdhsa_user_sgpr_dispatch_ptr 0
		.amdhsa_user_sgpr_queue_ptr 0
		.amdhsa_user_sgpr_kernarg_segment_ptr 1
		.amdhsa_user_sgpr_dispatch_id 0
		.amdhsa_user_sgpr_kernarg_preload_length 0
		.amdhsa_user_sgpr_kernarg_preload_offset 0
		.amdhsa_user_sgpr_private_segment_size 0
		.amdhsa_wavefront_size32 1
		.amdhsa_uses_dynamic_stack 0
		.amdhsa_enable_private_segment 0
		.amdhsa_system_sgpr_workgroup_id_x 1
		.amdhsa_system_sgpr_workgroup_id_y 0
		.amdhsa_system_sgpr_workgroup_id_z 0
		.amdhsa_system_sgpr_workgroup_info 0
		.amdhsa_system_vgpr_workitem_id 0
		.amdhsa_next_free_vgpr 1
		.amdhsa_next_free_sgpr 1
		.amdhsa_named_barrier_count 0
		.amdhsa_reserve_vcc 0
		.amdhsa_float_round_mode_32 0
		.amdhsa_float_round_mode_16_64 0
		.amdhsa_float_denorm_mode_32 3
		.amdhsa_float_denorm_mode_16_64 3
		.amdhsa_fp16_overflow 0
		.amdhsa_memory_ordered 1
		.amdhsa_forward_progress 1
		.amdhsa_inst_pref_size 1
		.amdhsa_round_robin_scheduling 0
		.amdhsa_exception_fp_ieee_invalid_op 0
		.amdhsa_exception_fp_denorm_src 0
		.amdhsa_exception_fp_ieee_div_zero 0
		.amdhsa_exception_fp_ieee_overflow 0
		.amdhsa_exception_fp_ieee_underflow 0
		.amdhsa_exception_fp_ieee_inexact 0
		.amdhsa_exception_int_div_zero 0
	.end_amdhsa_kernel
	.section	.text._ZN7rocprim17ROCPRIM_400000_NS6detail17trampoline_kernelINS0_14default_configENS1_27scan_by_key_config_selectorIiiEEZZNS1_16scan_by_key_implILNS1_25lookback_scan_determinismE0ELb0ES3_N6thrust23THRUST_200600_302600_NS16reverse_iteratorIPKiEESD_NSA_IPiEEiN6hipcub16HIPCUB_304000_NS3MaxENSH_8EqualityEiEE10hipError_tPvRmT2_T3_T4_T5_mT6_T7_P12ihipStream_tbENKUlT_T0_E_clISt17integral_constantIbLb1EESZ_IbLb0EEEEDaSV_SW_EUlSV_E_NS1_11comp_targetILNS1_3genE0ELNS1_11target_archE4294967295ELNS1_3gpuE0ELNS1_3repE0EEENS1_30default_config_static_selectorELNS0_4arch9wavefront6targetE0EEEvT1_,"axG",@progbits,_ZN7rocprim17ROCPRIM_400000_NS6detail17trampoline_kernelINS0_14default_configENS1_27scan_by_key_config_selectorIiiEEZZNS1_16scan_by_key_implILNS1_25lookback_scan_determinismE0ELb0ES3_N6thrust23THRUST_200600_302600_NS16reverse_iteratorIPKiEESD_NSA_IPiEEiN6hipcub16HIPCUB_304000_NS3MaxENSH_8EqualityEiEE10hipError_tPvRmT2_T3_T4_T5_mT6_T7_P12ihipStream_tbENKUlT_T0_E_clISt17integral_constantIbLb1EESZ_IbLb0EEEEDaSV_SW_EUlSV_E_NS1_11comp_targetILNS1_3genE0ELNS1_11target_archE4294967295ELNS1_3gpuE0ELNS1_3repE0EEENS1_30default_config_static_selectorELNS0_4arch9wavefront6targetE0EEEvT1_,comdat
.Lfunc_end73:
	.size	_ZN7rocprim17ROCPRIM_400000_NS6detail17trampoline_kernelINS0_14default_configENS1_27scan_by_key_config_selectorIiiEEZZNS1_16scan_by_key_implILNS1_25lookback_scan_determinismE0ELb0ES3_N6thrust23THRUST_200600_302600_NS16reverse_iteratorIPKiEESD_NSA_IPiEEiN6hipcub16HIPCUB_304000_NS3MaxENSH_8EqualityEiEE10hipError_tPvRmT2_T3_T4_T5_mT6_T7_P12ihipStream_tbENKUlT_T0_E_clISt17integral_constantIbLb1EESZ_IbLb0EEEEDaSV_SW_EUlSV_E_NS1_11comp_targetILNS1_3genE0ELNS1_11target_archE4294967295ELNS1_3gpuE0ELNS1_3repE0EEENS1_30default_config_static_selectorELNS0_4arch9wavefront6targetE0EEEvT1_, .Lfunc_end73-_ZN7rocprim17ROCPRIM_400000_NS6detail17trampoline_kernelINS0_14default_configENS1_27scan_by_key_config_selectorIiiEEZZNS1_16scan_by_key_implILNS1_25lookback_scan_determinismE0ELb0ES3_N6thrust23THRUST_200600_302600_NS16reverse_iteratorIPKiEESD_NSA_IPiEEiN6hipcub16HIPCUB_304000_NS3MaxENSH_8EqualityEiEE10hipError_tPvRmT2_T3_T4_T5_mT6_T7_P12ihipStream_tbENKUlT_T0_E_clISt17integral_constantIbLb1EESZ_IbLb0EEEEDaSV_SW_EUlSV_E_NS1_11comp_targetILNS1_3genE0ELNS1_11target_archE4294967295ELNS1_3gpuE0ELNS1_3repE0EEENS1_30default_config_static_selectorELNS0_4arch9wavefront6targetE0EEEvT1_
                                        ; -- End function
	.set _ZN7rocprim17ROCPRIM_400000_NS6detail17trampoline_kernelINS0_14default_configENS1_27scan_by_key_config_selectorIiiEEZZNS1_16scan_by_key_implILNS1_25lookback_scan_determinismE0ELb0ES3_N6thrust23THRUST_200600_302600_NS16reverse_iteratorIPKiEESD_NSA_IPiEEiN6hipcub16HIPCUB_304000_NS3MaxENSH_8EqualityEiEE10hipError_tPvRmT2_T3_T4_T5_mT6_T7_P12ihipStream_tbENKUlT_T0_E_clISt17integral_constantIbLb1EESZ_IbLb0EEEEDaSV_SW_EUlSV_E_NS1_11comp_targetILNS1_3genE0ELNS1_11target_archE4294967295ELNS1_3gpuE0ELNS1_3repE0EEENS1_30default_config_static_selectorELNS0_4arch9wavefront6targetE0EEEvT1_.num_vgpr, 0
	.set _ZN7rocprim17ROCPRIM_400000_NS6detail17trampoline_kernelINS0_14default_configENS1_27scan_by_key_config_selectorIiiEEZZNS1_16scan_by_key_implILNS1_25lookback_scan_determinismE0ELb0ES3_N6thrust23THRUST_200600_302600_NS16reverse_iteratorIPKiEESD_NSA_IPiEEiN6hipcub16HIPCUB_304000_NS3MaxENSH_8EqualityEiEE10hipError_tPvRmT2_T3_T4_T5_mT6_T7_P12ihipStream_tbENKUlT_T0_E_clISt17integral_constantIbLb1EESZ_IbLb0EEEEDaSV_SW_EUlSV_E_NS1_11comp_targetILNS1_3genE0ELNS1_11target_archE4294967295ELNS1_3gpuE0ELNS1_3repE0EEENS1_30default_config_static_selectorELNS0_4arch9wavefront6targetE0EEEvT1_.num_agpr, 0
	.set _ZN7rocprim17ROCPRIM_400000_NS6detail17trampoline_kernelINS0_14default_configENS1_27scan_by_key_config_selectorIiiEEZZNS1_16scan_by_key_implILNS1_25lookback_scan_determinismE0ELb0ES3_N6thrust23THRUST_200600_302600_NS16reverse_iteratorIPKiEESD_NSA_IPiEEiN6hipcub16HIPCUB_304000_NS3MaxENSH_8EqualityEiEE10hipError_tPvRmT2_T3_T4_T5_mT6_T7_P12ihipStream_tbENKUlT_T0_E_clISt17integral_constantIbLb1EESZ_IbLb0EEEEDaSV_SW_EUlSV_E_NS1_11comp_targetILNS1_3genE0ELNS1_11target_archE4294967295ELNS1_3gpuE0ELNS1_3repE0EEENS1_30default_config_static_selectorELNS0_4arch9wavefront6targetE0EEEvT1_.numbered_sgpr, 0
	.set _ZN7rocprim17ROCPRIM_400000_NS6detail17trampoline_kernelINS0_14default_configENS1_27scan_by_key_config_selectorIiiEEZZNS1_16scan_by_key_implILNS1_25lookback_scan_determinismE0ELb0ES3_N6thrust23THRUST_200600_302600_NS16reverse_iteratorIPKiEESD_NSA_IPiEEiN6hipcub16HIPCUB_304000_NS3MaxENSH_8EqualityEiEE10hipError_tPvRmT2_T3_T4_T5_mT6_T7_P12ihipStream_tbENKUlT_T0_E_clISt17integral_constantIbLb1EESZ_IbLb0EEEEDaSV_SW_EUlSV_E_NS1_11comp_targetILNS1_3genE0ELNS1_11target_archE4294967295ELNS1_3gpuE0ELNS1_3repE0EEENS1_30default_config_static_selectorELNS0_4arch9wavefront6targetE0EEEvT1_.num_named_barrier, 0
	.set _ZN7rocprim17ROCPRIM_400000_NS6detail17trampoline_kernelINS0_14default_configENS1_27scan_by_key_config_selectorIiiEEZZNS1_16scan_by_key_implILNS1_25lookback_scan_determinismE0ELb0ES3_N6thrust23THRUST_200600_302600_NS16reverse_iteratorIPKiEESD_NSA_IPiEEiN6hipcub16HIPCUB_304000_NS3MaxENSH_8EqualityEiEE10hipError_tPvRmT2_T3_T4_T5_mT6_T7_P12ihipStream_tbENKUlT_T0_E_clISt17integral_constantIbLb1EESZ_IbLb0EEEEDaSV_SW_EUlSV_E_NS1_11comp_targetILNS1_3genE0ELNS1_11target_archE4294967295ELNS1_3gpuE0ELNS1_3repE0EEENS1_30default_config_static_selectorELNS0_4arch9wavefront6targetE0EEEvT1_.private_seg_size, 0
	.set _ZN7rocprim17ROCPRIM_400000_NS6detail17trampoline_kernelINS0_14default_configENS1_27scan_by_key_config_selectorIiiEEZZNS1_16scan_by_key_implILNS1_25lookback_scan_determinismE0ELb0ES3_N6thrust23THRUST_200600_302600_NS16reverse_iteratorIPKiEESD_NSA_IPiEEiN6hipcub16HIPCUB_304000_NS3MaxENSH_8EqualityEiEE10hipError_tPvRmT2_T3_T4_T5_mT6_T7_P12ihipStream_tbENKUlT_T0_E_clISt17integral_constantIbLb1EESZ_IbLb0EEEEDaSV_SW_EUlSV_E_NS1_11comp_targetILNS1_3genE0ELNS1_11target_archE4294967295ELNS1_3gpuE0ELNS1_3repE0EEENS1_30default_config_static_selectorELNS0_4arch9wavefront6targetE0EEEvT1_.uses_vcc, 0
	.set _ZN7rocprim17ROCPRIM_400000_NS6detail17trampoline_kernelINS0_14default_configENS1_27scan_by_key_config_selectorIiiEEZZNS1_16scan_by_key_implILNS1_25lookback_scan_determinismE0ELb0ES3_N6thrust23THRUST_200600_302600_NS16reverse_iteratorIPKiEESD_NSA_IPiEEiN6hipcub16HIPCUB_304000_NS3MaxENSH_8EqualityEiEE10hipError_tPvRmT2_T3_T4_T5_mT6_T7_P12ihipStream_tbENKUlT_T0_E_clISt17integral_constantIbLb1EESZ_IbLb0EEEEDaSV_SW_EUlSV_E_NS1_11comp_targetILNS1_3genE0ELNS1_11target_archE4294967295ELNS1_3gpuE0ELNS1_3repE0EEENS1_30default_config_static_selectorELNS0_4arch9wavefront6targetE0EEEvT1_.uses_flat_scratch, 0
	.set _ZN7rocprim17ROCPRIM_400000_NS6detail17trampoline_kernelINS0_14default_configENS1_27scan_by_key_config_selectorIiiEEZZNS1_16scan_by_key_implILNS1_25lookback_scan_determinismE0ELb0ES3_N6thrust23THRUST_200600_302600_NS16reverse_iteratorIPKiEESD_NSA_IPiEEiN6hipcub16HIPCUB_304000_NS3MaxENSH_8EqualityEiEE10hipError_tPvRmT2_T3_T4_T5_mT6_T7_P12ihipStream_tbENKUlT_T0_E_clISt17integral_constantIbLb1EESZ_IbLb0EEEEDaSV_SW_EUlSV_E_NS1_11comp_targetILNS1_3genE0ELNS1_11target_archE4294967295ELNS1_3gpuE0ELNS1_3repE0EEENS1_30default_config_static_selectorELNS0_4arch9wavefront6targetE0EEEvT1_.has_dyn_sized_stack, 0
	.set _ZN7rocprim17ROCPRIM_400000_NS6detail17trampoline_kernelINS0_14default_configENS1_27scan_by_key_config_selectorIiiEEZZNS1_16scan_by_key_implILNS1_25lookback_scan_determinismE0ELb0ES3_N6thrust23THRUST_200600_302600_NS16reverse_iteratorIPKiEESD_NSA_IPiEEiN6hipcub16HIPCUB_304000_NS3MaxENSH_8EqualityEiEE10hipError_tPvRmT2_T3_T4_T5_mT6_T7_P12ihipStream_tbENKUlT_T0_E_clISt17integral_constantIbLb1EESZ_IbLb0EEEEDaSV_SW_EUlSV_E_NS1_11comp_targetILNS1_3genE0ELNS1_11target_archE4294967295ELNS1_3gpuE0ELNS1_3repE0EEENS1_30default_config_static_selectorELNS0_4arch9wavefront6targetE0EEEvT1_.has_recursion, 0
	.set _ZN7rocprim17ROCPRIM_400000_NS6detail17trampoline_kernelINS0_14default_configENS1_27scan_by_key_config_selectorIiiEEZZNS1_16scan_by_key_implILNS1_25lookback_scan_determinismE0ELb0ES3_N6thrust23THRUST_200600_302600_NS16reverse_iteratorIPKiEESD_NSA_IPiEEiN6hipcub16HIPCUB_304000_NS3MaxENSH_8EqualityEiEE10hipError_tPvRmT2_T3_T4_T5_mT6_T7_P12ihipStream_tbENKUlT_T0_E_clISt17integral_constantIbLb1EESZ_IbLb0EEEEDaSV_SW_EUlSV_E_NS1_11comp_targetILNS1_3genE0ELNS1_11target_archE4294967295ELNS1_3gpuE0ELNS1_3repE0EEENS1_30default_config_static_selectorELNS0_4arch9wavefront6targetE0EEEvT1_.has_indirect_call, 0
	.section	.AMDGPU.csdata,"",@progbits
; Kernel info:
; codeLenInByte = 4
; TotalNumSgprs: 0
; NumVgprs: 0
; ScratchSize: 0
; MemoryBound: 0
; FloatMode: 240
; IeeeMode: 1
; LDSByteSize: 0 bytes/workgroup (compile time only)
; SGPRBlocks: 0
; VGPRBlocks: 0
; NumSGPRsForWavesPerEU: 1
; NumVGPRsForWavesPerEU: 1
; NamedBarCnt: 0
; Occupancy: 16
; WaveLimiterHint : 0
; COMPUTE_PGM_RSRC2:SCRATCH_EN: 0
; COMPUTE_PGM_RSRC2:USER_SGPR: 2
; COMPUTE_PGM_RSRC2:TRAP_HANDLER: 0
; COMPUTE_PGM_RSRC2:TGID_X_EN: 1
; COMPUTE_PGM_RSRC2:TGID_Y_EN: 0
; COMPUTE_PGM_RSRC2:TGID_Z_EN: 0
; COMPUTE_PGM_RSRC2:TIDIG_COMP_CNT: 0
	.section	.text._ZN7rocprim17ROCPRIM_400000_NS6detail17trampoline_kernelINS0_14default_configENS1_27scan_by_key_config_selectorIiiEEZZNS1_16scan_by_key_implILNS1_25lookback_scan_determinismE0ELb0ES3_N6thrust23THRUST_200600_302600_NS16reverse_iteratorIPKiEESD_NSA_IPiEEiN6hipcub16HIPCUB_304000_NS3MaxENSH_8EqualityEiEE10hipError_tPvRmT2_T3_T4_T5_mT6_T7_P12ihipStream_tbENKUlT_T0_E_clISt17integral_constantIbLb1EESZ_IbLb0EEEEDaSV_SW_EUlSV_E_NS1_11comp_targetILNS1_3genE10ELNS1_11target_archE1201ELNS1_3gpuE5ELNS1_3repE0EEENS1_30default_config_static_selectorELNS0_4arch9wavefront6targetE0EEEvT1_,"axG",@progbits,_ZN7rocprim17ROCPRIM_400000_NS6detail17trampoline_kernelINS0_14default_configENS1_27scan_by_key_config_selectorIiiEEZZNS1_16scan_by_key_implILNS1_25lookback_scan_determinismE0ELb0ES3_N6thrust23THRUST_200600_302600_NS16reverse_iteratorIPKiEESD_NSA_IPiEEiN6hipcub16HIPCUB_304000_NS3MaxENSH_8EqualityEiEE10hipError_tPvRmT2_T3_T4_T5_mT6_T7_P12ihipStream_tbENKUlT_T0_E_clISt17integral_constantIbLb1EESZ_IbLb0EEEEDaSV_SW_EUlSV_E_NS1_11comp_targetILNS1_3genE10ELNS1_11target_archE1201ELNS1_3gpuE5ELNS1_3repE0EEENS1_30default_config_static_selectorELNS0_4arch9wavefront6targetE0EEEvT1_,comdat
	.protected	_ZN7rocprim17ROCPRIM_400000_NS6detail17trampoline_kernelINS0_14default_configENS1_27scan_by_key_config_selectorIiiEEZZNS1_16scan_by_key_implILNS1_25lookback_scan_determinismE0ELb0ES3_N6thrust23THRUST_200600_302600_NS16reverse_iteratorIPKiEESD_NSA_IPiEEiN6hipcub16HIPCUB_304000_NS3MaxENSH_8EqualityEiEE10hipError_tPvRmT2_T3_T4_T5_mT6_T7_P12ihipStream_tbENKUlT_T0_E_clISt17integral_constantIbLb1EESZ_IbLb0EEEEDaSV_SW_EUlSV_E_NS1_11comp_targetILNS1_3genE10ELNS1_11target_archE1201ELNS1_3gpuE5ELNS1_3repE0EEENS1_30default_config_static_selectorELNS0_4arch9wavefront6targetE0EEEvT1_ ; -- Begin function _ZN7rocprim17ROCPRIM_400000_NS6detail17trampoline_kernelINS0_14default_configENS1_27scan_by_key_config_selectorIiiEEZZNS1_16scan_by_key_implILNS1_25lookback_scan_determinismE0ELb0ES3_N6thrust23THRUST_200600_302600_NS16reverse_iteratorIPKiEESD_NSA_IPiEEiN6hipcub16HIPCUB_304000_NS3MaxENSH_8EqualityEiEE10hipError_tPvRmT2_T3_T4_T5_mT6_T7_P12ihipStream_tbENKUlT_T0_E_clISt17integral_constantIbLb1EESZ_IbLb0EEEEDaSV_SW_EUlSV_E_NS1_11comp_targetILNS1_3genE10ELNS1_11target_archE1201ELNS1_3gpuE5ELNS1_3repE0EEENS1_30default_config_static_selectorELNS0_4arch9wavefront6targetE0EEEvT1_
	.globl	_ZN7rocprim17ROCPRIM_400000_NS6detail17trampoline_kernelINS0_14default_configENS1_27scan_by_key_config_selectorIiiEEZZNS1_16scan_by_key_implILNS1_25lookback_scan_determinismE0ELb0ES3_N6thrust23THRUST_200600_302600_NS16reverse_iteratorIPKiEESD_NSA_IPiEEiN6hipcub16HIPCUB_304000_NS3MaxENSH_8EqualityEiEE10hipError_tPvRmT2_T3_T4_T5_mT6_T7_P12ihipStream_tbENKUlT_T0_E_clISt17integral_constantIbLb1EESZ_IbLb0EEEEDaSV_SW_EUlSV_E_NS1_11comp_targetILNS1_3genE10ELNS1_11target_archE1201ELNS1_3gpuE5ELNS1_3repE0EEENS1_30default_config_static_selectorELNS0_4arch9wavefront6targetE0EEEvT1_
	.p2align	8
	.type	_ZN7rocprim17ROCPRIM_400000_NS6detail17trampoline_kernelINS0_14default_configENS1_27scan_by_key_config_selectorIiiEEZZNS1_16scan_by_key_implILNS1_25lookback_scan_determinismE0ELb0ES3_N6thrust23THRUST_200600_302600_NS16reverse_iteratorIPKiEESD_NSA_IPiEEiN6hipcub16HIPCUB_304000_NS3MaxENSH_8EqualityEiEE10hipError_tPvRmT2_T3_T4_T5_mT6_T7_P12ihipStream_tbENKUlT_T0_E_clISt17integral_constantIbLb1EESZ_IbLb0EEEEDaSV_SW_EUlSV_E_NS1_11comp_targetILNS1_3genE10ELNS1_11target_archE1201ELNS1_3gpuE5ELNS1_3repE0EEENS1_30default_config_static_selectorELNS0_4arch9wavefront6targetE0EEEvT1_,@function
_ZN7rocprim17ROCPRIM_400000_NS6detail17trampoline_kernelINS0_14default_configENS1_27scan_by_key_config_selectorIiiEEZZNS1_16scan_by_key_implILNS1_25lookback_scan_determinismE0ELb0ES3_N6thrust23THRUST_200600_302600_NS16reverse_iteratorIPKiEESD_NSA_IPiEEiN6hipcub16HIPCUB_304000_NS3MaxENSH_8EqualityEiEE10hipError_tPvRmT2_T3_T4_T5_mT6_T7_P12ihipStream_tbENKUlT_T0_E_clISt17integral_constantIbLb1EESZ_IbLb0EEEEDaSV_SW_EUlSV_E_NS1_11comp_targetILNS1_3genE10ELNS1_11target_archE1201ELNS1_3gpuE5ELNS1_3repE0EEENS1_30default_config_static_selectorELNS0_4arch9wavefront6targetE0EEEvT1_: ; @_ZN7rocprim17ROCPRIM_400000_NS6detail17trampoline_kernelINS0_14default_configENS1_27scan_by_key_config_selectorIiiEEZZNS1_16scan_by_key_implILNS1_25lookback_scan_determinismE0ELb0ES3_N6thrust23THRUST_200600_302600_NS16reverse_iteratorIPKiEESD_NSA_IPiEEiN6hipcub16HIPCUB_304000_NS3MaxENSH_8EqualityEiEE10hipError_tPvRmT2_T3_T4_T5_mT6_T7_P12ihipStream_tbENKUlT_T0_E_clISt17integral_constantIbLb1EESZ_IbLb0EEEEDaSV_SW_EUlSV_E_NS1_11comp_targetILNS1_3genE10ELNS1_11target_archE1201ELNS1_3gpuE5ELNS1_3repE0EEENS1_30default_config_static_selectorELNS0_4arch9wavefront6targetE0EEEvT1_
; %bb.0:
	.section	.rodata,"a",@progbits
	.p2align	6, 0x0
	.amdhsa_kernel _ZN7rocprim17ROCPRIM_400000_NS6detail17trampoline_kernelINS0_14default_configENS1_27scan_by_key_config_selectorIiiEEZZNS1_16scan_by_key_implILNS1_25lookback_scan_determinismE0ELb0ES3_N6thrust23THRUST_200600_302600_NS16reverse_iteratorIPKiEESD_NSA_IPiEEiN6hipcub16HIPCUB_304000_NS3MaxENSH_8EqualityEiEE10hipError_tPvRmT2_T3_T4_T5_mT6_T7_P12ihipStream_tbENKUlT_T0_E_clISt17integral_constantIbLb1EESZ_IbLb0EEEEDaSV_SW_EUlSV_E_NS1_11comp_targetILNS1_3genE10ELNS1_11target_archE1201ELNS1_3gpuE5ELNS1_3repE0EEENS1_30default_config_static_selectorELNS0_4arch9wavefront6targetE0EEEvT1_
		.amdhsa_group_segment_fixed_size 0
		.amdhsa_private_segment_fixed_size 0
		.amdhsa_kernarg_size 112
		.amdhsa_user_sgpr_count 2
		.amdhsa_user_sgpr_dispatch_ptr 0
		.amdhsa_user_sgpr_queue_ptr 0
		.amdhsa_user_sgpr_kernarg_segment_ptr 1
		.amdhsa_user_sgpr_dispatch_id 0
		.amdhsa_user_sgpr_kernarg_preload_length 0
		.amdhsa_user_sgpr_kernarg_preload_offset 0
		.amdhsa_user_sgpr_private_segment_size 0
		.amdhsa_wavefront_size32 1
		.amdhsa_uses_dynamic_stack 0
		.amdhsa_enable_private_segment 0
		.amdhsa_system_sgpr_workgroup_id_x 1
		.amdhsa_system_sgpr_workgroup_id_y 0
		.amdhsa_system_sgpr_workgroup_id_z 0
		.amdhsa_system_sgpr_workgroup_info 0
		.amdhsa_system_vgpr_workitem_id 0
		.amdhsa_next_free_vgpr 1
		.amdhsa_next_free_sgpr 1
		.amdhsa_named_barrier_count 0
		.amdhsa_reserve_vcc 0
		.amdhsa_float_round_mode_32 0
		.amdhsa_float_round_mode_16_64 0
		.amdhsa_float_denorm_mode_32 3
		.amdhsa_float_denorm_mode_16_64 3
		.amdhsa_fp16_overflow 0
		.amdhsa_memory_ordered 1
		.amdhsa_forward_progress 1
		.amdhsa_inst_pref_size 0
		.amdhsa_round_robin_scheduling 0
		.amdhsa_exception_fp_ieee_invalid_op 0
		.amdhsa_exception_fp_denorm_src 0
		.amdhsa_exception_fp_ieee_div_zero 0
		.amdhsa_exception_fp_ieee_overflow 0
		.amdhsa_exception_fp_ieee_underflow 0
		.amdhsa_exception_fp_ieee_inexact 0
		.amdhsa_exception_int_div_zero 0
	.end_amdhsa_kernel
	.section	.text._ZN7rocprim17ROCPRIM_400000_NS6detail17trampoline_kernelINS0_14default_configENS1_27scan_by_key_config_selectorIiiEEZZNS1_16scan_by_key_implILNS1_25lookback_scan_determinismE0ELb0ES3_N6thrust23THRUST_200600_302600_NS16reverse_iteratorIPKiEESD_NSA_IPiEEiN6hipcub16HIPCUB_304000_NS3MaxENSH_8EqualityEiEE10hipError_tPvRmT2_T3_T4_T5_mT6_T7_P12ihipStream_tbENKUlT_T0_E_clISt17integral_constantIbLb1EESZ_IbLb0EEEEDaSV_SW_EUlSV_E_NS1_11comp_targetILNS1_3genE10ELNS1_11target_archE1201ELNS1_3gpuE5ELNS1_3repE0EEENS1_30default_config_static_selectorELNS0_4arch9wavefront6targetE0EEEvT1_,"axG",@progbits,_ZN7rocprim17ROCPRIM_400000_NS6detail17trampoline_kernelINS0_14default_configENS1_27scan_by_key_config_selectorIiiEEZZNS1_16scan_by_key_implILNS1_25lookback_scan_determinismE0ELb0ES3_N6thrust23THRUST_200600_302600_NS16reverse_iteratorIPKiEESD_NSA_IPiEEiN6hipcub16HIPCUB_304000_NS3MaxENSH_8EqualityEiEE10hipError_tPvRmT2_T3_T4_T5_mT6_T7_P12ihipStream_tbENKUlT_T0_E_clISt17integral_constantIbLb1EESZ_IbLb0EEEEDaSV_SW_EUlSV_E_NS1_11comp_targetILNS1_3genE10ELNS1_11target_archE1201ELNS1_3gpuE5ELNS1_3repE0EEENS1_30default_config_static_selectorELNS0_4arch9wavefront6targetE0EEEvT1_,comdat
.Lfunc_end74:
	.size	_ZN7rocprim17ROCPRIM_400000_NS6detail17trampoline_kernelINS0_14default_configENS1_27scan_by_key_config_selectorIiiEEZZNS1_16scan_by_key_implILNS1_25lookback_scan_determinismE0ELb0ES3_N6thrust23THRUST_200600_302600_NS16reverse_iteratorIPKiEESD_NSA_IPiEEiN6hipcub16HIPCUB_304000_NS3MaxENSH_8EqualityEiEE10hipError_tPvRmT2_T3_T4_T5_mT6_T7_P12ihipStream_tbENKUlT_T0_E_clISt17integral_constantIbLb1EESZ_IbLb0EEEEDaSV_SW_EUlSV_E_NS1_11comp_targetILNS1_3genE10ELNS1_11target_archE1201ELNS1_3gpuE5ELNS1_3repE0EEENS1_30default_config_static_selectorELNS0_4arch9wavefront6targetE0EEEvT1_, .Lfunc_end74-_ZN7rocprim17ROCPRIM_400000_NS6detail17trampoline_kernelINS0_14default_configENS1_27scan_by_key_config_selectorIiiEEZZNS1_16scan_by_key_implILNS1_25lookback_scan_determinismE0ELb0ES3_N6thrust23THRUST_200600_302600_NS16reverse_iteratorIPKiEESD_NSA_IPiEEiN6hipcub16HIPCUB_304000_NS3MaxENSH_8EqualityEiEE10hipError_tPvRmT2_T3_T4_T5_mT6_T7_P12ihipStream_tbENKUlT_T0_E_clISt17integral_constantIbLb1EESZ_IbLb0EEEEDaSV_SW_EUlSV_E_NS1_11comp_targetILNS1_3genE10ELNS1_11target_archE1201ELNS1_3gpuE5ELNS1_3repE0EEENS1_30default_config_static_selectorELNS0_4arch9wavefront6targetE0EEEvT1_
                                        ; -- End function
	.set _ZN7rocprim17ROCPRIM_400000_NS6detail17trampoline_kernelINS0_14default_configENS1_27scan_by_key_config_selectorIiiEEZZNS1_16scan_by_key_implILNS1_25lookback_scan_determinismE0ELb0ES3_N6thrust23THRUST_200600_302600_NS16reverse_iteratorIPKiEESD_NSA_IPiEEiN6hipcub16HIPCUB_304000_NS3MaxENSH_8EqualityEiEE10hipError_tPvRmT2_T3_T4_T5_mT6_T7_P12ihipStream_tbENKUlT_T0_E_clISt17integral_constantIbLb1EESZ_IbLb0EEEEDaSV_SW_EUlSV_E_NS1_11comp_targetILNS1_3genE10ELNS1_11target_archE1201ELNS1_3gpuE5ELNS1_3repE0EEENS1_30default_config_static_selectorELNS0_4arch9wavefront6targetE0EEEvT1_.num_vgpr, 0
	.set _ZN7rocprim17ROCPRIM_400000_NS6detail17trampoline_kernelINS0_14default_configENS1_27scan_by_key_config_selectorIiiEEZZNS1_16scan_by_key_implILNS1_25lookback_scan_determinismE0ELb0ES3_N6thrust23THRUST_200600_302600_NS16reverse_iteratorIPKiEESD_NSA_IPiEEiN6hipcub16HIPCUB_304000_NS3MaxENSH_8EqualityEiEE10hipError_tPvRmT2_T3_T4_T5_mT6_T7_P12ihipStream_tbENKUlT_T0_E_clISt17integral_constantIbLb1EESZ_IbLb0EEEEDaSV_SW_EUlSV_E_NS1_11comp_targetILNS1_3genE10ELNS1_11target_archE1201ELNS1_3gpuE5ELNS1_3repE0EEENS1_30default_config_static_selectorELNS0_4arch9wavefront6targetE0EEEvT1_.num_agpr, 0
	.set _ZN7rocprim17ROCPRIM_400000_NS6detail17trampoline_kernelINS0_14default_configENS1_27scan_by_key_config_selectorIiiEEZZNS1_16scan_by_key_implILNS1_25lookback_scan_determinismE0ELb0ES3_N6thrust23THRUST_200600_302600_NS16reverse_iteratorIPKiEESD_NSA_IPiEEiN6hipcub16HIPCUB_304000_NS3MaxENSH_8EqualityEiEE10hipError_tPvRmT2_T3_T4_T5_mT6_T7_P12ihipStream_tbENKUlT_T0_E_clISt17integral_constantIbLb1EESZ_IbLb0EEEEDaSV_SW_EUlSV_E_NS1_11comp_targetILNS1_3genE10ELNS1_11target_archE1201ELNS1_3gpuE5ELNS1_3repE0EEENS1_30default_config_static_selectorELNS0_4arch9wavefront6targetE0EEEvT1_.numbered_sgpr, 0
	.set _ZN7rocprim17ROCPRIM_400000_NS6detail17trampoline_kernelINS0_14default_configENS1_27scan_by_key_config_selectorIiiEEZZNS1_16scan_by_key_implILNS1_25lookback_scan_determinismE0ELb0ES3_N6thrust23THRUST_200600_302600_NS16reverse_iteratorIPKiEESD_NSA_IPiEEiN6hipcub16HIPCUB_304000_NS3MaxENSH_8EqualityEiEE10hipError_tPvRmT2_T3_T4_T5_mT6_T7_P12ihipStream_tbENKUlT_T0_E_clISt17integral_constantIbLb1EESZ_IbLb0EEEEDaSV_SW_EUlSV_E_NS1_11comp_targetILNS1_3genE10ELNS1_11target_archE1201ELNS1_3gpuE5ELNS1_3repE0EEENS1_30default_config_static_selectorELNS0_4arch9wavefront6targetE0EEEvT1_.num_named_barrier, 0
	.set _ZN7rocprim17ROCPRIM_400000_NS6detail17trampoline_kernelINS0_14default_configENS1_27scan_by_key_config_selectorIiiEEZZNS1_16scan_by_key_implILNS1_25lookback_scan_determinismE0ELb0ES3_N6thrust23THRUST_200600_302600_NS16reverse_iteratorIPKiEESD_NSA_IPiEEiN6hipcub16HIPCUB_304000_NS3MaxENSH_8EqualityEiEE10hipError_tPvRmT2_T3_T4_T5_mT6_T7_P12ihipStream_tbENKUlT_T0_E_clISt17integral_constantIbLb1EESZ_IbLb0EEEEDaSV_SW_EUlSV_E_NS1_11comp_targetILNS1_3genE10ELNS1_11target_archE1201ELNS1_3gpuE5ELNS1_3repE0EEENS1_30default_config_static_selectorELNS0_4arch9wavefront6targetE0EEEvT1_.private_seg_size, 0
	.set _ZN7rocprim17ROCPRIM_400000_NS6detail17trampoline_kernelINS0_14default_configENS1_27scan_by_key_config_selectorIiiEEZZNS1_16scan_by_key_implILNS1_25lookback_scan_determinismE0ELb0ES3_N6thrust23THRUST_200600_302600_NS16reverse_iteratorIPKiEESD_NSA_IPiEEiN6hipcub16HIPCUB_304000_NS3MaxENSH_8EqualityEiEE10hipError_tPvRmT2_T3_T4_T5_mT6_T7_P12ihipStream_tbENKUlT_T0_E_clISt17integral_constantIbLb1EESZ_IbLb0EEEEDaSV_SW_EUlSV_E_NS1_11comp_targetILNS1_3genE10ELNS1_11target_archE1201ELNS1_3gpuE5ELNS1_3repE0EEENS1_30default_config_static_selectorELNS0_4arch9wavefront6targetE0EEEvT1_.uses_vcc, 0
	.set _ZN7rocprim17ROCPRIM_400000_NS6detail17trampoline_kernelINS0_14default_configENS1_27scan_by_key_config_selectorIiiEEZZNS1_16scan_by_key_implILNS1_25lookback_scan_determinismE0ELb0ES3_N6thrust23THRUST_200600_302600_NS16reverse_iteratorIPKiEESD_NSA_IPiEEiN6hipcub16HIPCUB_304000_NS3MaxENSH_8EqualityEiEE10hipError_tPvRmT2_T3_T4_T5_mT6_T7_P12ihipStream_tbENKUlT_T0_E_clISt17integral_constantIbLb1EESZ_IbLb0EEEEDaSV_SW_EUlSV_E_NS1_11comp_targetILNS1_3genE10ELNS1_11target_archE1201ELNS1_3gpuE5ELNS1_3repE0EEENS1_30default_config_static_selectorELNS0_4arch9wavefront6targetE0EEEvT1_.uses_flat_scratch, 0
	.set _ZN7rocprim17ROCPRIM_400000_NS6detail17trampoline_kernelINS0_14default_configENS1_27scan_by_key_config_selectorIiiEEZZNS1_16scan_by_key_implILNS1_25lookback_scan_determinismE0ELb0ES3_N6thrust23THRUST_200600_302600_NS16reverse_iteratorIPKiEESD_NSA_IPiEEiN6hipcub16HIPCUB_304000_NS3MaxENSH_8EqualityEiEE10hipError_tPvRmT2_T3_T4_T5_mT6_T7_P12ihipStream_tbENKUlT_T0_E_clISt17integral_constantIbLb1EESZ_IbLb0EEEEDaSV_SW_EUlSV_E_NS1_11comp_targetILNS1_3genE10ELNS1_11target_archE1201ELNS1_3gpuE5ELNS1_3repE0EEENS1_30default_config_static_selectorELNS0_4arch9wavefront6targetE0EEEvT1_.has_dyn_sized_stack, 0
	.set _ZN7rocprim17ROCPRIM_400000_NS6detail17trampoline_kernelINS0_14default_configENS1_27scan_by_key_config_selectorIiiEEZZNS1_16scan_by_key_implILNS1_25lookback_scan_determinismE0ELb0ES3_N6thrust23THRUST_200600_302600_NS16reverse_iteratorIPKiEESD_NSA_IPiEEiN6hipcub16HIPCUB_304000_NS3MaxENSH_8EqualityEiEE10hipError_tPvRmT2_T3_T4_T5_mT6_T7_P12ihipStream_tbENKUlT_T0_E_clISt17integral_constantIbLb1EESZ_IbLb0EEEEDaSV_SW_EUlSV_E_NS1_11comp_targetILNS1_3genE10ELNS1_11target_archE1201ELNS1_3gpuE5ELNS1_3repE0EEENS1_30default_config_static_selectorELNS0_4arch9wavefront6targetE0EEEvT1_.has_recursion, 0
	.set _ZN7rocprim17ROCPRIM_400000_NS6detail17trampoline_kernelINS0_14default_configENS1_27scan_by_key_config_selectorIiiEEZZNS1_16scan_by_key_implILNS1_25lookback_scan_determinismE0ELb0ES3_N6thrust23THRUST_200600_302600_NS16reverse_iteratorIPKiEESD_NSA_IPiEEiN6hipcub16HIPCUB_304000_NS3MaxENSH_8EqualityEiEE10hipError_tPvRmT2_T3_T4_T5_mT6_T7_P12ihipStream_tbENKUlT_T0_E_clISt17integral_constantIbLb1EESZ_IbLb0EEEEDaSV_SW_EUlSV_E_NS1_11comp_targetILNS1_3genE10ELNS1_11target_archE1201ELNS1_3gpuE5ELNS1_3repE0EEENS1_30default_config_static_selectorELNS0_4arch9wavefront6targetE0EEEvT1_.has_indirect_call, 0
	.section	.AMDGPU.csdata,"",@progbits
; Kernel info:
; codeLenInByte = 0
; TotalNumSgprs: 0
; NumVgprs: 0
; ScratchSize: 0
; MemoryBound: 0
; FloatMode: 240
; IeeeMode: 1
; LDSByteSize: 0 bytes/workgroup (compile time only)
; SGPRBlocks: 0
; VGPRBlocks: 0
; NumSGPRsForWavesPerEU: 1
; NumVGPRsForWavesPerEU: 1
; NamedBarCnt: 0
; Occupancy: 16
; WaveLimiterHint : 0
; COMPUTE_PGM_RSRC2:SCRATCH_EN: 0
; COMPUTE_PGM_RSRC2:USER_SGPR: 2
; COMPUTE_PGM_RSRC2:TRAP_HANDLER: 0
; COMPUTE_PGM_RSRC2:TGID_X_EN: 1
; COMPUTE_PGM_RSRC2:TGID_Y_EN: 0
; COMPUTE_PGM_RSRC2:TGID_Z_EN: 0
; COMPUTE_PGM_RSRC2:TIDIG_COMP_CNT: 0
	.section	.text._ZN7rocprim17ROCPRIM_400000_NS6detail17trampoline_kernelINS0_14default_configENS1_27scan_by_key_config_selectorIiiEEZZNS1_16scan_by_key_implILNS1_25lookback_scan_determinismE0ELb0ES3_N6thrust23THRUST_200600_302600_NS16reverse_iteratorIPKiEESD_NSA_IPiEEiN6hipcub16HIPCUB_304000_NS3MaxENSH_8EqualityEiEE10hipError_tPvRmT2_T3_T4_T5_mT6_T7_P12ihipStream_tbENKUlT_T0_E_clISt17integral_constantIbLb1EESZ_IbLb0EEEEDaSV_SW_EUlSV_E_NS1_11comp_targetILNS1_3genE5ELNS1_11target_archE942ELNS1_3gpuE9ELNS1_3repE0EEENS1_30default_config_static_selectorELNS0_4arch9wavefront6targetE0EEEvT1_,"axG",@progbits,_ZN7rocprim17ROCPRIM_400000_NS6detail17trampoline_kernelINS0_14default_configENS1_27scan_by_key_config_selectorIiiEEZZNS1_16scan_by_key_implILNS1_25lookback_scan_determinismE0ELb0ES3_N6thrust23THRUST_200600_302600_NS16reverse_iteratorIPKiEESD_NSA_IPiEEiN6hipcub16HIPCUB_304000_NS3MaxENSH_8EqualityEiEE10hipError_tPvRmT2_T3_T4_T5_mT6_T7_P12ihipStream_tbENKUlT_T0_E_clISt17integral_constantIbLb1EESZ_IbLb0EEEEDaSV_SW_EUlSV_E_NS1_11comp_targetILNS1_3genE5ELNS1_11target_archE942ELNS1_3gpuE9ELNS1_3repE0EEENS1_30default_config_static_selectorELNS0_4arch9wavefront6targetE0EEEvT1_,comdat
	.protected	_ZN7rocprim17ROCPRIM_400000_NS6detail17trampoline_kernelINS0_14default_configENS1_27scan_by_key_config_selectorIiiEEZZNS1_16scan_by_key_implILNS1_25lookback_scan_determinismE0ELb0ES3_N6thrust23THRUST_200600_302600_NS16reverse_iteratorIPKiEESD_NSA_IPiEEiN6hipcub16HIPCUB_304000_NS3MaxENSH_8EqualityEiEE10hipError_tPvRmT2_T3_T4_T5_mT6_T7_P12ihipStream_tbENKUlT_T0_E_clISt17integral_constantIbLb1EESZ_IbLb0EEEEDaSV_SW_EUlSV_E_NS1_11comp_targetILNS1_3genE5ELNS1_11target_archE942ELNS1_3gpuE9ELNS1_3repE0EEENS1_30default_config_static_selectorELNS0_4arch9wavefront6targetE0EEEvT1_ ; -- Begin function _ZN7rocprim17ROCPRIM_400000_NS6detail17trampoline_kernelINS0_14default_configENS1_27scan_by_key_config_selectorIiiEEZZNS1_16scan_by_key_implILNS1_25lookback_scan_determinismE0ELb0ES3_N6thrust23THRUST_200600_302600_NS16reverse_iteratorIPKiEESD_NSA_IPiEEiN6hipcub16HIPCUB_304000_NS3MaxENSH_8EqualityEiEE10hipError_tPvRmT2_T3_T4_T5_mT6_T7_P12ihipStream_tbENKUlT_T0_E_clISt17integral_constantIbLb1EESZ_IbLb0EEEEDaSV_SW_EUlSV_E_NS1_11comp_targetILNS1_3genE5ELNS1_11target_archE942ELNS1_3gpuE9ELNS1_3repE0EEENS1_30default_config_static_selectorELNS0_4arch9wavefront6targetE0EEEvT1_
	.globl	_ZN7rocprim17ROCPRIM_400000_NS6detail17trampoline_kernelINS0_14default_configENS1_27scan_by_key_config_selectorIiiEEZZNS1_16scan_by_key_implILNS1_25lookback_scan_determinismE0ELb0ES3_N6thrust23THRUST_200600_302600_NS16reverse_iteratorIPKiEESD_NSA_IPiEEiN6hipcub16HIPCUB_304000_NS3MaxENSH_8EqualityEiEE10hipError_tPvRmT2_T3_T4_T5_mT6_T7_P12ihipStream_tbENKUlT_T0_E_clISt17integral_constantIbLb1EESZ_IbLb0EEEEDaSV_SW_EUlSV_E_NS1_11comp_targetILNS1_3genE5ELNS1_11target_archE942ELNS1_3gpuE9ELNS1_3repE0EEENS1_30default_config_static_selectorELNS0_4arch9wavefront6targetE0EEEvT1_
	.p2align	8
	.type	_ZN7rocprim17ROCPRIM_400000_NS6detail17trampoline_kernelINS0_14default_configENS1_27scan_by_key_config_selectorIiiEEZZNS1_16scan_by_key_implILNS1_25lookback_scan_determinismE0ELb0ES3_N6thrust23THRUST_200600_302600_NS16reverse_iteratorIPKiEESD_NSA_IPiEEiN6hipcub16HIPCUB_304000_NS3MaxENSH_8EqualityEiEE10hipError_tPvRmT2_T3_T4_T5_mT6_T7_P12ihipStream_tbENKUlT_T0_E_clISt17integral_constantIbLb1EESZ_IbLb0EEEEDaSV_SW_EUlSV_E_NS1_11comp_targetILNS1_3genE5ELNS1_11target_archE942ELNS1_3gpuE9ELNS1_3repE0EEENS1_30default_config_static_selectorELNS0_4arch9wavefront6targetE0EEEvT1_,@function
_ZN7rocprim17ROCPRIM_400000_NS6detail17trampoline_kernelINS0_14default_configENS1_27scan_by_key_config_selectorIiiEEZZNS1_16scan_by_key_implILNS1_25lookback_scan_determinismE0ELb0ES3_N6thrust23THRUST_200600_302600_NS16reverse_iteratorIPKiEESD_NSA_IPiEEiN6hipcub16HIPCUB_304000_NS3MaxENSH_8EqualityEiEE10hipError_tPvRmT2_T3_T4_T5_mT6_T7_P12ihipStream_tbENKUlT_T0_E_clISt17integral_constantIbLb1EESZ_IbLb0EEEEDaSV_SW_EUlSV_E_NS1_11comp_targetILNS1_3genE5ELNS1_11target_archE942ELNS1_3gpuE9ELNS1_3repE0EEENS1_30default_config_static_selectorELNS0_4arch9wavefront6targetE0EEEvT1_: ; @_ZN7rocprim17ROCPRIM_400000_NS6detail17trampoline_kernelINS0_14default_configENS1_27scan_by_key_config_selectorIiiEEZZNS1_16scan_by_key_implILNS1_25lookback_scan_determinismE0ELb0ES3_N6thrust23THRUST_200600_302600_NS16reverse_iteratorIPKiEESD_NSA_IPiEEiN6hipcub16HIPCUB_304000_NS3MaxENSH_8EqualityEiEE10hipError_tPvRmT2_T3_T4_T5_mT6_T7_P12ihipStream_tbENKUlT_T0_E_clISt17integral_constantIbLb1EESZ_IbLb0EEEEDaSV_SW_EUlSV_E_NS1_11comp_targetILNS1_3genE5ELNS1_11target_archE942ELNS1_3gpuE9ELNS1_3repE0EEENS1_30default_config_static_selectorELNS0_4arch9wavefront6targetE0EEEvT1_
; %bb.0:
	.section	.rodata,"a",@progbits
	.p2align	6, 0x0
	.amdhsa_kernel _ZN7rocprim17ROCPRIM_400000_NS6detail17trampoline_kernelINS0_14default_configENS1_27scan_by_key_config_selectorIiiEEZZNS1_16scan_by_key_implILNS1_25lookback_scan_determinismE0ELb0ES3_N6thrust23THRUST_200600_302600_NS16reverse_iteratorIPKiEESD_NSA_IPiEEiN6hipcub16HIPCUB_304000_NS3MaxENSH_8EqualityEiEE10hipError_tPvRmT2_T3_T4_T5_mT6_T7_P12ihipStream_tbENKUlT_T0_E_clISt17integral_constantIbLb1EESZ_IbLb0EEEEDaSV_SW_EUlSV_E_NS1_11comp_targetILNS1_3genE5ELNS1_11target_archE942ELNS1_3gpuE9ELNS1_3repE0EEENS1_30default_config_static_selectorELNS0_4arch9wavefront6targetE0EEEvT1_
		.amdhsa_group_segment_fixed_size 0
		.amdhsa_private_segment_fixed_size 0
		.amdhsa_kernarg_size 112
		.amdhsa_user_sgpr_count 2
		.amdhsa_user_sgpr_dispatch_ptr 0
		.amdhsa_user_sgpr_queue_ptr 0
		.amdhsa_user_sgpr_kernarg_segment_ptr 1
		.amdhsa_user_sgpr_dispatch_id 0
		.amdhsa_user_sgpr_kernarg_preload_length 0
		.amdhsa_user_sgpr_kernarg_preload_offset 0
		.amdhsa_user_sgpr_private_segment_size 0
		.amdhsa_wavefront_size32 1
		.amdhsa_uses_dynamic_stack 0
		.amdhsa_enable_private_segment 0
		.amdhsa_system_sgpr_workgroup_id_x 1
		.amdhsa_system_sgpr_workgroup_id_y 0
		.amdhsa_system_sgpr_workgroup_id_z 0
		.amdhsa_system_sgpr_workgroup_info 0
		.amdhsa_system_vgpr_workitem_id 0
		.amdhsa_next_free_vgpr 1
		.amdhsa_next_free_sgpr 1
		.amdhsa_named_barrier_count 0
		.amdhsa_reserve_vcc 0
		.amdhsa_float_round_mode_32 0
		.amdhsa_float_round_mode_16_64 0
		.amdhsa_float_denorm_mode_32 3
		.amdhsa_float_denorm_mode_16_64 3
		.amdhsa_fp16_overflow 0
		.amdhsa_memory_ordered 1
		.amdhsa_forward_progress 1
		.amdhsa_inst_pref_size 0
		.amdhsa_round_robin_scheduling 0
		.amdhsa_exception_fp_ieee_invalid_op 0
		.amdhsa_exception_fp_denorm_src 0
		.amdhsa_exception_fp_ieee_div_zero 0
		.amdhsa_exception_fp_ieee_overflow 0
		.amdhsa_exception_fp_ieee_underflow 0
		.amdhsa_exception_fp_ieee_inexact 0
		.amdhsa_exception_int_div_zero 0
	.end_amdhsa_kernel
	.section	.text._ZN7rocprim17ROCPRIM_400000_NS6detail17trampoline_kernelINS0_14default_configENS1_27scan_by_key_config_selectorIiiEEZZNS1_16scan_by_key_implILNS1_25lookback_scan_determinismE0ELb0ES3_N6thrust23THRUST_200600_302600_NS16reverse_iteratorIPKiEESD_NSA_IPiEEiN6hipcub16HIPCUB_304000_NS3MaxENSH_8EqualityEiEE10hipError_tPvRmT2_T3_T4_T5_mT6_T7_P12ihipStream_tbENKUlT_T0_E_clISt17integral_constantIbLb1EESZ_IbLb0EEEEDaSV_SW_EUlSV_E_NS1_11comp_targetILNS1_3genE5ELNS1_11target_archE942ELNS1_3gpuE9ELNS1_3repE0EEENS1_30default_config_static_selectorELNS0_4arch9wavefront6targetE0EEEvT1_,"axG",@progbits,_ZN7rocprim17ROCPRIM_400000_NS6detail17trampoline_kernelINS0_14default_configENS1_27scan_by_key_config_selectorIiiEEZZNS1_16scan_by_key_implILNS1_25lookback_scan_determinismE0ELb0ES3_N6thrust23THRUST_200600_302600_NS16reverse_iteratorIPKiEESD_NSA_IPiEEiN6hipcub16HIPCUB_304000_NS3MaxENSH_8EqualityEiEE10hipError_tPvRmT2_T3_T4_T5_mT6_T7_P12ihipStream_tbENKUlT_T0_E_clISt17integral_constantIbLb1EESZ_IbLb0EEEEDaSV_SW_EUlSV_E_NS1_11comp_targetILNS1_3genE5ELNS1_11target_archE942ELNS1_3gpuE9ELNS1_3repE0EEENS1_30default_config_static_selectorELNS0_4arch9wavefront6targetE0EEEvT1_,comdat
.Lfunc_end75:
	.size	_ZN7rocprim17ROCPRIM_400000_NS6detail17trampoline_kernelINS0_14default_configENS1_27scan_by_key_config_selectorIiiEEZZNS1_16scan_by_key_implILNS1_25lookback_scan_determinismE0ELb0ES3_N6thrust23THRUST_200600_302600_NS16reverse_iteratorIPKiEESD_NSA_IPiEEiN6hipcub16HIPCUB_304000_NS3MaxENSH_8EqualityEiEE10hipError_tPvRmT2_T3_T4_T5_mT6_T7_P12ihipStream_tbENKUlT_T0_E_clISt17integral_constantIbLb1EESZ_IbLb0EEEEDaSV_SW_EUlSV_E_NS1_11comp_targetILNS1_3genE5ELNS1_11target_archE942ELNS1_3gpuE9ELNS1_3repE0EEENS1_30default_config_static_selectorELNS0_4arch9wavefront6targetE0EEEvT1_, .Lfunc_end75-_ZN7rocprim17ROCPRIM_400000_NS6detail17trampoline_kernelINS0_14default_configENS1_27scan_by_key_config_selectorIiiEEZZNS1_16scan_by_key_implILNS1_25lookback_scan_determinismE0ELb0ES3_N6thrust23THRUST_200600_302600_NS16reverse_iteratorIPKiEESD_NSA_IPiEEiN6hipcub16HIPCUB_304000_NS3MaxENSH_8EqualityEiEE10hipError_tPvRmT2_T3_T4_T5_mT6_T7_P12ihipStream_tbENKUlT_T0_E_clISt17integral_constantIbLb1EESZ_IbLb0EEEEDaSV_SW_EUlSV_E_NS1_11comp_targetILNS1_3genE5ELNS1_11target_archE942ELNS1_3gpuE9ELNS1_3repE0EEENS1_30default_config_static_selectorELNS0_4arch9wavefront6targetE0EEEvT1_
                                        ; -- End function
	.set _ZN7rocprim17ROCPRIM_400000_NS6detail17trampoline_kernelINS0_14default_configENS1_27scan_by_key_config_selectorIiiEEZZNS1_16scan_by_key_implILNS1_25lookback_scan_determinismE0ELb0ES3_N6thrust23THRUST_200600_302600_NS16reverse_iteratorIPKiEESD_NSA_IPiEEiN6hipcub16HIPCUB_304000_NS3MaxENSH_8EqualityEiEE10hipError_tPvRmT2_T3_T4_T5_mT6_T7_P12ihipStream_tbENKUlT_T0_E_clISt17integral_constantIbLb1EESZ_IbLb0EEEEDaSV_SW_EUlSV_E_NS1_11comp_targetILNS1_3genE5ELNS1_11target_archE942ELNS1_3gpuE9ELNS1_3repE0EEENS1_30default_config_static_selectorELNS0_4arch9wavefront6targetE0EEEvT1_.num_vgpr, 0
	.set _ZN7rocprim17ROCPRIM_400000_NS6detail17trampoline_kernelINS0_14default_configENS1_27scan_by_key_config_selectorIiiEEZZNS1_16scan_by_key_implILNS1_25lookback_scan_determinismE0ELb0ES3_N6thrust23THRUST_200600_302600_NS16reverse_iteratorIPKiEESD_NSA_IPiEEiN6hipcub16HIPCUB_304000_NS3MaxENSH_8EqualityEiEE10hipError_tPvRmT2_T3_T4_T5_mT6_T7_P12ihipStream_tbENKUlT_T0_E_clISt17integral_constantIbLb1EESZ_IbLb0EEEEDaSV_SW_EUlSV_E_NS1_11comp_targetILNS1_3genE5ELNS1_11target_archE942ELNS1_3gpuE9ELNS1_3repE0EEENS1_30default_config_static_selectorELNS0_4arch9wavefront6targetE0EEEvT1_.num_agpr, 0
	.set _ZN7rocprim17ROCPRIM_400000_NS6detail17trampoline_kernelINS0_14default_configENS1_27scan_by_key_config_selectorIiiEEZZNS1_16scan_by_key_implILNS1_25lookback_scan_determinismE0ELb0ES3_N6thrust23THRUST_200600_302600_NS16reverse_iteratorIPKiEESD_NSA_IPiEEiN6hipcub16HIPCUB_304000_NS3MaxENSH_8EqualityEiEE10hipError_tPvRmT2_T3_T4_T5_mT6_T7_P12ihipStream_tbENKUlT_T0_E_clISt17integral_constantIbLb1EESZ_IbLb0EEEEDaSV_SW_EUlSV_E_NS1_11comp_targetILNS1_3genE5ELNS1_11target_archE942ELNS1_3gpuE9ELNS1_3repE0EEENS1_30default_config_static_selectorELNS0_4arch9wavefront6targetE0EEEvT1_.numbered_sgpr, 0
	.set _ZN7rocprim17ROCPRIM_400000_NS6detail17trampoline_kernelINS0_14default_configENS1_27scan_by_key_config_selectorIiiEEZZNS1_16scan_by_key_implILNS1_25lookback_scan_determinismE0ELb0ES3_N6thrust23THRUST_200600_302600_NS16reverse_iteratorIPKiEESD_NSA_IPiEEiN6hipcub16HIPCUB_304000_NS3MaxENSH_8EqualityEiEE10hipError_tPvRmT2_T3_T4_T5_mT6_T7_P12ihipStream_tbENKUlT_T0_E_clISt17integral_constantIbLb1EESZ_IbLb0EEEEDaSV_SW_EUlSV_E_NS1_11comp_targetILNS1_3genE5ELNS1_11target_archE942ELNS1_3gpuE9ELNS1_3repE0EEENS1_30default_config_static_selectorELNS0_4arch9wavefront6targetE0EEEvT1_.num_named_barrier, 0
	.set _ZN7rocprim17ROCPRIM_400000_NS6detail17trampoline_kernelINS0_14default_configENS1_27scan_by_key_config_selectorIiiEEZZNS1_16scan_by_key_implILNS1_25lookback_scan_determinismE0ELb0ES3_N6thrust23THRUST_200600_302600_NS16reverse_iteratorIPKiEESD_NSA_IPiEEiN6hipcub16HIPCUB_304000_NS3MaxENSH_8EqualityEiEE10hipError_tPvRmT2_T3_T4_T5_mT6_T7_P12ihipStream_tbENKUlT_T0_E_clISt17integral_constantIbLb1EESZ_IbLb0EEEEDaSV_SW_EUlSV_E_NS1_11comp_targetILNS1_3genE5ELNS1_11target_archE942ELNS1_3gpuE9ELNS1_3repE0EEENS1_30default_config_static_selectorELNS0_4arch9wavefront6targetE0EEEvT1_.private_seg_size, 0
	.set _ZN7rocprim17ROCPRIM_400000_NS6detail17trampoline_kernelINS0_14default_configENS1_27scan_by_key_config_selectorIiiEEZZNS1_16scan_by_key_implILNS1_25lookback_scan_determinismE0ELb0ES3_N6thrust23THRUST_200600_302600_NS16reverse_iteratorIPKiEESD_NSA_IPiEEiN6hipcub16HIPCUB_304000_NS3MaxENSH_8EqualityEiEE10hipError_tPvRmT2_T3_T4_T5_mT6_T7_P12ihipStream_tbENKUlT_T0_E_clISt17integral_constantIbLb1EESZ_IbLb0EEEEDaSV_SW_EUlSV_E_NS1_11comp_targetILNS1_3genE5ELNS1_11target_archE942ELNS1_3gpuE9ELNS1_3repE0EEENS1_30default_config_static_selectorELNS0_4arch9wavefront6targetE0EEEvT1_.uses_vcc, 0
	.set _ZN7rocprim17ROCPRIM_400000_NS6detail17trampoline_kernelINS0_14default_configENS1_27scan_by_key_config_selectorIiiEEZZNS1_16scan_by_key_implILNS1_25lookback_scan_determinismE0ELb0ES3_N6thrust23THRUST_200600_302600_NS16reverse_iteratorIPKiEESD_NSA_IPiEEiN6hipcub16HIPCUB_304000_NS3MaxENSH_8EqualityEiEE10hipError_tPvRmT2_T3_T4_T5_mT6_T7_P12ihipStream_tbENKUlT_T0_E_clISt17integral_constantIbLb1EESZ_IbLb0EEEEDaSV_SW_EUlSV_E_NS1_11comp_targetILNS1_3genE5ELNS1_11target_archE942ELNS1_3gpuE9ELNS1_3repE0EEENS1_30default_config_static_selectorELNS0_4arch9wavefront6targetE0EEEvT1_.uses_flat_scratch, 0
	.set _ZN7rocprim17ROCPRIM_400000_NS6detail17trampoline_kernelINS0_14default_configENS1_27scan_by_key_config_selectorIiiEEZZNS1_16scan_by_key_implILNS1_25lookback_scan_determinismE0ELb0ES3_N6thrust23THRUST_200600_302600_NS16reverse_iteratorIPKiEESD_NSA_IPiEEiN6hipcub16HIPCUB_304000_NS3MaxENSH_8EqualityEiEE10hipError_tPvRmT2_T3_T4_T5_mT6_T7_P12ihipStream_tbENKUlT_T0_E_clISt17integral_constantIbLb1EESZ_IbLb0EEEEDaSV_SW_EUlSV_E_NS1_11comp_targetILNS1_3genE5ELNS1_11target_archE942ELNS1_3gpuE9ELNS1_3repE0EEENS1_30default_config_static_selectorELNS0_4arch9wavefront6targetE0EEEvT1_.has_dyn_sized_stack, 0
	.set _ZN7rocprim17ROCPRIM_400000_NS6detail17trampoline_kernelINS0_14default_configENS1_27scan_by_key_config_selectorIiiEEZZNS1_16scan_by_key_implILNS1_25lookback_scan_determinismE0ELb0ES3_N6thrust23THRUST_200600_302600_NS16reverse_iteratorIPKiEESD_NSA_IPiEEiN6hipcub16HIPCUB_304000_NS3MaxENSH_8EqualityEiEE10hipError_tPvRmT2_T3_T4_T5_mT6_T7_P12ihipStream_tbENKUlT_T0_E_clISt17integral_constantIbLb1EESZ_IbLb0EEEEDaSV_SW_EUlSV_E_NS1_11comp_targetILNS1_3genE5ELNS1_11target_archE942ELNS1_3gpuE9ELNS1_3repE0EEENS1_30default_config_static_selectorELNS0_4arch9wavefront6targetE0EEEvT1_.has_recursion, 0
	.set _ZN7rocprim17ROCPRIM_400000_NS6detail17trampoline_kernelINS0_14default_configENS1_27scan_by_key_config_selectorIiiEEZZNS1_16scan_by_key_implILNS1_25lookback_scan_determinismE0ELb0ES3_N6thrust23THRUST_200600_302600_NS16reverse_iteratorIPKiEESD_NSA_IPiEEiN6hipcub16HIPCUB_304000_NS3MaxENSH_8EqualityEiEE10hipError_tPvRmT2_T3_T4_T5_mT6_T7_P12ihipStream_tbENKUlT_T0_E_clISt17integral_constantIbLb1EESZ_IbLb0EEEEDaSV_SW_EUlSV_E_NS1_11comp_targetILNS1_3genE5ELNS1_11target_archE942ELNS1_3gpuE9ELNS1_3repE0EEENS1_30default_config_static_selectorELNS0_4arch9wavefront6targetE0EEEvT1_.has_indirect_call, 0
	.section	.AMDGPU.csdata,"",@progbits
; Kernel info:
; codeLenInByte = 0
; TotalNumSgprs: 0
; NumVgprs: 0
; ScratchSize: 0
; MemoryBound: 0
; FloatMode: 240
; IeeeMode: 1
; LDSByteSize: 0 bytes/workgroup (compile time only)
; SGPRBlocks: 0
; VGPRBlocks: 0
; NumSGPRsForWavesPerEU: 1
; NumVGPRsForWavesPerEU: 1
; NamedBarCnt: 0
; Occupancy: 16
; WaveLimiterHint : 0
; COMPUTE_PGM_RSRC2:SCRATCH_EN: 0
; COMPUTE_PGM_RSRC2:USER_SGPR: 2
; COMPUTE_PGM_RSRC2:TRAP_HANDLER: 0
; COMPUTE_PGM_RSRC2:TGID_X_EN: 1
; COMPUTE_PGM_RSRC2:TGID_Y_EN: 0
; COMPUTE_PGM_RSRC2:TGID_Z_EN: 0
; COMPUTE_PGM_RSRC2:TIDIG_COMP_CNT: 0
	.section	.text._ZN7rocprim17ROCPRIM_400000_NS6detail17trampoline_kernelINS0_14default_configENS1_27scan_by_key_config_selectorIiiEEZZNS1_16scan_by_key_implILNS1_25lookback_scan_determinismE0ELb0ES3_N6thrust23THRUST_200600_302600_NS16reverse_iteratorIPKiEESD_NSA_IPiEEiN6hipcub16HIPCUB_304000_NS3MaxENSH_8EqualityEiEE10hipError_tPvRmT2_T3_T4_T5_mT6_T7_P12ihipStream_tbENKUlT_T0_E_clISt17integral_constantIbLb1EESZ_IbLb0EEEEDaSV_SW_EUlSV_E_NS1_11comp_targetILNS1_3genE4ELNS1_11target_archE910ELNS1_3gpuE8ELNS1_3repE0EEENS1_30default_config_static_selectorELNS0_4arch9wavefront6targetE0EEEvT1_,"axG",@progbits,_ZN7rocprim17ROCPRIM_400000_NS6detail17trampoline_kernelINS0_14default_configENS1_27scan_by_key_config_selectorIiiEEZZNS1_16scan_by_key_implILNS1_25lookback_scan_determinismE0ELb0ES3_N6thrust23THRUST_200600_302600_NS16reverse_iteratorIPKiEESD_NSA_IPiEEiN6hipcub16HIPCUB_304000_NS3MaxENSH_8EqualityEiEE10hipError_tPvRmT2_T3_T4_T5_mT6_T7_P12ihipStream_tbENKUlT_T0_E_clISt17integral_constantIbLb1EESZ_IbLb0EEEEDaSV_SW_EUlSV_E_NS1_11comp_targetILNS1_3genE4ELNS1_11target_archE910ELNS1_3gpuE8ELNS1_3repE0EEENS1_30default_config_static_selectorELNS0_4arch9wavefront6targetE0EEEvT1_,comdat
	.protected	_ZN7rocprim17ROCPRIM_400000_NS6detail17trampoline_kernelINS0_14default_configENS1_27scan_by_key_config_selectorIiiEEZZNS1_16scan_by_key_implILNS1_25lookback_scan_determinismE0ELb0ES3_N6thrust23THRUST_200600_302600_NS16reverse_iteratorIPKiEESD_NSA_IPiEEiN6hipcub16HIPCUB_304000_NS3MaxENSH_8EqualityEiEE10hipError_tPvRmT2_T3_T4_T5_mT6_T7_P12ihipStream_tbENKUlT_T0_E_clISt17integral_constantIbLb1EESZ_IbLb0EEEEDaSV_SW_EUlSV_E_NS1_11comp_targetILNS1_3genE4ELNS1_11target_archE910ELNS1_3gpuE8ELNS1_3repE0EEENS1_30default_config_static_selectorELNS0_4arch9wavefront6targetE0EEEvT1_ ; -- Begin function _ZN7rocprim17ROCPRIM_400000_NS6detail17trampoline_kernelINS0_14default_configENS1_27scan_by_key_config_selectorIiiEEZZNS1_16scan_by_key_implILNS1_25lookback_scan_determinismE0ELb0ES3_N6thrust23THRUST_200600_302600_NS16reverse_iteratorIPKiEESD_NSA_IPiEEiN6hipcub16HIPCUB_304000_NS3MaxENSH_8EqualityEiEE10hipError_tPvRmT2_T3_T4_T5_mT6_T7_P12ihipStream_tbENKUlT_T0_E_clISt17integral_constantIbLb1EESZ_IbLb0EEEEDaSV_SW_EUlSV_E_NS1_11comp_targetILNS1_3genE4ELNS1_11target_archE910ELNS1_3gpuE8ELNS1_3repE0EEENS1_30default_config_static_selectorELNS0_4arch9wavefront6targetE0EEEvT1_
	.globl	_ZN7rocprim17ROCPRIM_400000_NS6detail17trampoline_kernelINS0_14default_configENS1_27scan_by_key_config_selectorIiiEEZZNS1_16scan_by_key_implILNS1_25lookback_scan_determinismE0ELb0ES3_N6thrust23THRUST_200600_302600_NS16reverse_iteratorIPKiEESD_NSA_IPiEEiN6hipcub16HIPCUB_304000_NS3MaxENSH_8EqualityEiEE10hipError_tPvRmT2_T3_T4_T5_mT6_T7_P12ihipStream_tbENKUlT_T0_E_clISt17integral_constantIbLb1EESZ_IbLb0EEEEDaSV_SW_EUlSV_E_NS1_11comp_targetILNS1_3genE4ELNS1_11target_archE910ELNS1_3gpuE8ELNS1_3repE0EEENS1_30default_config_static_selectorELNS0_4arch9wavefront6targetE0EEEvT1_
	.p2align	8
	.type	_ZN7rocprim17ROCPRIM_400000_NS6detail17trampoline_kernelINS0_14default_configENS1_27scan_by_key_config_selectorIiiEEZZNS1_16scan_by_key_implILNS1_25lookback_scan_determinismE0ELb0ES3_N6thrust23THRUST_200600_302600_NS16reverse_iteratorIPKiEESD_NSA_IPiEEiN6hipcub16HIPCUB_304000_NS3MaxENSH_8EqualityEiEE10hipError_tPvRmT2_T3_T4_T5_mT6_T7_P12ihipStream_tbENKUlT_T0_E_clISt17integral_constantIbLb1EESZ_IbLb0EEEEDaSV_SW_EUlSV_E_NS1_11comp_targetILNS1_3genE4ELNS1_11target_archE910ELNS1_3gpuE8ELNS1_3repE0EEENS1_30default_config_static_selectorELNS0_4arch9wavefront6targetE0EEEvT1_,@function
_ZN7rocprim17ROCPRIM_400000_NS6detail17trampoline_kernelINS0_14default_configENS1_27scan_by_key_config_selectorIiiEEZZNS1_16scan_by_key_implILNS1_25lookback_scan_determinismE0ELb0ES3_N6thrust23THRUST_200600_302600_NS16reverse_iteratorIPKiEESD_NSA_IPiEEiN6hipcub16HIPCUB_304000_NS3MaxENSH_8EqualityEiEE10hipError_tPvRmT2_T3_T4_T5_mT6_T7_P12ihipStream_tbENKUlT_T0_E_clISt17integral_constantIbLb1EESZ_IbLb0EEEEDaSV_SW_EUlSV_E_NS1_11comp_targetILNS1_3genE4ELNS1_11target_archE910ELNS1_3gpuE8ELNS1_3repE0EEENS1_30default_config_static_selectorELNS0_4arch9wavefront6targetE0EEEvT1_: ; @_ZN7rocprim17ROCPRIM_400000_NS6detail17trampoline_kernelINS0_14default_configENS1_27scan_by_key_config_selectorIiiEEZZNS1_16scan_by_key_implILNS1_25lookback_scan_determinismE0ELb0ES3_N6thrust23THRUST_200600_302600_NS16reverse_iteratorIPKiEESD_NSA_IPiEEiN6hipcub16HIPCUB_304000_NS3MaxENSH_8EqualityEiEE10hipError_tPvRmT2_T3_T4_T5_mT6_T7_P12ihipStream_tbENKUlT_T0_E_clISt17integral_constantIbLb1EESZ_IbLb0EEEEDaSV_SW_EUlSV_E_NS1_11comp_targetILNS1_3genE4ELNS1_11target_archE910ELNS1_3gpuE8ELNS1_3repE0EEENS1_30default_config_static_selectorELNS0_4arch9wavefront6targetE0EEEvT1_
; %bb.0:
	.section	.rodata,"a",@progbits
	.p2align	6, 0x0
	.amdhsa_kernel _ZN7rocprim17ROCPRIM_400000_NS6detail17trampoline_kernelINS0_14default_configENS1_27scan_by_key_config_selectorIiiEEZZNS1_16scan_by_key_implILNS1_25lookback_scan_determinismE0ELb0ES3_N6thrust23THRUST_200600_302600_NS16reverse_iteratorIPKiEESD_NSA_IPiEEiN6hipcub16HIPCUB_304000_NS3MaxENSH_8EqualityEiEE10hipError_tPvRmT2_T3_T4_T5_mT6_T7_P12ihipStream_tbENKUlT_T0_E_clISt17integral_constantIbLb1EESZ_IbLb0EEEEDaSV_SW_EUlSV_E_NS1_11comp_targetILNS1_3genE4ELNS1_11target_archE910ELNS1_3gpuE8ELNS1_3repE0EEENS1_30default_config_static_selectorELNS0_4arch9wavefront6targetE0EEEvT1_
		.amdhsa_group_segment_fixed_size 0
		.amdhsa_private_segment_fixed_size 0
		.amdhsa_kernarg_size 112
		.amdhsa_user_sgpr_count 2
		.amdhsa_user_sgpr_dispatch_ptr 0
		.amdhsa_user_sgpr_queue_ptr 0
		.amdhsa_user_sgpr_kernarg_segment_ptr 1
		.amdhsa_user_sgpr_dispatch_id 0
		.amdhsa_user_sgpr_kernarg_preload_length 0
		.amdhsa_user_sgpr_kernarg_preload_offset 0
		.amdhsa_user_sgpr_private_segment_size 0
		.amdhsa_wavefront_size32 1
		.amdhsa_uses_dynamic_stack 0
		.amdhsa_enable_private_segment 0
		.amdhsa_system_sgpr_workgroup_id_x 1
		.amdhsa_system_sgpr_workgroup_id_y 0
		.amdhsa_system_sgpr_workgroup_id_z 0
		.amdhsa_system_sgpr_workgroup_info 0
		.amdhsa_system_vgpr_workitem_id 0
		.amdhsa_next_free_vgpr 1
		.amdhsa_next_free_sgpr 1
		.amdhsa_named_barrier_count 0
		.amdhsa_reserve_vcc 0
		.amdhsa_float_round_mode_32 0
		.amdhsa_float_round_mode_16_64 0
		.amdhsa_float_denorm_mode_32 3
		.amdhsa_float_denorm_mode_16_64 3
		.amdhsa_fp16_overflow 0
		.amdhsa_memory_ordered 1
		.amdhsa_forward_progress 1
		.amdhsa_inst_pref_size 0
		.amdhsa_round_robin_scheduling 0
		.amdhsa_exception_fp_ieee_invalid_op 0
		.amdhsa_exception_fp_denorm_src 0
		.amdhsa_exception_fp_ieee_div_zero 0
		.amdhsa_exception_fp_ieee_overflow 0
		.amdhsa_exception_fp_ieee_underflow 0
		.amdhsa_exception_fp_ieee_inexact 0
		.amdhsa_exception_int_div_zero 0
	.end_amdhsa_kernel
	.section	.text._ZN7rocprim17ROCPRIM_400000_NS6detail17trampoline_kernelINS0_14default_configENS1_27scan_by_key_config_selectorIiiEEZZNS1_16scan_by_key_implILNS1_25lookback_scan_determinismE0ELb0ES3_N6thrust23THRUST_200600_302600_NS16reverse_iteratorIPKiEESD_NSA_IPiEEiN6hipcub16HIPCUB_304000_NS3MaxENSH_8EqualityEiEE10hipError_tPvRmT2_T3_T4_T5_mT6_T7_P12ihipStream_tbENKUlT_T0_E_clISt17integral_constantIbLb1EESZ_IbLb0EEEEDaSV_SW_EUlSV_E_NS1_11comp_targetILNS1_3genE4ELNS1_11target_archE910ELNS1_3gpuE8ELNS1_3repE0EEENS1_30default_config_static_selectorELNS0_4arch9wavefront6targetE0EEEvT1_,"axG",@progbits,_ZN7rocprim17ROCPRIM_400000_NS6detail17trampoline_kernelINS0_14default_configENS1_27scan_by_key_config_selectorIiiEEZZNS1_16scan_by_key_implILNS1_25lookback_scan_determinismE0ELb0ES3_N6thrust23THRUST_200600_302600_NS16reverse_iteratorIPKiEESD_NSA_IPiEEiN6hipcub16HIPCUB_304000_NS3MaxENSH_8EqualityEiEE10hipError_tPvRmT2_T3_T4_T5_mT6_T7_P12ihipStream_tbENKUlT_T0_E_clISt17integral_constantIbLb1EESZ_IbLb0EEEEDaSV_SW_EUlSV_E_NS1_11comp_targetILNS1_3genE4ELNS1_11target_archE910ELNS1_3gpuE8ELNS1_3repE0EEENS1_30default_config_static_selectorELNS0_4arch9wavefront6targetE0EEEvT1_,comdat
.Lfunc_end76:
	.size	_ZN7rocprim17ROCPRIM_400000_NS6detail17trampoline_kernelINS0_14default_configENS1_27scan_by_key_config_selectorIiiEEZZNS1_16scan_by_key_implILNS1_25lookback_scan_determinismE0ELb0ES3_N6thrust23THRUST_200600_302600_NS16reverse_iteratorIPKiEESD_NSA_IPiEEiN6hipcub16HIPCUB_304000_NS3MaxENSH_8EqualityEiEE10hipError_tPvRmT2_T3_T4_T5_mT6_T7_P12ihipStream_tbENKUlT_T0_E_clISt17integral_constantIbLb1EESZ_IbLb0EEEEDaSV_SW_EUlSV_E_NS1_11comp_targetILNS1_3genE4ELNS1_11target_archE910ELNS1_3gpuE8ELNS1_3repE0EEENS1_30default_config_static_selectorELNS0_4arch9wavefront6targetE0EEEvT1_, .Lfunc_end76-_ZN7rocprim17ROCPRIM_400000_NS6detail17trampoline_kernelINS0_14default_configENS1_27scan_by_key_config_selectorIiiEEZZNS1_16scan_by_key_implILNS1_25lookback_scan_determinismE0ELb0ES3_N6thrust23THRUST_200600_302600_NS16reverse_iteratorIPKiEESD_NSA_IPiEEiN6hipcub16HIPCUB_304000_NS3MaxENSH_8EqualityEiEE10hipError_tPvRmT2_T3_T4_T5_mT6_T7_P12ihipStream_tbENKUlT_T0_E_clISt17integral_constantIbLb1EESZ_IbLb0EEEEDaSV_SW_EUlSV_E_NS1_11comp_targetILNS1_3genE4ELNS1_11target_archE910ELNS1_3gpuE8ELNS1_3repE0EEENS1_30default_config_static_selectorELNS0_4arch9wavefront6targetE0EEEvT1_
                                        ; -- End function
	.set _ZN7rocprim17ROCPRIM_400000_NS6detail17trampoline_kernelINS0_14default_configENS1_27scan_by_key_config_selectorIiiEEZZNS1_16scan_by_key_implILNS1_25lookback_scan_determinismE0ELb0ES3_N6thrust23THRUST_200600_302600_NS16reverse_iteratorIPKiEESD_NSA_IPiEEiN6hipcub16HIPCUB_304000_NS3MaxENSH_8EqualityEiEE10hipError_tPvRmT2_T3_T4_T5_mT6_T7_P12ihipStream_tbENKUlT_T0_E_clISt17integral_constantIbLb1EESZ_IbLb0EEEEDaSV_SW_EUlSV_E_NS1_11comp_targetILNS1_3genE4ELNS1_11target_archE910ELNS1_3gpuE8ELNS1_3repE0EEENS1_30default_config_static_selectorELNS0_4arch9wavefront6targetE0EEEvT1_.num_vgpr, 0
	.set _ZN7rocprim17ROCPRIM_400000_NS6detail17trampoline_kernelINS0_14default_configENS1_27scan_by_key_config_selectorIiiEEZZNS1_16scan_by_key_implILNS1_25lookback_scan_determinismE0ELb0ES3_N6thrust23THRUST_200600_302600_NS16reverse_iteratorIPKiEESD_NSA_IPiEEiN6hipcub16HIPCUB_304000_NS3MaxENSH_8EqualityEiEE10hipError_tPvRmT2_T3_T4_T5_mT6_T7_P12ihipStream_tbENKUlT_T0_E_clISt17integral_constantIbLb1EESZ_IbLb0EEEEDaSV_SW_EUlSV_E_NS1_11comp_targetILNS1_3genE4ELNS1_11target_archE910ELNS1_3gpuE8ELNS1_3repE0EEENS1_30default_config_static_selectorELNS0_4arch9wavefront6targetE0EEEvT1_.num_agpr, 0
	.set _ZN7rocprim17ROCPRIM_400000_NS6detail17trampoline_kernelINS0_14default_configENS1_27scan_by_key_config_selectorIiiEEZZNS1_16scan_by_key_implILNS1_25lookback_scan_determinismE0ELb0ES3_N6thrust23THRUST_200600_302600_NS16reverse_iteratorIPKiEESD_NSA_IPiEEiN6hipcub16HIPCUB_304000_NS3MaxENSH_8EqualityEiEE10hipError_tPvRmT2_T3_T4_T5_mT6_T7_P12ihipStream_tbENKUlT_T0_E_clISt17integral_constantIbLb1EESZ_IbLb0EEEEDaSV_SW_EUlSV_E_NS1_11comp_targetILNS1_3genE4ELNS1_11target_archE910ELNS1_3gpuE8ELNS1_3repE0EEENS1_30default_config_static_selectorELNS0_4arch9wavefront6targetE0EEEvT1_.numbered_sgpr, 0
	.set _ZN7rocprim17ROCPRIM_400000_NS6detail17trampoline_kernelINS0_14default_configENS1_27scan_by_key_config_selectorIiiEEZZNS1_16scan_by_key_implILNS1_25lookback_scan_determinismE0ELb0ES3_N6thrust23THRUST_200600_302600_NS16reverse_iteratorIPKiEESD_NSA_IPiEEiN6hipcub16HIPCUB_304000_NS3MaxENSH_8EqualityEiEE10hipError_tPvRmT2_T3_T4_T5_mT6_T7_P12ihipStream_tbENKUlT_T0_E_clISt17integral_constantIbLb1EESZ_IbLb0EEEEDaSV_SW_EUlSV_E_NS1_11comp_targetILNS1_3genE4ELNS1_11target_archE910ELNS1_3gpuE8ELNS1_3repE0EEENS1_30default_config_static_selectorELNS0_4arch9wavefront6targetE0EEEvT1_.num_named_barrier, 0
	.set _ZN7rocprim17ROCPRIM_400000_NS6detail17trampoline_kernelINS0_14default_configENS1_27scan_by_key_config_selectorIiiEEZZNS1_16scan_by_key_implILNS1_25lookback_scan_determinismE0ELb0ES3_N6thrust23THRUST_200600_302600_NS16reverse_iteratorIPKiEESD_NSA_IPiEEiN6hipcub16HIPCUB_304000_NS3MaxENSH_8EqualityEiEE10hipError_tPvRmT2_T3_T4_T5_mT6_T7_P12ihipStream_tbENKUlT_T0_E_clISt17integral_constantIbLb1EESZ_IbLb0EEEEDaSV_SW_EUlSV_E_NS1_11comp_targetILNS1_3genE4ELNS1_11target_archE910ELNS1_3gpuE8ELNS1_3repE0EEENS1_30default_config_static_selectorELNS0_4arch9wavefront6targetE0EEEvT1_.private_seg_size, 0
	.set _ZN7rocprim17ROCPRIM_400000_NS6detail17trampoline_kernelINS0_14default_configENS1_27scan_by_key_config_selectorIiiEEZZNS1_16scan_by_key_implILNS1_25lookback_scan_determinismE0ELb0ES3_N6thrust23THRUST_200600_302600_NS16reverse_iteratorIPKiEESD_NSA_IPiEEiN6hipcub16HIPCUB_304000_NS3MaxENSH_8EqualityEiEE10hipError_tPvRmT2_T3_T4_T5_mT6_T7_P12ihipStream_tbENKUlT_T0_E_clISt17integral_constantIbLb1EESZ_IbLb0EEEEDaSV_SW_EUlSV_E_NS1_11comp_targetILNS1_3genE4ELNS1_11target_archE910ELNS1_3gpuE8ELNS1_3repE0EEENS1_30default_config_static_selectorELNS0_4arch9wavefront6targetE0EEEvT1_.uses_vcc, 0
	.set _ZN7rocprim17ROCPRIM_400000_NS6detail17trampoline_kernelINS0_14default_configENS1_27scan_by_key_config_selectorIiiEEZZNS1_16scan_by_key_implILNS1_25lookback_scan_determinismE0ELb0ES3_N6thrust23THRUST_200600_302600_NS16reverse_iteratorIPKiEESD_NSA_IPiEEiN6hipcub16HIPCUB_304000_NS3MaxENSH_8EqualityEiEE10hipError_tPvRmT2_T3_T4_T5_mT6_T7_P12ihipStream_tbENKUlT_T0_E_clISt17integral_constantIbLb1EESZ_IbLb0EEEEDaSV_SW_EUlSV_E_NS1_11comp_targetILNS1_3genE4ELNS1_11target_archE910ELNS1_3gpuE8ELNS1_3repE0EEENS1_30default_config_static_selectorELNS0_4arch9wavefront6targetE0EEEvT1_.uses_flat_scratch, 0
	.set _ZN7rocprim17ROCPRIM_400000_NS6detail17trampoline_kernelINS0_14default_configENS1_27scan_by_key_config_selectorIiiEEZZNS1_16scan_by_key_implILNS1_25lookback_scan_determinismE0ELb0ES3_N6thrust23THRUST_200600_302600_NS16reverse_iteratorIPKiEESD_NSA_IPiEEiN6hipcub16HIPCUB_304000_NS3MaxENSH_8EqualityEiEE10hipError_tPvRmT2_T3_T4_T5_mT6_T7_P12ihipStream_tbENKUlT_T0_E_clISt17integral_constantIbLb1EESZ_IbLb0EEEEDaSV_SW_EUlSV_E_NS1_11comp_targetILNS1_3genE4ELNS1_11target_archE910ELNS1_3gpuE8ELNS1_3repE0EEENS1_30default_config_static_selectorELNS0_4arch9wavefront6targetE0EEEvT1_.has_dyn_sized_stack, 0
	.set _ZN7rocprim17ROCPRIM_400000_NS6detail17trampoline_kernelINS0_14default_configENS1_27scan_by_key_config_selectorIiiEEZZNS1_16scan_by_key_implILNS1_25lookback_scan_determinismE0ELb0ES3_N6thrust23THRUST_200600_302600_NS16reverse_iteratorIPKiEESD_NSA_IPiEEiN6hipcub16HIPCUB_304000_NS3MaxENSH_8EqualityEiEE10hipError_tPvRmT2_T3_T4_T5_mT6_T7_P12ihipStream_tbENKUlT_T0_E_clISt17integral_constantIbLb1EESZ_IbLb0EEEEDaSV_SW_EUlSV_E_NS1_11comp_targetILNS1_3genE4ELNS1_11target_archE910ELNS1_3gpuE8ELNS1_3repE0EEENS1_30default_config_static_selectorELNS0_4arch9wavefront6targetE0EEEvT1_.has_recursion, 0
	.set _ZN7rocprim17ROCPRIM_400000_NS6detail17trampoline_kernelINS0_14default_configENS1_27scan_by_key_config_selectorIiiEEZZNS1_16scan_by_key_implILNS1_25lookback_scan_determinismE0ELb0ES3_N6thrust23THRUST_200600_302600_NS16reverse_iteratorIPKiEESD_NSA_IPiEEiN6hipcub16HIPCUB_304000_NS3MaxENSH_8EqualityEiEE10hipError_tPvRmT2_T3_T4_T5_mT6_T7_P12ihipStream_tbENKUlT_T0_E_clISt17integral_constantIbLb1EESZ_IbLb0EEEEDaSV_SW_EUlSV_E_NS1_11comp_targetILNS1_3genE4ELNS1_11target_archE910ELNS1_3gpuE8ELNS1_3repE0EEENS1_30default_config_static_selectorELNS0_4arch9wavefront6targetE0EEEvT1_.has_indirect_call, 0
	.section	.AMDGPU.csdata,"",@progbits
; Kernel info:
; codeLenInByte = 0
; TotalNumSgprs: 0
; NumVgprs: 0
; ScratchSize: 0
; MemoryBound: 0
; FloatMode: 240
; IeeeMode: 1
; LDSByteSize: 0 bytes/workgroup (compile time only)
; SGPRBlocks: 0
; VGPRBlocks: 0
; NumSGPRsForWavesPerEU: 1
; NumVGPRsForWavesPerEU: 1
; NamedBarCnt: 0
; Occupancy: 16
; WaveLimiterHint : 0
; COMPUTE_PGM_RSRC2:SCRATCH_EN: 0
; COMPUTE_PGM_RSRC2:USER_SGPR: 2
; COMPUTE_PGM_RSRC2:TRAP_HANDLER: 0
; COMPUTE_PGM_RSRC2:TGID_X_EN: 1
; COMPUTE_PGM_RSRC2:TGID_Y_EN: 0
; COMPUTE_PGM_RSRC2:TGID_Z_EN: 0
; COMPUTE_PGM_RSRC2:TIDIG_COMP_CNT: 0
	.section	.text._ZN7rocprim17ROCPRIM_400000_NS6detail17trampoline_kernelINS0_14default_configENS1_27scan_by_key_config_selectorIiiEEZZNS1_16scan_by_key_implILNS1_25lookback_scan_determinismE0ELb0ES3_N6thrust23THRUST_200600_302600_NS16reverse_iteratorIPKiEESD_NSA_IPiEEiN6hipcub16HIPCUB_304000_NS3MaxENSH_8EqualityEiEE10hipError_tPvRmT2_T3_T4_T5_mT6_T7_P12ihipStream_tbENKUlT_T0_E_clISt17integral_constantIbLb1EESZ_IbLb0EEEEDaSV_SW_EUlSV_E_NS1_11comp_targetILNS1_3genE3ELNS1_11target_archE908ELNS1_3gpuE7ELNS1_3repE0EEENS1_30default_config_static_selectorELNS0_4arch9wavefront6targetE0EEEvT1_,"axG",@progbits,_ZN7rocprim17ROCPRIM_400000_NS6detail17trampoline_kernelINS0_14default_configENS1_27scan_by_key_config_selectorIiiEEZZNS1_16scan_by_key_implILNS1_25lookback_scan_determinismE0ELb0ES3_N6thrust23THRUST_200600_302600_NS16reverse_iteratorIPKiEESD_NSA_IPiEEiN6hipcub16HIPCUB_304000_NS3MaxENSH_8EqualityEiEE10hipError_tPvRmT2_T3_T4_T5_mT6_T7_P12ihipStream_tbENKUlT_T0_E_clISt17integral_constantIbLb1EESZ_IbLb0EEEEDaSV_SW_EUlSV_E_NS1_11comp_targetILNS1_3genE3ELNS1_11target_archE908ELNS1_3gpuE7ELNS1_3repE0EEENS1_30default_config_static_selectorELNS0_4arch9wavefront6targetE0EEEvT1_,comdat
	.protected	_ZN7rocprim17ROCPRIM_400000_NS6detail17trampoline_kernelINS0_14default_configENS1_27scan_by_key_config_selectorIiiEEZZNS1_16scan_by_key_implILNS1_25lookback_scan_determinismE0ELb0ES3_N6thrust23THRUST_200600_302600_NS16reverse_iteratorIPKiEESD_NSA_IPiEEiN6hipcub16HIPCUB_304000_NS3MaxENSH_8EqualityEiEE10hipError_tPvRmT2_T3_T4_T5_mT6_T7_P12ihipStream_tbENKUlT_T0_E_clISt17integral_constantIbLb1EESZ_IbLb0EEEEDaSV_SW_EUlSV_E_NS1_11comp_targetILNS1_3genE3ELNS1_11target_archE908ELNS1_3gpuE7ELNS1_3repE0EEENS1_30default_config_static_selectorELNS0_4arch9wavefront6targetE0EEEvT1_ ; -- Begin function _ZN7rocprim17ROCPRIM_400000_NS6detail17trampoline_kernelINS0_14default_configENS1_27scan_by_key_config_selectorIiiEEZZNS1_16scan_by_key_implILNS1_25lookback_scan_determinismE0ELb0ES3_N6thrust23THRUST_200600_302600_NS16reverse_iteratorIPKiEESD_NSA_IPiEEiN6hipcub16HIPCUB_304000_NS3MaxENSH_8EqualityEiEE10hipError_tPvRmT2_T3_T4_T5_mT6_T7_P12ihipStream_tbENKUlT_T0_E_clISt17integral_constantIbLb1EESZ_IbLb0EEEEDaSV_SW_EUlSV_E_NS1_11comp_targetILNS1_3genE3ELNS1_11target_archE908ELNS1_3gpuE7ELNS1_3repE0EEENS1_30default_config_static_selectorELNS0_4arch9wavefront6targetE0EEEvT1_
	.globl	_ZN7rocprim17ROCPRIM_400000_NS6detail17trampoline_kernelINS0_14default_configENS1_27scan_by_key_config_selectorIiiEEZZNS1_16scan_by_key_implILNS1_25lookback_scan_determinismE0ELb0ES3_N6thrust23THRUST_200600_302600_NS16reverse_iteratorIPKiEESD_NSA_IPiEEiN6hipcub16HIPCUB_304000_NS3MaxENSH_8EqualityEiEE10hipError_tPvRmT2_T3_T4_T5_mT6_T7_P12ihipStream_tbENKUlT_T0_E_clISt17integral_constantIbLb1EESZ_IbLb0EEEEDaSV_SW_EUlSV_E_NS1_11comp_targetILNS1_3genE3ELNS1_11target_archE908ELNS1_3gpuE7ELNS1_3repE0EEENS1_30default_config_static_selectorELNS0_4arch9wavefront6targetE0EEEvT1_
	.p2align	8
	.type	_ZN7rocprim17ROCPRIM_400000_NS6detail17trampoline_kernelINS0_14default_configENS1_27scan_by_key_config_selectorIiiEEZZNS1_16scan_by_key_implILNS1_25lookback_scan_determinismE0ELb0ES3_N6thrust23THRUST_200600_302600_NS16reverse_iteratorIPKiEESD_NSA_IPiEEiN6hipcub16HIPCUB_304000_NS3MaxENSH_8EqualityEiEE10hipError_tPvRmT2_T3_T4_T5_mT6_T7_P12ihipStream_tbENKUlT_T0_E_clISt17integral_constantIbLb1EESZ_IbLb0EEEEDaSV_SW_EUlSV_E_NS1_11comp_targetILNS1_3genE3ELNS1_11target_archE908ELNS1_3gpuE7ELNS1_3repE0EEENS1_30default_config_static_selectorELNS0_4arch9wavefront6targetE0EEEvT1_,@function
_ZN7rocprim17ROCPRIM_400000_NS6detail17trampoline_kernelINS0_14default_configENS1_27scan_by_key_config_selectorIiiEEZZNS1_16scan_by_key_implILNS1_25lookback_scan_determinismE0ELb0ES3_N6thrust23THRUST_200600_302600_NS16reverse_iteratorIPKiEESD_NSA_IPiEEiN6hipcub16HIPCUB_304000_NS3MaxENSH_8EqualityEiEE10hipError_tPvRmT2_T3_T4_T5_mT6_T7_P12ihipStream_tbENKUlT_T0_E_clISt17integral_constantIbLb1EESZ_IbLb0EEEEDaSV_SW_EUlSV_E_NS1_11comp_targetILNS1_3genE3ELNS1_11target_archE908ELNS1_3gpuE7ELNS1_3repE0EEENS1_30default_config_static_selectorELNS0_4arch9wavefront6targetE0EEEvT1_: ; @_ZN7rocprim17ROCPRIM_400000_NS6detail17trampoline_kernelINS0_14default_configENS1_27scan_by_key_config_selectorIiiEEZZNS1_16scan_by_key_implILNS1_25lookback_scan_determinismE0ELb0ES3_N6thrust23THRUST_200600_302600_NS16reverse_iteratorIPKiEESD_NSA_IPiEEiN6hipcub16HIPCUB_304000_NS3MaxENSH_8EqualityEiEE10hipError_tPvRmT2_T3_T4_T5_mT6_T7_P12ihipStream_tbENKUlT_T0_E_clISt17integral_constantIbLb1EESZ_IbLb0EEEEDaSV_SW_EUlSV_E_NS1_11comp_targetILNS1_3genE3ELNS1_11target_archE908ELNS1_3gpuE7ELNS1_3repE0EEENS1_30default_config_static_selectorELNS0_4arch9wavefront6targetE0EEEvT1_
; %bb.0:
	.section	.rodata,"a",@progbits
	.p2align	6, 0x0
	.amdhsa_kernel _ZN7rocprim17ROCPRIM_400000_NS6detail17trampoline_kernelINS0_14default_configENS1_27scan_by_key_config_selectorIiiEEZZNS1_16scan_by_key_implILNS1_25lookback_scan_determinismE0ELb0ES3_N6thrust23THRUST_200600_302600_NS16reverse_iteratorIPKiEESD_NSA_IPiEEiN6hipcub16HIPCUB_304000_NS3MaxENSH_8EqualityEiEE10hipError_tPvRmT2_T3_T4_T5_mT6_T7_P12ihipStream_tbENKUlT_T0_E_clISt17integral_constantIbLb1EESZ_IbLb0EEEEDaSV_SW_EUlSV_E_NS1_11comp_targetILNS1_3genE3ELNS1_11target_archE908ELNS1_3gpuE7ELNS1_3repE0EEENS1_30default_config_static_selectorELNS0_4arch9wavefront6targetE0EEEvT1_
		.amdhsa_group_segment_fixed_size 0
		.amdhsa_private_segment_fixed_size 0
		.amdhsa_kernarg_size 112
		.amdhsa_user_sgpr_count 2
		.amdhsa_user_sgpr_dispatch_ptr 0
		.amdhsa_user_sgpr_queue_ptr 0
		.amdhsa_user_sgpr_kernarg_segment_ptr 1
		.amdhsa_user_sgpr_dispatch_id 0
		.amdhsa_user_sgpr_kernarg_preload_length 0
		.amdhsa_user_sgpr_kernarg_preload_offset 0
		.amdhsa_user_sgpr_private_segment_size 0
		.amdhsa_wavefront_size32 1
		.amdhsa_uses_dynamic_stack 0
		.amdhsa_enable_private_segment 0
		.amdhsa_system_sgpr_workgroup_id_x 1
		.amdhsa_system_sgpr_workgroup_id_y 0
		.amdhsa_system_sgpr_workgroup_id_z 0
		.amdhsa_system_sgpr_workgroup_info 0
		.amdhsa_system_vgpr_workitem_id 0
		.amdhsa_next_free_vgpr 1
		.amdhsa_next_free_sgpr 1
		.amdhsa_named_barrier_count 0
		.amdhsa_reserve_vcc 0
		.amdhsa_float_round_mode_32 0
		.amdhsa_float_round_mode_16_64 0
		.amdhsa_float_denorm_mode_32 3
		.amdhsa_float_denorm_mode_16_64 3
		.amdhsa_fp16_overflow 0
		.amdhsa_memory_ordered 1
		.amdhsa_forward_progress 1
		.amdhsa_inst_pref_size 0
		.amdhsa_round_robin_scheduling 0
		.amdhsa_exception_fp_ieee_invalid_op 0
		.amdhsa_exception_fp_denorm_src 0
		.amdhsa_exception_fp_ieee_div_zero 0
		.amdhsa_exception_fp_ieee_overflow 0
		.amdhsa_exception_fp_ieee_underflow 0
		.amdhsa_exception_fp_ieee_inexact 0
		.amdhsa_exception_int_div_zero 0
	.end_amdhsa_kernel
	.section	.text._ZN7rocprim17ROCPRIM_400000_NS6detail17trampoline_kernelINS0_14default_configENS1_27scan_by_key_config_selectorIiiEEZZNS1_16scan_by_key_implILNS1_25lookback_scan_determinismE0ELb0ES3_N6thrust23THRUST_200600_302600_NS16reverse_iteratorIPKiEESD_NSA_IPiEEiN6hipcub16HIPCUB_304000_NS3MaxENSH_8EqualityEiEE10hipError_tPvRmT2_T3_T4_T5_mT6_T7_P12ihipStream_tbENKUlT_T0_E_clISt17integral_constantIbLb1EESZ_IbLb0EEEEDaSV_SW_EUlSV_E_NS1_11comp_targetILNS1_3genE3ELNS1_11target_archE908ELNS1_3gpuE7ELNS1_3repE0EEENS1_30default_config_static_selectorELNS0_4arch9wavefront6targetE0EEEvT1_,"axG",@progbits,_ZN7rocprim17ROCPRIM_400000_NS6detail17trampoline_kernelINS0_14default_configENS1_27scan_by_key_config_selectorIiiEEZZNS1_16scan_by_key_implILNS1_25lookback_scan_determinismE0ELb0ES3_N6thrust23THRUST_200600_302600_NS16reverse_iteratorIPKiEESD_NSA_IPiEEiN6hipcub16HIPCUB_304000_NS3MaxENSH_8EqualityEiEE10hipError_tPvRmT2_T3_T4_T5_mT6_T7_P12ihipStream_tbENKUlT_T0_E_clISt17integral_constantIbLb1EESZ_IbLb0EEEEDaSV_SW_EUlSV_E_NS1_11comp_targetILNS1_3genE3ELNS1_11target_archE908ELNS1_3gpuE7ELNS1_3repE0EEENS1_30default_config_static_selectorELNS0_4arch9wavefront6targetE0EEEvT1_,comdat
.Lfunc_end77:
	.size	_ZN7rocprim17ROCPRIM_400000_NS6detail17trampoline_kernelINS0_14default_configENS1_27scan_by_key_config_selectorIiiEEZZNS1_16scan_by_key_implILNS1_25lookback_scan_determinismE0ELb0ES3_N6thrust23THRUST_200600_302600_NS16reverse_iteratorIPKiEESD_NSA_IPiEEiN6hipcub16HIPCUB_304000_NS3MaxENSH_8EqualityEiEE10hipError_tPvRmT2_T3_T4_T5_mT6_T7_P12ihipStream_tbENKUlT_T0_E_clISt17integral_constantIbLb1EESZ_IbLb0EEEEDaSV_SW_EUlSV_E_NS1_11comp_targetILNS1_3genE3ELNS1_11target_archE908ELNS1_3gpuE7ELNS1_3repE0EEENS1_30default_config_static_selectorELNS0_4arch9wavefront6targetE0EEEvT1_, .Lfunc_end77-_ZN7rocprim17ROCPRIM_400000_NS6detail17trampoline_kernelINS0_14default_configENS1_27scan_by_key_config_selectorIiiEEZZNS1_16scan_by_key_implILNS1_25lookback_scan_determinismE0ELb0ES3_N6thrust23THRUST_200600_302600_NS16reverse_iteratorIPKiEESD_NSA_IPiEEiN6hipcub16HIPCUB_304000_NS3MaxENSH_8EqualityEiEE10hipError_tPvRmT2_T3_T4_T5_mT6_T7_P12ihipStream_tbENKUlT_T0_E_clISt17integral_constantIbLb1EESZ_IbLb0EEEEDaSV_SW_EUlSV_E_NS1_11comp_targetILNS1_3genE3ELNS1_11target_archE908ELNS1_3gpuE7ELNS1_3repE0EEENS1_30default_config_static_selectorELNS0_4arch9wavefront6targetE0EEEvT1_
                                        ; -- End function
	.set _ZN7rocprim17ROCPRIM_400000_NS6detail17trampoline_kernelINS0_14default_configENS1_27scan_by_key_config_selectorIiiEEZZNS1_16scan_by_key_implILNS1_25lookback_scan_determinismE0ELb0ES3_N6thrust23THRUST_200600_302600_NS16reverse_iteratorIPKiEESD_NSA_IPiEEiN6hipcub16HIPCUB_304000_NS3MaxENSH_8EqualityEiEE10hipError_tPvRmT2_T3_T4_T5_mT6_T7_P12ihipStream_tbENKUlT_T0_E_clISt17integral_constantIbLb1EESZ_IbLb0EEEEDaSV_SW_EUlSV_E_NS1_11comp_targetILNS1_3genE3ELNS1_11target_archE908ELNS1_3gpuE7ELNS1_3repE0EEENS1_30default_config_static_selectorELNS0_4arch9wavefront6targetE0EEEvT1_.num_vgpr, 0
	.set _ZN7rocprim17ROCPRIM_400000_NS6detail17trampoline_kernelINS0_14default_configENS1_27scan_by_key_config_selectorIiiEEZZNS1_16scan_by_key_implILNS1_25lookback_scan_determinismE0ELb0ES3_N6thrust23THRUST_200600_302600_NS16reverse_iteratorIPKiEESD_NSA_IPiEEiN6hipcub16HIPCUB_304000_NS3MaxENSH_8EqualityEiEE10hipError_tPvRmT2_T3_T4_T5_mT6_T7_P12ihipStream_tbENKUlT_T0_E_clISt17integral_constantIbLb1EESZ_IbLb0EEEEDaSV_SW_EUlSV_E_NS1_11comp_targetILNS1_3genE3ELNS1_11target_archE908ELNS1_3gpuE7ELNS1_3repE0EEENS1_30default_config_static_selectorELNS0_4arch9wavefront6targetE0EEEvT1_.num_agpr, 0
	.set _ZN7rocprim17ROCPRIM_400000_NS6detail17trampoline_kernelINS0_14default_configENS1_27scan_by_key_config_selectorIiiEEZZNS1_16scan_by_key_implILNS1_25lookback_scan_determinismE0ELb0ES3_N6thrust23THRUST_200600_302600_NS16reverse_iteratorIPKiEESD_NSA_IPiEEiN6hipcub16HIPCUB_304000_NS3MaxENSH_8EqualityEiEE10hipError_tPvRmT2_T3_T4_T5_mT6_T7_P12ihipStream_tbENKUlT_T0_E_clISt17integral_constantIbLb1EESZ_IbLb0EEEEDaSV_SW_EUlSV_E_NS1_11comp_targetILNS1_3genE3ELNS1_11target_archE908ELNS1_3gpuE7ELNS1_3repE0EEENS1_30default_config_static_selectorELNS0_4arch9wavefront6targetE0EEEvT1_.numbered_sgpr, 0
	.set _ZN7rocprim17ROCPRIM_400000_NS6detail17trampoline_kernelINS0_14default_configENS1_27scan_by_key_config_selectorIiiEEZZNS1_16scan_by_key_implILNS1_25lookback_scan_determinismE0ELb0ES3_N6thrust23THRUST_200600_302600_NS16reverse_iteratorIPKiEESD_NSA_IPiEEiN6hipcub16HIPCUB_304000_NS3MaxENSH_8EqualityEiEE10hipError_tPvRmT2_T3_T4_T5_mT6_T7_P12ihipStream_tbENKUlT_T0_E_clISt17integral_constantIbLb1EESZ_IbLb0EEEEDaSV_SW_EUlSV_E_NS1_11comp_targetILNS1_3genE3ELNS1_11target_archE908ELNS1_3gpuE7ELNS1_3repE0EEENS1_30default_config_static_selectorELNS0_4arch9wavefront6targetE0EEEvT1_.num_named_barrier, 0
	.set _ZN7rocprim17ROCPRIM_400000_NS6detail17trampoline_kernelINS0_14default_configENS1_27scan_by_key_config_selectorIiiEEZZNS1_16scan_by_key_implILNS1_25lookback_scan_determinismE0ELb0ES3_N6thrust23THRUST_200600_302600_NS16reverse_iteratorIPKiEESD_NSA_IPiEEiN6hipcub16HIPCUB_304000_NS3MaxENSH_8EqualityEiEE10hipError_tPvRmT2_T3_T4_T5_mT6_T7_P12ihipStream_tbENKUlT_T0_E_clISt17integral_constantIbLb1EESZ_IbLb0EEEEDaSV_SW_EUlSV_E_NS1_11comp_targetILNS1_3genE3ELNS1_11target_archE908ELNS1_3gpuE7ELNS1_3repE0EEENS1_30default_config_static_selectorELNS0_4arch9wavefront6targetE0EEEvT1_.private_seg_size, 0
	.set _ZN7rocprim17ROCPRIM_400000_NS6detail17trampoline_kernelINS0_14default_configENS1_27scan_by_key_config_selectorIiiEEZZNS1_16scan_by_key_implILNS1_25lookback_scan_determinismE0ELb0ES3_N6thrust23THRUST_200600_302600_NS16reverse_iteratorIPKiEESD_NSA_IPiEEiN6hipcub16HIPCUB_304000_NS3MaxENSH_8EqualityEiEE10hipError_tPvRmT2_T3_T4_T5_mT6_T7_P12ihipStream_tbENKUlT_T0_E_clISt17integral_constantIbLb1EESZ_IbLb0EEEEDaSV_SW_EUlSV_E_NS1_11comp_targetILNS1_3genE3ELNS1_11target_archE908ELNS1_3gpuE7ELNS1_3repE0EEENS1_30default_config_static_selectorELNS0_4arch9wavefront6targetE0EEEvT1_.uses_vcc, 0
	.set _ZN7rocprim17ROCPRIM_400000_NS6detail17trampoline_kernelINS0_14default_configENS1_27scan_by_key_config_selectorIiiEEZZNS1_16scan_by_key_implILNS1_25lookback_scan_determinismE0ELb0ES3_N6thrust23THRUST_200600_302600_NS16reverse_iteratorIPKiEESD_NSA_IPiEEiN6hipcub16HIPCUB_304000_NS3MaxENSH_8EqualityEiEE10hipError_tPvRmT2_T3_T4_T5_mT6_T7_P12ihipStream_tbENKUlT_T0_E_clISt17integral_constantIbLb1EESZ_IbLb0EEEEDaSV_SW_EUlSV_E_NS1_11comp_targetILNS1_3genE3ELNS1_11target_archE908ELNS1_3gpuE7ELNS1_3repE0EEENS1_30default_config_static_selectorELNS0_4arch9wavefront6targetE0EEEvT1_.uses_flat_scratch, 0
	.set _ZN7rocprim17ROCPRIM_400000_NS6detail17trampoline_kernelINS0_14default_configENS1_27scan_by_key_config_selectorIiiEEZZNS1_16scan_by_key_implILNS1_25lookback_scan_determinismE0ELb0ES3_N6thrust23THRUST_200600_302600_NS16reverse_iteratorIPKiEESD_NSA_IPiEEiN6hipcub16HIPCUB_304000_NS3MaxENSH_8EqualityEiEE10hipError_tPvRmT2_T3_T4_T5_mT6_T7_P12ihipStream_tbENKUlT_T0_E_clISt17integral_constantIbLb1EESZ_IbLb0EEEEDaSV_SW_EUlSV_E_NS1_11comp_targetILNS1_3genE3ELNS1_11target_archE908ELNS1_3gpuE7ELNS1_3repE0EEENS1_30default_config_static_selectorELNS0_4arch9wavefront6targetE0EEEvT1_.has_dyn_sized_stack, 0
	.set _ZN7rocprim17ROCPRIM_400000_NS6detail17trampoline_kernelINS0_14default_configENS1_27scan_by_key_config_selectorIiiEEZZNS1_16scan_by_key_implILNS1_25lookback_scan_determinismE0ELb0ES3_N6thrust23THRUST_200600_302600_NS16reverse_iteratorIPKiEESD_NSA_IPiEEiN6hipcub16HIPCUB_304000_NS3MaxENSH_8EqualityEiEE10hipError_tPvRmT2_T3_T4_T5_mT6_T7_P12ihipStream_tbENKUlT_T0_E_clISt17integral_constantIbLb1EESZ_IbLb0EEEEDaSV_SW_EUlSV_E_NS1_11comp_targetILNS1_3genE3ELNS1_11target_archE908ELNS1_3gpuE7ELNS1_3repE0EEENS1_30default_config_static_selectorELNS0_4arch9wavefront6targetE0EEEvT1_.has_recursion, 0
	.set _ZN7rocprim17ROCPRIM_400000_NS6detail17trampoline_kernelINS0_14default_configENS1_27scan_by_key_config_selectorIiiEEZZNS1_16scan_by_key_implILNS1_25lookback_scan_determinismE0ELb0ES3_N6thrust23THRUST_200600_302600_NS16reverse_iteratorIPKiEESD_NSA_IPiEEiN6hipcub16HIPCUB_304000_NS3MaxENSH_8EqualityEiEE10hipError_tPvRmT2_T3_T4_T5_mT6_T7_P12ihipStream_tbENKUlT_T0_E_clISt17integral_constantIbLb1EESZ_IbLb0EEEEDaSV_SW_EUlSV_E_NS1_11comp_targetILNS1_3genE3ELNS1_11target_archE908ELNS1_3gpuE7ELNS1_3repE0EEENS1_30default_config_static_selectorELNS0_4arch9wavefront6targetE0EEEvT1_.has_indirect_call, 0
	.section	.AMDGPU.csdata,"",@progbits
; Kernel info:
; codeLenInByte = 0
; TotalNumSgprs: 0
; NumVgprs: 0
; ScratchSize: 0
; MemoryBound: 0
; FloatMode: 240
; IeeeMode: 1
; LDSByteSize: 0 bytes/workgroup (compile time only)
; SGPRBlocks: 0
; VGPRBlocks: 0
; NumSGPRsForWavesPerEU: 1
; NumVGPRsForWavesPerEU: 1
; NamedBarCnt: 0
; Occupancy: 16
; WaveLimiterHint : 0
; COMPUTE_PGM_RSRC2:SCRATCH_EN: 0
; COMPUTE_PGM_RSRC2:USER_SGPR: 2
; COMPUTE_PGM_RSRC2:TRAP_HANDLER: 0
; COMPUTE_PGM_RSRC2:TGID_X_EN: 1
; COMPUTE_PGM_RSRC2:TGID_Y_EN: 0
; COMPUTE_PGM_RSRC2:TGID_Z_EN: 0
; COMPUTE_PGM_RSRC2:TIDIG_COMP_CNT: 0
	.section	.text._ZN7rocprim17ROCPRIM_400000_NS6detail17trampoline_kernelINS0_14default_configENS1_27scan_by_key_config_selectorIiiEEZZNS1_16scan_by_key_implILNS1_25lookback_scan_determinismE0ELb0ES3_N6thrust23THRUST_200600_302600_NS16reverse_iteratorIPKiEESD_NSA_IPiEEiN6hipcub16HIPCUB_304000_NS3MaxENSH_8EqualityEiEE10hipError_tPvRmT2_T3_T4_T5_mT6_T7_P12ihipStream_tbENKUlT_T0_E_clISt17integral_constantIbLb1EESZ_IbLb0EEEEDaSV_SW_EUlSV_E_NS1_11comp_targetILNS1_3genE2ELNS1_11target_archE906ELNS1_3gpuE6ELNS1_3repE0EEENS1_30default_config_static_selectorELNS0_4arch9wavefront6targetE0EEEvT1_,"axG",@progbits,_ZN7rocprim17ROCPRIM_400000_NS6detail17trampoline_kernelINS0_14default_configENS1_27scan_by_key_config_selectorIiiEEZZNS1_16scan_by_key_implILNS1_25lookback_scan_determinismE0ELb0ES3_N6thrust23THRUST_200600_302600_NS16reverse_iteratorIPKiEESD_NSA_IPiEEiN6hipcub16HIPCUB_304000_NS3MaxENSH_8EqualityEiEE10hipError_tPvRmT2_T3_T4_T5_mT6_T7_P12ihipStream_tbENKUlT_T0_E_clISt17integral_constantIbLb1EESZ_IbLb0EEEEDaSV_SW_EUlSV_E_NS1_11comp_targetILNS1_3genE2ELNS1_11target_archE906ELNS1_3gpuE6ELNS1_3repE0EEENS1_30default_config_static_selectorELNS0_4arch9wavefront6targetE0EEEvT1_,comdat
	.protected	_ZN7rocprim17ROCPRIM_400000_NS6detail17trampoline_kernelINS0_14default_configENS1_27scan_by_key_config_selectorIiiEEZZNS1_16scan_by_key_implILNS1_25lookback_scan_determinismE0ELb0ES3_N6thrust23THRUST_200600_302600_NS16reverse_iteratorIPKiEESD_NSA_IPiEEiN6hipcub16HIPCUB_304000_NS3MaxENSH_8EqualityEiEE10hipError_tPvRmT2_T3_T4_T5_mT6_T7_P12ihipStream_tbENKUlT_T0_E_clISt17integral_constantIbLb1EESZ_IbLb0EEEEDaSV_SW_EUlSV_E_NS1_11comp_targetILNS1_3genE2ELNS1_11target_archE906ELNS1_3gpuE6ELNS1_3repE0EEENS1_30default_config_static_selectorELNS0_4arch9wavefront6targetE0EEEvT1_ ; -- Begin function _ZN7rocprim17ROCPRIM_400000_NS6detail17trampoline_kernelINS0_14default_configENS1_27scan_by_key_config_selectorIiiEEZZNS1_16scan_by_key_implILNS1_25lookback_scan_determinismE0ELb0ES3_N6thrust23THRUST_200600_302600_NS16reverse_iteratorIPKiEESD_NSA_IPiEEiN6hipcub16HIPCUB_304000_NS3MaxENSH_8EqualityEiEE10hipError_tPvRmT2_T3_T4_T5_mT6_T7_P12ihipStream_tbENKUlT_T0_E_clISt17integral_constantIbLb1EESZ_IbLb0EEEEDaSV_SW_EUlSV_E_NS1_11comp_targetILNS1_3genE2ELNS1_11target_archE906ELNS1_3gpuE6ELNS1_3repE0EEENS1_30default_config_static_selectorELNS0_4arch9wavefront6targetE0EEEvT1_
	.globl	_ZN7rocprim17ROCPRIM_400000_NS6detail17trampoline_kernelINS0_14default_configENS1_27scan_by_key_config_selectorIiiEEZZNS1_16scan_by_key_implILNS1_25lookback_scan_determinismE0ELb0ES3_N6thrust23THRUST_200600_302600_NS16reverse_iteratorIPKiEESD_NSA_IPiEEiN6hipcub16HIPCUB_304000_NS3MaxENSH_8EqualityEiEE10hipError_tPvRmT2_T3_T4_T5_mT6_T7_P12ihipStream_tbENKUlT_T0_E_clISt17integral_constantIbLb1EESZ_IbLb0EEEEDaSV_SW_EUlSV_E_NS1_11comp_targetILNS1_3genE2ELNS1_11target_archE906ELNS1_3gpuE6ELNS1_3repE0EEENS1_30default_config_static_selectorELNS0_4arch9wavefront6targetE0EEEvT1_
	.p2align	8
	.type	_ZN7rocprim17ROCPRIM_400000_NS6detail17trampoline_kernelINS0_14default_configENS1_27scan_by_key_config_selectorIiiEEZZNS1_16scan_by_key_implILNS1_25lookback_scan_determinismE0ELb0ES3_N6thrust23THRUST_200600_302600_NS16reverse_iteratorIPKiEESD_NSA_IPiEEiN6hipcub16HIPCUB_304000_NS3MaxENSH_8EqualityEiEE10hipError_tPvRmT2_T3_T4_T5_mT6_T7_P12ihipStream_tbENKUlT_T0_E_clISt17integral_constantIbLb1EESZ_IbLb0EEEEDaSV_SW_EUlSV_E_NS1_11comp_targetILNS1_3genE2ELNS1_11target_archE906ELNS1_3gpuE6ELNS1_3repE0EEENS1_30default_config_static_selectorELNS0_4arch9wavefront6targetE0EEEvT1_,@function
_ZN7rocprim17ROCPRIM_400000_NS6detail17trampoline_kernelINS0_14default_configENS1_27scan_by_key_config_selectorIiiEEZZNS1_16scan_by_key_implILNS1_25lookback_scan_determinismE0ELb0ES3_N6thrust23THRUST_200600_302600_NS16reverse_iteratorIPKiEESD_NSA_IPiEEiN6hipcub16HIPCUB_304000_NS3MaxENSH_8EqualityEiEE10hipError_tPvRmT2_T3_T4_T5_mT6_T7_P12ihipStream_tbENKUlT_T0_E_clISt17integral_constantIbLb1EESZ_IbLb0EEEEDaSV_SW_EUlSV_E_NS1_11comp_targetILNS1_3genE2ELNS1_11target_archE906ELNS1_3gpuE6ELNS1_3repE0EEENS1_30default_config_static_selectorELNS0_4arch9wavefront6targetE0EEEvT1_: ; @_ZN7rocprim17ROCPRIM_400000_NS6detail17trampoline_kernelINS0_14default_configENS1_27scan_by_key_config_selectorIiiEEZZNS1_16scan_by_key_implILNS1_25lookback_scan_determinismE0ELb0ES3_N6thrust23THRUST_200600_302600_NS16reverse_iteratorIPKiEESD_NSA_IPiEEiN6hipcub16HIPCUB_304000_NS3MaxENSH_8EqualityEiEE10hipError_tPvRmT2_T3_T4_T5_mT6_T7_P12ihipStream_tbENKUlT_T0_E_clISt17integral_constantIbLb1EESZ_IbLb0EEEEDaSV_SW_EUlSV_E_NS1_11comp_targetILNS1_3genE2ELNS1_11target_archE906ELNS1_3gpuE6ELNS1_3repE0EEENS1_30default_config_static_selectorELNS0_4arch9wavefront6targetE0EEEvT1_
; %bb.0:
	.section	.rodata,"a",@progbits
	.p2align	6, 0x0
	.amdhsa_kernel _ZN7rocprim17ROCPRIM_400000_NS6detail17trampoline_kernelINS0_14default_configENS1_27scan_by_key_config_selectorIiiEEZZNS1_16scan_by_key_implILNS1_25lookback_scan_determinismE0ELb0ES3_N6thrust23THRUST_200600_302600_NS16reverse_iteratorIPKiEESD_NSA_IPiEEiN6hipcub16HIPCUB_304000_NS3MaxENSH_8EqualityEiEE10hipError_tPvRmT2_T3_T4_T5_mT6_T7_P12ihipStream_tbENKUlT_T0_E_clISt17integral_constantIbLb1EESZ_IbLb0EEEEDaSV_SW_EUlSV_E_NS1_11comp_targetILNS1_3genE2ELNS1_11target_archE906ELNS1_3gpuE6ELNS1_3repE0EEENS1_30default_config_static_selectorELNS0_4arch9wavefront6targetE0EEEvT1_
		.amdhsa_group_segment_fixed_size 0
		.amdhsa_private_segment_fixed_size 0
		.amdhsa_kernarg_size 112
		.amdhsa_user_sgpr_count 2
		.amdhsa_user_sgpr_dispatch_ptr 0
		.amdhsa_user_sgpr_queue_ptr 0
		.amdhsa_user_sgpr_kernarg_segment_ptr 1
		.amdhsa_user_sgpr_dispatch_id 0
		.amdhsa_user_sgpr_kernarg_preload_length 0
		.amdhsa_user_sgpr_kernarg_preload_offset 0
		.amdhsa_user_sgpr_private_segment_size 0
		.amdhsa_wavefront_size32 1
		.amdhsa_uses_dynamic_stack 0
		.amdhsa_enable_private_segment 0
		.amdhsa_system_sgpr_workgroup_id_x 1
		.amdhsa_system_sgpr_workgroup_id_y 0
		.amdhsa_system_sgpr_workgroup_id_z 0
		.amdhsa_system_sgpr_workgroup_info 0
		.amdhsa_system_vgpr_workitem_id 0
		.amdhsa_next_free_vgpr 1
		.amdhsa_next_free_sgpr 1
		.amdhsa_named_barrier_count 0
		.amdhsa_reserve_vcc 0
		.amdhsa_float_round_mode_32 0
		.amdhsa_float_round_mode_16_64 0
		.amdhsa_float_denorm_mode_32 3
		.amdhsa_float_denorm_mode_16_64 3
		.amdhsa_fp16_overflow 0
		.amdhsa_memory_ordered 1
		.amdhsa_forward_progress 1
		.amdhsa_inst_pref_size 0
		.amdhsa_round_robin_scheduling 0
		.amdhsa_exception_fp_ieee_invalid_op 0
		.amdhsa_exception_fp_denorm_src 0
		.amdhsa_exception_fp_ieee_div_zero 0
		.amdhsa_exception_fp_ieee_overflow 0
		.amdhsa_exception_fp_ieee_underflow 0
		.amdhsa_exception_fp_ieee_inexact 0
		.amdhsa_exception_int_div_zero 0
	.end_amdhsa_kernel
	.section	.text._ZN7rocprim17ROCPRIM_400000_NS6detail17trampoline_kernelINS0_14default_configENS1_27scan_by_key_config_selectorIiiEEZZNS1_16scan_by_key_implILNS1_25lookback_scan_determinismE0ELb0ES3_N6thrust23THRUST_200600_302600_NS16reverse_iteratorIPKiEESD_NSA_IPiEEiN6hipcub16HIPCUB_304000_NS3MaxENSH_8EqualityEiEE10hipError_tPvRmT2_T3_T4_T5_mT6_T7_P12ihipStream_tbENKUlT_T0_E_clISt17integral_constantIbLb1EESZ_IbLb0EEEEDaSV_SW_EUlSV_E_NS1_11comp_targetILNS1_3genE2ELNS1_11target_archE906ELNS1_3gpuE6ELNS1_3repE0EEENS1_30default_config_static_selectorELNS0_4arch9wavefront6targetE0EEEvT1_,"axG",@progbits,_ZN7rocprim17ROCPRIM_400000_NS6detail17trampoline_kernelINS0_14default_configENS1_27scan_by_key_config_selectorIiiEEZZNS1_16scan_by_key_implILNS1_25lookback_scan_determinismE0ELb0ES3_N6thrust23THRUST_200600_302600_NS16reverse_iteratorIPKiEESD_NSA_IPiEEiN6hipcub16HIPCUB_304000_NS3MaxENSH_8EqualityEiEE10hipError_tPvRmT2_T3_T4_T5_mT6_T7_P12ihipStream_tbENKUlT_T0_E_clISt17integral_constantIbLb1EESZ_IbLb0EEEEDaSV_SW_EUlSV_E_NS1_11comp_targetILNS1_3genE2ELNS1_11target_archE906ELNS1_3gpuE6ELNS1_3repE0EEENS1_30default_config_static_selectorELNS0_4arch9wavefront6targetE0EEEvT1_,comdat
.Lfunc_end78:
	.size	_ZN7rocprim17ROCPRIM_400000_NS6detail17trampoline_kernelINS0_14default_configENS1_27scan_by_key_config_selectorIiiEEZZNS1_16scan_by_key_implILNS1_25lookback_scan_determinismE0ELb0ES3_N6thrust23THRUST_200600_302600_NS16reverse_iteratorIPKiEESD_NSA_IPiEEiN6hipcub16HIPCUB_304000_NS3MaxENSH_8EqualityEiEE10hipError_tPvRmT2_T3_T4_T5_mT6_T7_P12ihipStream_tbENKUlT_T0_E_clISt17integral_constantIbLb1EESZ_IbLb0EEEEDaSV_SW_EUlSV_E_NS1_11comp_targetILNS1_3genE2ELNS1_11target_archE906ELNS1_3gpuE6ELNS1_3repE0EEENS1_30default_config_static_selectorELNS0_4arch9wavefront6targetE0EEEvT1_, .Lfunc_end78-_ZN7rocprim17ROCPRIM_400000_NS6detail17trampoline_kernelINS0_14default_configENS1_27scan_by_key_config_selectorIiiEEZZNS1_16scan_by_key_implILNS1_25lookback_scan_determinismE0ELb0ES3_N6thrust23THRUST_200600_302600_NS16reverse_iteratorIPKiEESD_NSA_IPiEEiN6hipcub16HIPCUB_304000_NS3MaxENSH_8EqualityEiEE10hipError_tPvRmT2_T3_T4_T5_mT6_T7_P12ihipStream_tbENKUlT_T0_E_clISt17integral_constantIbLb1EESZ_IbLb0EEEEDaSV_SW_EUlSV_E_NS1_11comp_targetILNS1_3genE2ELNS1_11target_archE906ELNS1_3gpuE6ELNS1_3repE0EEENS1_30default_config_static_selectorELNS0_4arch9wavefront6targetE0EEEvT1_
                                        ; -- End function
	.set _ZN7rocprim17ROCPRIM_400000_NS6detail17trampoline_kernelINS0_14default_configENS1_27scan_by_key_config_selectorIiiEEZZNS1_16scan_by_key_implILNS1_25lookback_scan_determinismE0ELb0ES3_N6thrust23THRUST_200600_302600_NS16reverse_iteratorIPKiEESD_NSA_IPiEEiN6hipcub16HIPCUB_304000_NS3MaxENSH_8EqualityEiEE10hipError_tPvRmT2_T3_T4_T5_mT6_T7_P12ihipStream_tbENKUlT_T0_E_clISt17integral_constantIbLb1EESZ_IbLb0EEEEDaSV_SW_EUlSV_E_NS1_11comp_targetILNS1_3genE2ELNS1_11target_archE906ELNS1_3gpuE6ELNS1_3repE0EEENS1_30default_config_static_selectorELNS0_4arch9wavefront6targetE0EEEvT1_.num_vgpr, 0
	.set _ZN7rocprim17ROCPRIM_400000_NS6detail17trampoline_kernelINS0_14default_configENS1_27scan_by_key_config_selectorIiiEEZZNS1_16scan_by_key_implILNS1_25lookback_scan_determinismE0ELb0ES3_N6thrust23THRUST_200600_302600_NS16reverse_iteratorIPKiEESD_NSA_IPiEEiN6hipcub16HIPCUB_304000_NS3MaxENSH_8EqualityEiEE10hipError_tPvRmT2_T3_T4_T5_mT6_T7_P12ihipStream_tbENKUlT_T0_E_clISt17integral_constantIbLb1EESZ_IbLb0EEEEDaSV_SW_EUlSV_E_NS1_11comp_targetILNS1_3genE2ELNS1_11target_archE906ELNS1_3gpuE6ELNS1_3repE0EEENS1_30default_config_static_selectorELNS0_4arch9wavefront6targetE0EEEvT1_.num_agpr, 0
	.set _ZN7rocprim17ROCPRIM_400000_NS6detail17trampoline_kernelINS0_14default_configENS1_27scan_by_key_config_selectorIiiEEZZNS1_16scan_by_key_implILNS1_25lookback_scan_determinismE0ELb0ES3_N6thrust23THRUST_200600_302600_NS16reverse_iteratorIPKiEESD_NSA_IPiEEiN6hipcub16HIPCUB_304000_NS3MaxENSH_8EqualityEiEE10hipError_tPvRmT2_T3_T4_T5_mT6_T7_P12ihipStream_tbENKUlT_T0_E_clISt17integral_constantIbLb1EESZ_IbLb0EEEEDaSV_SW_EUlSV_E_NS1_11comp_targetILNS1_3genE2ELNS1_11target_archE906ELNS1_3gpuE6ELNS1_3repE0EEENS1_30default_config_static_selectorELNS0_4arch9wavefront6targetE0EEEvT1_.numbered_sgpr, 0
	.set _ZN7rocprim17ROCPRIM_400000_NS6detail17trampoline_kernelINS0_14default_configENS1_27scan_by_key_config_selectorIiiEEZZNS1_16scan_by_key_implILNS1_25lookback_scan_determinismE0ELb0ES3_N6thrust23THRUST_200600_302600_NS16reverse_iteratorIPKiEESD_NSA_IPiEEiN6hipcub16HIPCUB_304000_NS3MaxENSH_8EqualityEiEE10hipError_tPvRmT2_T3_T4_T5_mT6_T7_P12ihipStream_tbENKUlT_T0_E_clISt17integral_constantIbLb1EESZ_IbLb0EEEEDaSV_SW_EUlSV_E_NS1_11comp_targetILNS1_3genE2ELNS1_11target_archE906ELNS1_3gpuE6ELNS1_3repE0EEENS1_30default_config_static_selectorELNS0_4arch9wavefront6targetE0EEEvT1_.num_named_barrier, 0
	.set _ZN7rocprim17ROCPRIM_400000_NS6detail17trampoline_kernelINS0_14default_configENS1_27scan_by_key_config_selectorIiiEEZZNS1_16scan_by_key_implILNS1_25lookback_scan_determinismE0ELb0ES3_N6thrust23THRUST_200600_302600_NS16reverse_iteratorIPKiEESD_NSA_IPiEEiN6hipcub16HIPCUB_304000_NS3MaxENSH_8EqualityEiEE10hipError_tPvRmT2_T3_T4_T5_mT6_T7_P12ihipStream_tbENKUlT_T0_E_clISt17integral_constantIbLb1EESZ_IbLb0EEEEDaSV_SW_EUlSV_E_NS1_11comp_targetILNS1_3genE2ELNS1_11target_archE906ELNS1_3gpuE6ELNS1_3repE0EEENS1_30default_config_static_selectorELNS0_4arch9wavefront6targetE0EEEvT1_.private_seg_size, 0
	.set _ZN7rocprim17ROCPRIM_400000_NS6detail17trampoline_kernelINS0_14default_configENS1_27scan_by_key_config_selectorIiiEEZZNS1_16scan_by_key_implILNS1_25lookback_scan_determinismE0ELb0ES3_N6thrust23THRUST_200600_302600_NS16reverse_iteratorIPKiEESD_NSA_IPiEEiN6hipcub16HIPCUB_304000_NS3MaxENSH_8EqualityEiEE10hipError_tPvRmT2_T3_T4_T5_mT6_T7_P12ihipStream_tbENKUlT_T0_E_clISt17integral_constantIbLb1EESZ_IbLb0EEEEDaSV_SW_EUlSV_E_NS1_11comp_targetILNS1_3genE2ELNS1_11target_archE906ELNS1_3gpuE6ELNS1_3repE0EEENS1_30default_config_static_selectorELNS0_4arch9wavefront6targetE0EEEvT1_.uses_vcc, 0
	.set _ZN7rocprim17ROCPRIM_400000_NS6detail17trampoline_kernelINS0_14default_configENS1_27scan_by_key_config_selectorIiiEEZZNS1_16scan_by_key_implILNS1_25lookback_scan_determinismE0ELb0ES3_N6thrust23THRUST_200600_302600_NS16reverse_iteratorIPKiEESD_NSA_IPiEEiN6hipcub16HIPCUB_304000_NS3MaxENSH_8EqualityEiEE10hipError_tPvRmT2_T3_T4_T5_mT6_T7_P12ihipStream_tbENKUlT_T0_E_clISt17integral_constantIbLb1EESZ_IbLb0EEEEDaSV_SW_EUlSV_E_NS1_11comp_targetILNS1_3genE2ELNS1_11target_archE906ELNS1_3gpuE6ELNS1_3repE0EEENS1_30default_config_static_selectorELNS0_4arch9wavefront6targetE0EEEvT1_.uses_flat_scratch, 0
	.set _ZN7rocprim17ROCPRIM_400000_NS6detail17trampoline_kernelINS0_14default_configENS1_27scan_by_key_config_selectorIiiEEZZNS1_16scan_by_key_implILNS1_25lookback_scan_determinismE0ELb0ES3_N6thrust23THRUST_200600_302600_NS16reverse_iteratorIPKiEESD_NSA_IPiEEiN6hipcub16HIPCUB_304000_NS3MaxENSH_8EqualityEiEE10hipError_tPvRmT2_T3_T4_T5_mT6_T7_P12ihipStream_tbENKUlT_T0_E_clISt17integral_constantIbLb1EESZ_IbLb0EEEEDaSV_SW_EUlSV_E_NS1_11comp_targetILNS1_3genE2ELNS1_11target_archE906ELNS1_3gpuE6ELNS1_3repE0EEENS1_30default_config_static_selectorELNS0_4arch9wavefront6targetE0EEEvT1_.has_dyn_sized_stack, 0
	.set _ZN7rocprim17ROCPRIM_400000_NS6detail17trampoline_kernelINS0_14default_configENS1_27scan_by_key_config_selectorIiiEEZZNS1_16scan_by_key_implILNS1_25lookback_scan_determinismE0ELb0ES3_N6thrust23THRUST_200600_302600_NS16reverse_iteratorIPKiEESD_NSA_IPiEEiN6hipcub16HIPCUB_304000_NS3MaxENSH_8EqualityEiEE10hipError_tPvRmT2_T3_T4_T5_mT6_T7_P12ihipStream_tbENKUlT_T0_E_clISt17integral_constantIbLb1EESZ_IbLb0EEEEDaSV_SW_EUlSV_E_NS1_11comp_targetILNS1_3genE2ELNS1_11target_archE906ELNS1_3gpuE6ELNS1_3repE0EEENS1_30default_config_static_selectorELNS0_4arch9wavefront6targetE0EEEvT1_.has_recursion, 0
	.set _ZN7rocprim17ROCPRIM_400000_NS6detail17trampoline_kernelINS0_14default_configENS1_27scan_by_key_config_selectorIiiEEZZNS1_16scan_by_key_implILNS1_25lookback_scan_determinismE0ELb0ES3_N6thrust23THRUST_200600_302600_NS16reverse_iteratorIPKiEESD_NSA_IPiEEiN6hipcub16HIPCUB_304000_NS3MaxENSH_8EqualityEiEE10hipError_tPvRmT2_T3_T4_T5_mT6_T7_P12ihipStream_tbENKUlT_T0_E_clISt17integral_constantIbLb1EESZ_IbLb0EEEEDaSV_SW_EUlSV_E_NS1_11comp_targetILNS1_3genE2ELNS1_11target_archE906ELNS1_3gpuE6ELNS1_3repE0EEENS1_30default_config_static_selectorELNS0_4arch9wavefront6targetE0EEEvT1_.has_indirect_call, 0
	.section	.AMDGPU.csdata,"",@progbits
; Kernel info:
; codeLenInByte = 0
; TotalNumSgprs: 0
; NumVgprs: 0
; ScratchSize: 0
; MemoryBound: 0
; FloatMode: 240
; IeeeMode: 1
; LDSByteSize: 0 bytes/workgroup (compile time only)
; SGPRBlocks: 0
; VGPRBlocks: 0
; NumSGPRsForWavesPerEU: 1
; NumVGPRsForWavesPerEU: 1
; NamedBarCnt: 0
; Occupancy: 16
; WaveLimiterHint : 0
; COMPUTE_PGM_RSRC2:SCRATCH_EN: 0
; COMPUTE_PGM_RSRC2:USER_SGPR: 2
; COMPUTE_PGM_RSRC2:TRAP_HANDLER: 0
; COMPUTE_PGM_RSRC2:TGID_X_EN: 1
; COMPUTE_PGM_RSRC2:TGID_Y_EN: 0
; COMPUTE_PGM_RSRC2:TGID_Z_EN: 0
; COMPUTE_PGM_RSRC2:TIDIG_COMP_CNT: 0
	.section	.text._ZN7rocprim17ROCPRIM_400000_NS6detail17trampoline_kernelINS0_14default_configENS1_27scan_by_key_config_selectorIiiEEZZNS1_16scan_by_key_implILNS1_25lookback_scan_determinismE0ELb0ES3_N6thrust23THRUST_200600_302600_NS16reverse_iteratorIPKiEESD_NSA_IPiEEiN6hipcub16HIPCUB_304000_NS3MaxENSH_8EqualityEiEE10hipError_tPvRmT2_T3_T4_T5_mT6_T7_P12ihipStream_tbENKUlT_T0_E_clISt17integral_constantIbLb1EESZ_IbLb0EEEEDaSV_SW_EUlSV_E_NS1_11comp_targetILNS1_3genE10ELNS1_11target_archE1200ELNS1_3gpuE4ELNS1_3repE0EEENS1_30default_config_static_selectorELNS0_4arch9wavefront6targetE0EEEvT1_,"axG",@progbits,_ZN7rocprim17ROCPRIM_400000_NS6detail17trampoline_kernelINS0_14default_configENS1_27scan_by_key_config_selectorIiiEEZZNS1_16scan_by_key_implILNS1_25lookback_scan_determinismE0ELb0ES3_N6thrust23THRUST_200600_302600_NS16reverse_iteratorIPKiEESD_NSA_IPiEEiN6hipcub16HIPCUB_304000_NS3MaxENSH_8EqualityEiEE10hipError_tPvRmT2_T3_T4_T5_mT6_T7_P12ihipStream_tbENKUlT_T0_E_clISt17integral_constantIbLb1EESZ_IbLb0EEEEDaSV_SW_EUlSV_E_NS1_11comp_targetILNS1_3genE10ELNS1_11target_archE1200ELNS1_3gpuE4ELNS1_3repE0EEENS1_30default_config_static_selectorELNS0_4arch9wavefront6targetE0EEEvT1_,comdat
	.protected	_ZN7rocprim17ROCPRIM_400000_NS6detail17trampoline_kernelINS0_14default_configENS1_27scan_by_key_config_selectorIiiEEZZNS1_16scan_by_key_implILNS1_25lookback_scan_determinismE0ELb0ES3_N6thrust23THRUST_200600_302600_NS16reverse_iteratorIPKiEESD_NSA_IPiEEiN6hipcub16HIPCUB_304000_NS3MaxENSH_8EqualityEiEE10hipError_tPvRmT2_T3_T4_T5_mT6_T7_P12ihipStream_tbENKUlT_T0_E_clISt17integral_constantIbLb1EESZ_IbLb0EEEEDaSV_SW_EUlSV_E_NS1_11comp_targetILNS1_3genE10ELNS1_11target_archE1200ELNS1_3gpuE4ELNS1_3repE0EEENS1_30default_config_static_selectorELNS0_4arch9wavefront6targetE0EEEvT1_ ; -- Begin function _ZN7rocprim17ROCPRIM_400000_NS6detail17trampoline_kernelINS0_14default_configENS1_27scan_by_key_config_selectorIiiEEZZNS1_16scan_by_key_implILNS1_25lookback_scan_determinismE0ELb0ES3_N6thrust23THRUST_200600_302600_NS16reverse_iteratorIPKiEESD_NSA_IPiEEiN6hipcub16HIPCUB_304000_NS3MaxENSH_8EqualityEiEE10hipError_tPvRmT2_T3_T4_T5_mT6_T7_P12ihipStream_tbENKUlT_T0_E_clISt17integral_constantIbLb1EESZ_IbLb0EEEEDaSV_SW_EUlSV_E_NS1_11comp_targetILNS1_3genE10ELNS1_11target_archE1200ELNS1_3gpuE4ELNS1_3repE0EEENS1_30default_config_static_selectorELNS0_4arch9wavefront6targetE0EEEvT1_
	.globl	_ZN7rocprim17ROCPRIM_400000_NS6detail17trampoline_kernelINS0_14default_configENS1_27scan_by_key_config_selectorIiiEEZZNS1_16scan_by_key_implILNS1_25lookback_scan_determinismE0ELb0ES3_N6thrust23THRUST_200600_302600_NS16reverse_iteratorIPKiEESD_NSA_IPiEEiN6hipcub16HIPCUB_304000_NS3MaxENSH_8EqualityEiEE10hipError_tPvRmT2_T3_T4_T5_mT6_T7_P12ihipStream_tbENKUlT_T0_E_clISt17integral_constantIbLb1EESZ_IbLb0EEEEDaSV_SW_EUlSV_E_NS1_11comp_targetILNS1_3genE10ELNS1_11target_archE1200ELNS1_3gpuE4ELNS1_3repE0EEENS1_30default_config_static_selectorELNS0_4arch9wavefront6targetE0EEEvT1_
	.p2align	8
	.type	_ZN7rocprim17ROCPRIM_400000_NS6detail17trampoline_kernelINS0_14default_configENS1_27scan_by_key_config_selectorIiiEEZZNS1_16scan_by_key_implILNS1_25lookback_scan_determinismE0ELb0ES3_N6thrust23THRUST_200600_302600_NS16reverse_iteratorIPKiEESD_NSA_IPiEEiN6hipcub16HIPCUB_304000_NS3MaxENSH_8EqualityEiEE10hipError_tPvRmT2_T3_T4_T5_mT6_T7_P12ihipStream_tbENKUlT_T0_E_clISt17integral_constantIbLb1EESZ_IbLb0EEEEDaSV_SW_EUlSV_E_NS1_11comp_targetILNS1_3genE10ELNS1_11target_archE1200ELNS1_3gpuE4ELNS1_3repE0EEENS1_30default_config_static_selectorELNS0_4arch9wavefront6targetE0EEEvT1_,@function
_ZN7rocprim17ROCPRIM_400000_NS6detail17trampoline_kernelINS0_14default_configENS1_27scan_by_key_config_selectorIiiEEZZNS1_16scan_by_key_implILNS1_25lookback_scan_determinismE0ELb0ES3_N6thrust23THRUST_200600_302600_NS16reverse_iteratorIPKiEESD_NSA_IPiEEiN6hipcub16HIPCUB_304000_NS3MaxENSH_8EqualityEiEE10hipError_tPvRmT2_T3_T4_T5_mT6_T7_P12ihipStream_tbENKUlT_T0_E_clISt17integral_constantIbLb1EESZ_IbLb0EEEEDaSV_SW_EUlSV_E_NS1_11comp_targetILNS1_3genE10ELNS1_11target_archE1200ELNS1_3gpuE4ELNS1_3repE0EEENS1_30default_config_static_selectorELNS0_4arch9wavefront6targetE0EEEvT1_: ; @_ZN7rocprim17ROCPRIM_400000_NS6detail17trampoline_kernelINS0_14default_configENS1_27scan_by_key_config_selectorIiiEEZZNS1_16scan_by_key_implILNS1_25lookback_scan_determinismE0ELb0ES3_N6thrust23THRUST_200600_302600_NS16reverse_iteratorIPKiEESD_NSA_IPiEEiN6hipcub16HIPCUB_304000_NS3MaxENSH_8EqualityEiEE10hipError_tPvRmT2_T3_T4_T5_mT6_T7_P12ihipStream_tbENKUlT_T0_E_clISt17integral_constantIbLb1EESZ_IbLb0EEEEDaSV_SW_EUlSV_E_NS1_11comp_targetILNS1_3genE10ELNS1_11target_archE1200ELNS1_3gpuE4ELNS1_3repE0EEENS1_30default_config_static_selectorELNS0_4arch9wavefront6targetE0EEEvT1_
; %bb.0:
	.section	.rodata,"a",@progbits
	.p2align	6, 0x0
	.amdhsa_kernel _ZN7rocprim17ROCPRIM_400000_NS6detail17trampoline_kernelINS0_14default_configENS1_27scan_by_key_config_selectorIiiEEZZNS1_16scan_by_key_implILNS1_25lookback_scan_determinismE0ELb0ES3_N6thrust23THRUST_200600_302600_NS16reverse_iteratorIPKiEESD_NSA_IPiEEiN6hipcub16HIPCUB_304000_NS3MaxENSH_8EqualityEiEE10hipError_tPvRmT2_T3_T4_T5_mT6_T7_P12ihipStream_tbENKUlT_T0_E_clISt17integral_constantIbLb1EESZ_IbLb0EEEEDaSV_SW_EUlSV_E_NS1_11comp_targetILNS1_3genE10ELNS1_11target_archE1200ELNS1_3gpuE4ELNS1_3repE0EEENS1_30default_config_static_selectorELNS0_4arch9wavefront6targetE0EEEvT1_
		.amdhsa_group_segment_fixed_size 0
		.amdhsa_private_segment_fixed_size 0
		.amdhsa_kernarg_size 112
		.amdhsa_user_sgpr_count 2
		.amdhsa_user_sgpr_dispatch_ptr 0
		.amdhsa_user_sgpr_queue_ptr 0
		.amdhsa_user_sgpr_kernarg_segment_ptr 1
		.amdhsa_user_sgpr_dispatch_id 0
		.amdhsa_user_sgpr_kernarg_preload_length 0
		.amdhsa_user_sgpr_kernarg_preload_offset 0
		.amdhsa_user_sgpr_private_segment_size 0
		.amdhsa_wavefront_size32 1
		.amdhsa_uses_dynamic_stack 0
		.amdhsa_enable_private_segment 0
		.amdhsa_system_sgpr_workgroup_id_x 1
		.amdhsa_system_sgpr_workgroup_id_y 0
		.amdhsa_system_sgpr_workgroup_id_z 0
		.amdhsa_system_sgpr_workgroup_info 0
		.amdhsa_system_vgpr_workitem_id 0
		.amdhsa_next_free_vgpr 1
		.amdhsa_next_free_sgpr 1
		.amdhsa_named_barrier_count 0
		.amdhsa_reserve_vcc 0
		.amdhsa_float_round_mode_32 0
		.amdhsa_float_round_mode_16_64 0
		.amdhsa_float_denorm_mode_32 3
		.amdhsa_float_denorm_mode_16_64 3
		.amdhsa_fp16_overflow 0
		.amdhsa_memory_ordered 1
		.amdhsa_forward_progress 1
		.amdhsa_inst_pref_size 0
		.amdhsa_round_robin_scheduling 0
		.amdhsa_exception_fp_ieee_invalid_op 0
		.amdhsa_exception_fp_denorm_src 0
		.amdhsa_exception_fp_ieee_div_zero 0
		.amdhsa_exception_fp_ieee_overflow 0
		.amdhsa_exception_fp_ieee_underflow 0
		.amdhsa_exception_fp_ieee_inexact 0
		.amdhsa_exception_int_div_zero 0
	.end_amdhsa_kernel
	.section	.text._ZN7rocprim17ROCPRIM_400000_NS6detail17trampoline_kernelINS0_14default_configENS1_27scan_by_key_config_selectorIiiEEZZNS1_16scan_by_key_implILNS1_25lookback_scan_determinismE0ELb0ES3_N6thrust23THRUST_200600_302600_NS16reverse_iteratorIPKiEESD_NSA_IPiEEiN6hipcub16HIPCUB_304000_NS3MaxENSH_8EqualityEiEE10hipError_tPvRmT2_T3_T4_T5_mT6_T7_P12ihipStream_tbENKUlT_T0_E_clISt17integral_constantIbLb1EESZ_IbLb0EEEEDaSV_SW_EUlSV_E_NS1_11comp_targetILNS1_3genE10ELNS1_11target_archE1200ELNS1_3gpuE4ELNS1_3repE0EEENS1_30default_config_static_selectorELNS0_4arch9wavefront6targetE0EEEvT1_,"axG",@progbits,_ZN7rocprim17ROCPRIM_400000_NS6detail17trampoline_kernelINS0_14default_configENS1_27scan_by_key_config_selectorIiiEEZZNS1_16scan_by_key_implILNS1_25lookback_scan_determinismE0ELb0ES3_N6thrust23THRUST_200600_302600_NS16reverse_iteratorIPKiEESD_NSA_IPiEEiN6hipcub16HIPCUB_304000_NS3MaxENSH_8EqualityEiEE10hipError_tPvRmT2_T3_T4_T5_mT6_T7_P12ihipStream_tbENKUlT_T0_E_clISt17integral_constantIbLb1EESZ_IbLb0EEEEDaSV_SW_EUlSV_E_NS1_11comp_targetILNS1_3genE10ELNS1_11target_archE1200ELNS1_3gpuE4ELNS1_3repE0EEENS1_30default_config_static_selectorELNS0_4arch9wavefront6targetE0EEEvT1_,comdat
.Lfunc_end79:
	.size	_ZN7rocprim17ROCPRIM_400000_NS6detail17trampoline_kernelINS0_14default_configENS1_27scan_by_key_config_selectorIiiEEZZNS1_16scan_by_key_implILNS1_25lookback_scan_determinismE0ELb0ES3_N6thrust23THRUST_200600_302600_NS16reverse_iteratorIPKiEESD_NSA_IPiEEiN6hipcub16HIPCUB_304000_NS3MaxENSH_8EqualityEiEE10hipError_tPvRmT2_T3_T4_T5_mT6_T7_P12ihipStream_tbENKUlT_T0_E_clISt17integral_constantIbLb1EESZ_IbLb0EEEEDaSV_SW_EUlSV_E_NS1_11comp_targetILNS1_3genE10ELNS1_11target_archE1200ELNS1_3gpuE4ELNS1_3repE0EEENS1_30default_config_static_selectorELNS0_4arch9wavefront6targetE0EEEvT1_, .Lfunc_end79-_ZN7rocprim17ROCPRIM_400000_NS6detail17trampoline_kernelINS0_14default_configENS1_27scan_by_key_config_selectorIiiEEZZNS1_16scan_by_key_implILNS1_25lookback_scan_determinismE0ELb0ES3_N6thrust23THRUST_200600_302600_NS16reverse_iteratorIPKiEESD_NSA_IPiEEiN6hipcub16HIPCUB_304000_NS3MaxENSH_8EqualityEiEE10hipError_tPvRmT2_T3_T4_T5_mT6_T7_P12ihipStream_tbENKUlT_T0_E_clISt17integral_constantIbLb1EESZ_IbLb0EEEEDaSV_SW_EUlSV_E_NS1_11comp_targetILNS1_3genE10ELNS1_11target_archE1200ELNS1_3gpuE4ELNS1_3repE0EEENS1_30default_config_static_selectorELNS0_4arch9wavefront6targetE0EEEvT1_
                                        ; -- End function
	.set _ZN7rocprim17ROCPRIM_400000_NS6detail17trampoline_kernelINS0_14default_configENS1_27scan_by_key_config_selectorIiiEEZZNS1_16scan_by_key_implILNS1_25lookback_scan_determinismE0ELb0ES3_N6thrust23THRUST_200600_302600_NS16reverse_iteratorIPKiEESD_NSA_IPiEEiN6hipcub16HIPCUB_304000_NS3MaxENSH_8EqualityEiEE10hipError_tPvRmT2_T3_T4_T5_mT6_T7_P12ihipStream_tbENKUlT_T0_E_clISt17integral_constantIbLb1EESZ_IbLb0EEEEDaSV_SW_EUlSV_E_NS1_11comp_targetILNS1_3genE10ELNS1_11target_archE1200ELNS1_3gpuE4ELNS1_3repE0EEENS1_30default_config_static_selectorELNS0_4arch9wavefront6targetE0EEEvT1_.num_vgpr, 0
	.set _ZN7rocprim17ROCPRIM_400000_NS6detail17trampoline_kernelINS0_14default_configENS1_27scan_by_key_config_selectorIiiEEZZNS1_16scan_by_key_implILNS1_25lookback_scan_determinismE0ELb0ES3_N6thrust23THRUST_200600_302600_NS16reverse_iteratorIPKiEESD_NSA_IPiEEiN6hipcub16HIPCUB_304000_NS3MaxENSH_8EqualityEiEE10hipError_tPvRmT2_T3_T4_T5_mT6_T7_P12ihipStream_tbENKUlT_T0_E_clISt17integral_constantIbLb1EESZ_IbLb0EEEEDaSV_SW_EUlSV_E_NS1_11comp_targetILNS1_3genE10ELNS1_11target_archE1200ELNS1_3gpuE4ELNS1_3repE0EEENS1_30default_config_static_selectorELNS0_4arch9wavefront6targetE0EEEvT1_.num_agpr, 0
	.set _ZN7rocprim17ROCPRIM_400000_NS6detail17trampoline_kernelINS0_14default_configENS1_27scan_by_key_config_selectorIiiEEZZNS1_16scan_by_key_implILNS1_25lookback_scan_determinismE0ELb0ES3_N6thrust23THRUST_200600_302600_NS16reverse_iteratorIPKiEESD_NSA_IPiEEiN6hipcub16HIPCUB_304000_NS3MaxENSH_8EqualityEiEE10hipError_tPvRmT2_T3_T4_T5_mT6_T7_P12ihipStream_tbENKUlT_T0_E_clISt17integral_constantIbLb1EESZ_IbLb0EEEEDaSV_SW_EUlSV_E_NS1_11comp_targetILNS1_3genE10ELNS1_11target_archE1200ELNS1_3gpuE4ELNS1_3repE0EEENS1_30default_config_static_selectorELNS0_4arch9wavefront6targetE0EEEvT1_.numbered_sgpr, 0
	.set _ZN7rocprim17ROCPRIM_400000_NS6detail17trampoline_kernelINS0_14default_configENS1_27scan_by_key_config_selectorIiiEEZZNS1_16scan_by_key_implILNS1_25lookback_scan_determinismE0ELb0ES3_N6thrust23THRUST_200600_302600_NS16reverse_iteratorIPKiEESD_NSA_IPiEEiN6hipcub16HIPCUB_304000_NS3MaxENSH_8EqualityEiEE10hipError_tPvRmT2_T3_T4_T5_mT6_T7_P12ihipStream_tbENKUlT_T0_E_clISt17integral_constantIbLb1EESZ_IbLb0EEEEDaSV_SW_EUlSV_E_NS1_11comp_targetILNS1_3genE10ELNS1_11target_archE1200ELNS1_3gpuE4ELNS1_3repE0EEENS1_30default_config_static_selectorELNS0_4arch9wavefront6targetE0EEEvT1_.num_named_barrier, 0
	.set _ZN7rocprim17ROCPRIM_400000_NS6detail17trampoline_kernelINS0_14default_configENS1_27scan_by_key_config_selectorIiiEEZZNS1_16scan_by_key_implILNS1_25lookback_scan_determinismE0ELb0ES3_N6thrust23THRUST_200600_302600_NS16reverse_iteratorIPKiEESD_NSA_IPiEEiN6hipcub16HIPCUB_304000_NS3MaxENSH_8EqualityEiEE10hipError_tPvRmT2_T3_T4_T5_mT6_T7_P12ihipStream_tbENKUlT_T0_E_clISt17integral_constantIbLb1EESZ_IbLb0EEEEDaSV_SW_EUlSV_E_NS1_11comp_targetILNS1_3genE10ELNS1_11target_archE1200ELNS1_3gpuE4ELNS1_3repE0EEENS1_30default_config_static_selectorELNS0_4arch9wavefront6targetE0EEEvT1_.private_seg_size, 0
	.set _ZN7rocprim17ROCPRIM_400000_NS6detail17trampoline_kernelINS0_14default_configENS1_27scan_by_key_config_selectorIiiEEZZNS1_16scan_by_key_implILNS1_25lookback_scan_determinismE0ELb0ES3_N6thrust23THRUST_200600_302600_NS16reverse_iteratorIPKiEESD_NSA_IPiEEiN6hipcub16HIPCUB_304000_NS3MaxENSH_8EqualityEiEE10hipError_tPvRmT2_T3_T4_T5_mT6_T7_P12ihipStream_tbENKUlT_T0_E_clISt17integral_constantIbLb1EESZ_IbLb0EEEEDaSV_SW_EUlSV_E_NS1_11comp_targetILNS1_3genE10ELNS1_11target_archE1200ELNS1_3gpuE4ELNS1_3repE0EEENS1_30default_config_static_selectorELNS0_4arch9wavefront6targetE0EEEvT1_.uses_vcc, 0
	.set _ZN7rocprim17ROCPRIM_400000_NS6detail17trampoline_kernelINS0_14default_configENS1_27scan_by_key_config_selectorIiiEEZZNS1_16scan_by_key_implILNS1_25lookback_scan_determinismE0ELb0ES3_N6thrust23THRUST_200600_302600_NS16reverse_iteratorIPKiEESD_NSA_IPiEEiN6hipcub16HIPCUB_304000_NS3MaxENSH_8EqualityEiEE10hipError_tPvRmT2_T3_T4_T5_mT6_T7_P12ihipStream_tbENKUlT_T0_E_clISt17integral_constantIbLb1EESZ_IbLb0EEEEDaSV_SW_EUlSV_E_NS1_11comp_targetILNS1_3genE10ELNS1_11target_archE1200ELNS1_3gpuE4ELNS1_3repE0EEENS1_30default_config_static_selectorELNS0_4arch9wavefront6targetE0EEEvT1_.uses_flat_scratch, 0
	.set _ZN7rocprim17ROCPRIM_400000_NS6detail17trampoline_kernelINS0_14default_configENS1_27scan_by_key_config_selectorIiiEEZZNS1_16scan_by_key_implILNS1_25lookback_scan_determinismE0ELb0ES3_N6thrust23THRUST_200600_302600_NS16reverse_iteratorIPKiEESD_NSA_IPiEEiN6hipcub16HIPCUB_304000_NS3MaxENSH_8EqualityEiEE10hipError_tPvRmT2_T3_T4_T5_mT6_T7_P12ihipStream_tbENKUlT_T0_E_clISt17integral_constantIbLb1EESZ_IbLb0EEEEDaSV_SW_EUlSV_E_NS1_11comp_targetILNS1_3genE10ELNS1_11target_archE1200ELNS1_3gpuE4ELNS1_3repE0EEENS1_30default_config_static_selectorELNS0_4arch9wavefront6targetE0EEEvT1_.has_dyn_sized_stack, 0
	.set _ZN7rocprim17ROCPRIM_400000_NS6detail17trampoline_kernelINS0_14default_configENS1_27scan_by_key_config_selectorIiiEEZZNS1_16scan_by_key_implILNS1_25lookback_scan_determinismE0ELb0ES3_N6thrust23THRUST_200600_302600_NS16reverse_iteratorIPKiEESD_NSA_IPiEEiN6hipcub16HIPCUB_304000_NS3MaxENSH_8EqualityEiEE10hipError_tPvRmT2_T3_T4_T5_mT6_T7_P12ihipStream_tbENKUlT_T0_E_clISt17integral_constantIbLb1EESZ_IbLb0EEEEDaSV_SW_EUlSV_E_NS1_11comp_targetILNS1_3genE10ELNS1_11target_archE1200ELNS1_3gpuE4ELNS1_3repE0EEENS1_30default_config_static_selectorELNS0_4arch9wavefront6targetE0EEEvT1_.has_recursion, 0
	.set _ZN7rocprim17ROCPRIM_400000_NS6detail17trampoline_kernelINS0_14default_configENS1_27scan_by_key_config_selectorIiiEEZZNS1_16scan_by_key_implILNS1_25lookback_scan_determinismE0ELb0ES3_N6thrust23THRUST_200600_302600_NS16reverse_iteratorIPKiEESD_NSA_IPiEEiN6hipcub16HIPCUB_304000_NS3MaxENSH_8EqualityEiEE10hipError_tPvRmT2_T3_T4_T5_mT6_T7_P12ihipStream_tbENKUlT_T0_E_clISt17integral_constantIbLb1EESZ_IbLb0EEEEDaSV_SW_EUlSV_E_NS1_11comp_targetILNS1_3genE10ELNS1_11target_archE1200ELNS1_3gpuE4ELNS1_3repE0EEENS1_30default_config_static_selectorELNS0_4arch9wavefront6targetE0EEEvT1_.has_indirect_call, 0
	.section	.AMDGPU.csdata,"",@progbits
; Kernel info:
; codeLenInByte = 0
; TotalNumSgprs: 0
; NumVgprs: 0
; ScratchSize: 0
; MemoryBound: 0
; FloatMode: 240
; IeeeMode: 1
; LDSByteSize: 0 bytes/workgroup (compile time only)
; SGPRBlocks: 0
; VGPRBlocks: 0
; NumSGPRsForWavesPerEU: 1
; NumVGPRsForWavesPerEU: 1
; NamedBarCnt: 0
; Occupancy: 16
; WaveLimiterHint : 0
; COMPUTE_PGM_RSRC2:SCRATCH_EN: 0
; COMPUTE_PGM_RSRC2:USER_SGPR: 2
; COMPUTE_PGM_RSRC2:TRAP_HANDLER: 0
; COMPUTE_PGM_RSRC2:TGID_X_EN: 1
; COMPUTE_PGM_RSRC2:TGID_Y_EN: 0
; COMPUTE_PGM_RSRC2:TGID_Z_EN: 0
; COMPUTE_PGM_RSRC2:TIDIG_COMP_CNT: 0
	.section	.text._ZN7rocprim17ROCPRIM_400000_NS6detail17trampoline_kernelINS0_14default_configENS1_27scan_by_key_config_selectorIiiEEZZNS1_16scan_by_key_implILNS1_25lookback_scan_determinismE0ELb0ES3_N6thrust23THRUST_200600_302600_NS16reverse_iteratorIPKiEESD_NSA_IPiEEiN6hipcub16HIPCUB_304000_NS3MaxENSH_8EqualityEiEE10hipError_tPvRmT2_T3_T4_T5_mT6_T7_P12ihipStream_tbENKUlT_T0_E_clISt17integral_constantIbLb1EESZ_IbLb0EEEEDaSV_SW_EUlSV_E_NS1_11comp_targetILNS1_3genE9ELNS1_11target_archE1100ELNS1_3gpuE3ELNS1_3repE0EEENS1_30default_config_static_selectorELNS0_4arch9wavefront6targetE0EEEvT1_,"axG",@progbits,_ZN7rocprim17ROCPRIM_400000_NS6detail17trampoline_kernelINS0_14default_configENS1_27scan_by_key_config_selectorIiiEEZZNS1_16scan_by_key_implILNS1_25lookback_scan_determinismE0ELb0ES3_N6thrust23THRUST_200600_302600_NS16reverse_iteratorIPKiEESD_NSA_IPiEEiN6hipcub16HIPCUB_304000_NS3MaxENSH_8EqualityEiEE10hipError_tPvRmT2_T3_T4_T5_mT6_T7_P12ihipStream_tbENKUlT_T0_E_clISt17integral_constantIbLb1EESZ_IbLb0EEEEDaSV_SW_EUlSV_E_NS1_11comp_targetILNS1_3genE9ELNS1_11target_archE1100ELNS1_3gpuE3ELNS1_3repE0EEENS1_30default_config_static_selectorELNS0_4arch9wavefront6targetE0EEEvT1_,comdat
	.protected	_ZN7rocprim17ROCPRIM_400000_NS6detail17trampoline_kernelINS0_14default_configENS1_27scan_by_key_config_selectorIiiEEZZNS1_16scan_by_key_implILNS1_25lookback_scan_determinismE0ELb0ES3_N6thrust23THRUST_200600_302600_NS16reverse_iteratorIPKiEESD_NSA_IPiEEiN6hipcub16HIPCUB_304000_NS3MaxENSH_8EqualityEiEE10hipError_tPvRmT2_T3_T4_T5_mT6_T7_P12ihipStream_tbENKUlT_T0_E_clISt17integral_constantIbLb1EESZ_IbLb0EEEEDaSV_SW_EUlSV_E_NS1_11comp_targetILNS1_3genE9ELNS1_11target_archE1100ELNS1_3gpuE3ELNS1_3repE0EEENS1_30default_config_static_selectorELNS0_4arch9wavefront6targetE0EEEvT1_ ; -- Begin function _ZN7rocprim17ROCPRIM_400000_NS6detail17trampoline_kernelINS0_14default_configENS1_27scan_by_key_config_selectorIiiEEZZNS1_16scan_by_key_implILNS1_25lookback_scan_determinismE0ELb0ES3_N6thrust23THRUST_200600_302600_NS16reverse_iteratorIPKiEESD_NSA_IPiEEiN6hipcub16HIPCUB_304000_NS3MaxENSH_8EqualityEiEE10hipError_tPvRmT2_T3_T4_T5_mT6_T7_P12ihipStream_tbENKUlT_T0_E_clISt17integral_constantIbLb1EESZ_IbLb0EEEEDaSV_SW_EUlSV_E_NS1_11comp_targetILNS1_3genE9ELNS1_11target_archE1100ELNS1_3gpuE3ELNS1_3repE0EEENS1_30default_config_static_selectorELNS0_4arch9wavefront6targetE0EEEvT1_
	.globl	_ZN7rocprim17ROCPRIM_400000_NS6detail17trampoline_kernelINS0_14default_configENS1_27scan_by_key_config_selectorIiiEEZZNS1_16scan_by_key_implILNS1_25lookback_scan_determinismE0ELb0ES3_N6thrust23THRUST_200600_302600_NS16reverse_iteratorIPKiEESD_NSA_IPiEEiN6hipcub16HIPCUB_304000_NS3MaxENSH_8EqualityEiEE10hipError_tPvRmT2_T3_T4_T5_mT6_T7_P12ihipStream_tbENKUlT_T0_E_clISt17integral_constantIbLb1EESZ_IbLb0EEEEDaSV_SW_EUlSV_E_NS1_11comp_targetILNS1_3genE9ELNS1_11target_archE1100ELNS1_3gpuE3ELNS1_3repE0EEENS1_30default_config_static_selectorELNS0_4arch9wavefront6targetE0EEEvT1_
	.p2align	8
	.type	_ZN7rocprim17ROCPRIM_400000_NS6detail17trampoline_kernelINS0_14default_configENS1_27scan_by_key_config_selectorIiiEEZZNS1_16scan_by_key_implILNS1_25lookback_scan_determinismE0ELb0ES3_N6thrust23THRUST_200600_302600_NS16reverse_iteratorIPKiEESD_NSA_IPiEEiN6hipcub16HIPCUB_304000_NS3MaxENSH_8EqualityEiEE10hipError_tPvRmT2_T3_T4_T5_mT6_T7_P12ihipStream_tbENKUlT_T0_E_clISt17integral_constantIbLb1EESZ_IbLb0EEEEDaSV_SW_EUlSV_E_NS1_11comp_targetILNS1_3genE9ELNS1_11target_archE1100ELNS1_3gpuE3ELNS1_3repE0EEENS1_30default_config_static_selectorELNS0_4arch9wavefront6targetE0EEEvT1_,@function
_ZN7rocprim17ROCPRIM_400000_NS6detail17trampoline_kernelINS0_14default_configENS1_27scan_by_key_config_selectorIiiEEZZNS1_16scan_by_key_implILNS1_25lookback_scan_determinismE0ELb0ES3_N6thrust23THRUST_200600_302600_NS16reverse_iteratorIPKiEESD_NSA_IPiEEiN6hipcub16HIPCUB_304000_NS3MaxENSH_8EqualityEiEE10hipError_tPvRmT2_T3_T4_T5_mT6_T7_P12ihipStream_tbENKUlT_T0_E_clISt17integral_constantIbLb1EESZ_IbLb0EEEEDaSV_SW_EUlSV_E_NS1_11comp_targetILNS1_3genE9ELNS1_11target_archE1100ELNS1_3gpuE3ELNS1_3repE0EEENS1_30default_config_static_selectorELNS0_4arch9wavefront6targetE0EEEvT1_: ; @_ZN7rocprim17ROCPRIM_400000_NS6detail17trampoline_kernelINS0_14default_configENS1_27scan_by_key_config_selectorIiiEEZZNS1_16scan_by_key_implILNS1_25lookback_scan_determinismE0ELb0ES3_N6thrust23THRUST_200600_302600_NS16reverse_iteratorIPKiEESD_NSA_IPiEEiN6hipcub16HIPCUB_304000_NS3MaxENSH_8EqualityEiEE10hipError_tPvRmT2_T3_T4_T5_mT6_T7_P12ihipStream_tbENKUlT_T0_E_clISt17integral_constantIbLb1EESZ_IbLb0EEEEDaSV_SW_EUlSV_E_NS1_11comp_targetILNS1_3genE9ELNS1_11target_archE1100ELNS1_3gpuE3ELNS1_3repE0EEENS1_30default_config_static_selectorELNS0_4arch9wavefront6targetE0EEEvT1_
; %bb.0:
	.section	.rodata,"a",@progbits
	.p2align	6, 0x0
	.amdhsa_kernel _ZN7rocprim17ROCPRIM_400000_NS6detail17trampoline_kernelINS0_14default_configENS1_27scan_by_key_config_selectorIiiEEZZNS1_16scan_by_key_implILNS1_25lookback_scan_determinismE0ELb0ES3_N6thrust23THRUST_200600_302600_NS16reverse_iteratorIPKiEESD_NSA_IPiEEiN6hipcub16HIPCUB_304000_NS3MaxENSH_8EqualityEiEE10hipError_tPvRmT2_T3_T4_T5_mT6_T7_P12ihipStream_tbENKUlT_T0_E_clISt17integral_constantIbLb1EESZ_IbLb0EEEEDaSV_SW_EUlSV_E_NS1_11comp_targetILNS1_3genE9ELNS1_11target_archE1100ELNS1_3gpuE3ELNS1_3repE0EEENS1_30default_config_static_selectorELNS0_4arch9wavefront6targetE0EEEvT1_
		.amdhsa_group_segment_fixed_size 0
		.amdhsa_private_segment_fixed_size 0
		.amdhsa_kernarg_size 112
		.amdhsa_user_sgpr_count 2
		.amdhsa_user_sgpr_dispatch_ptr 0
		.amdhsa_user_sgpr_queue_ptr 0
		.amdhsa_user_sgpr_kernarg_segment_ptr 1
		.amdhsa_user_sgpr_dispatch_id 0
		.amdhsa_user_sgpr_kernarg_preload_length 0
		.amdhsa_user_sgpr_kernarg_preload_offset 0
		.amdhsa_user_sgpr_private_segment_size 0
		.amdhsa_wavefront_size32 1
		.amdhsa_uses_dynamic_stack 0
		.amdhsa_enable_private_segment 0
		.amdhsa_system_sgpr_workgroup_id_x 1
		.amdhsa_system_sgpr_workgroup_id_y 0
		.amdhsa_system_sgpr_workgroup_id_z 0
		.amdhsa_system_sgpr_workgroup_info 0
		.amdhsa_system_vgpr_workitem_id 0
		.amdhsa_next_free_vgpr 1
		.amdhsa_next_free_sgpr 1
		.amdhsa_named_barrier_count 0
		.amdhsa_reserve_vcc 0
		.amdhsa_float_round_mode_32 0
		.amdhsa_float_round_mode_16_64 0
		.amdhsa_float_denorm_mode_32 3
		.amdhsa_float_denorm_mode_16_64 3
		.amdhsa_fp16_overflow 0
		.amdhsa_memory_ordered 1
		.amdhsa_forward_progress 1
		.amdhsa_inst_pref_size 0
		.amdhsa_round_robin_scheduling 0
		.amdhsa_exception_fp_ieee_invalid_op 0
		.amdhsa_exception_fp_denorm_src 0
		.amdhsa_exception_fp_ieee_div_zero 0
		.amdhsa_exception_fp_ieee_overflow 0
		.amdhsa_exception_fp_ieee_underflow 0
		.amdhsa_exception_fp_ieee_inexact 0
		.amdhsa_exception_int_div_zero 0
	.end_amdhsa_kernel
	.section	.text._ZN7rocprim17ROCPRIM_400000_NS6detail17trampoline_kernelINS0_14default_configENS1_27scan_by_key_config_selectorIiiEEZZNS1_16scan_by_key_implILNS1_25lookback_scan_determinismE0ELb0ES3_N6thrust23THRUST_200600_302600_NS16reverse_iteratorIPKiEESD_NSA_IPiEEiN6hipcub16HIPCUB_304000_NS3MaxENSH_8EqualityEiEE10hipError_tPvRmT2_T3_T4_T5_mT6_T7_P12ihipStream_tbENKUlT_T0_E_clISt17integral_constantIbLb1EESZ_IbLb0EEEEDaSV_SW_EUlSV_E_NS1_11comp_targetILNS1_3genE9ELNS1_11target_archE1100ELNS1_3gpuE3ELNS1_3repE0EEENS1_30default_config_static_selectorELNS0_4arch9wavefront6targetE0EEEvT1_,"axG",@progbits,_ZN7rocprim17ROCPRIM_400000_NS6detail17trampoline_kernelINS0_14default_configENS1_27scan_by_key_config_selectorIiiEEZZNS1_16scan_by_key_implILNS1_25lookback_scan_determinismE0ELb0ES3_N6thrust23THRUST_200600_302600_NS16reverse_iteratorIPKiEESD_NSA_IPiEEiN6hipcub16HIPCUB_304000_NS3MaxENSH_8EqualityEiEE10hipError_tPvRmT2_T3_T4_T5_mT6_T7_P12ihipStream_tbENKUlT_T0_E_clISt17integral_constantIbLb1EESZ_IbLb0EEEEDaSV_SW_EUlSV_E_NS1_11comp_targetILNS1_3genE9ELNS1_11target_archE1100ELNS1_3gpuE3ELNS1_3repE0EEENS1_30default_config_static_selectorELNS0_4arch9wavefront6targetE0EEEvT1_,comdat
.Lfunc_end80:
	.size	_ZN7rocprim17ROCPRIM_400000_NS6detail17trampoline_kernelINS0_14default_configENS1_27scan_by_key_config_selectorIiiEEZZNS1_16scan_by_key_implILNS1_25lookback_scan_determinismE0ELb0ES3_N6thrust23THRUST_200600_302600_NS16reverse_iteratorIPKiEESD_NSA_IPiEEiN6hipcub16HIPCUB_304000_NS3MaxENSH_8EqualityEiEE10hipError_tPvRmT2_T3_T4_T5_mT6_T7_P12ihipStream_tbENKUlT_T0_E_clISt17integral_constantIbLb1EESZ_IbLb0EEEEDaSV_SW_EUlSV_E_NS1_11comp_targetILNS1_3genE9ELNS1_11target_archE1100ELNS1_3gpuE3ELNS1_3repE0EEENS1_30default_config_static_selectorELNS0_4arch9wavefront6targetE0EEEvT1_, .Lfunc_end80-_ZN7rocprim17ROCPRIM_400000_NS6detail17trampoline_kernelINS0_14default_configENS1_27scan_by_key_config_selectorIiiEEZZNS1_16scan_by_key_implILNS1_25lookback_scan_determinismE0ELb0ES3_N6thrust23THRUST_200600_302600_NS16reverse_iteratorIPKiEESD_NSA_IPiEEiN6hipcub16HIPCUB_304000_NS3MaxENSH_8EqualityEiEE10hipError_tPvRmT2_T3_T4_T5_mT6_T7_P12ihipStream_tbENKUlT_T0_E_clISt17integral_constantIbLb1EESZ_IbLb0EEEEDaSV_SW_EUlSV_E_NS1_11comp_targetILNS1_3genE9ELNS1_11target_archE1100ELNS1_3gpuE3ELNS1_3repE0EEENS1_30default_config_static_selectorELNS0_4arch9wavefront6targetE0EEEvT1_
                                        ; -- End function
	.set _ZN7rocprim17ROCPRIM_400000_NS6detail17trampoline_kernelINS0_14default_configENS1_27scan_by_key_config_selectorIiiEEZZNS1_16scan_by_key_implILNS1_25lookback_scan_determinismE0ELb0ES3_N6thrust23THRUST_200600_302600_NS16reverse_iteratorIPKiEESD_NSA_IPiEEiN6hipcub16HIPCUB_304000_NS3MaxENSH_8EqualityEiEE10hipError_tPvRmT2_T3_T4_T5_mT6_T7_P12ihipStream_tbENKUlT_T0_E_clISt17integral_constantIbLb1EESZ_IbLb0EEEEDaSV_SW_EUlSV_E_NS1_11comp_targetILNS1_3genE9ELNS1_11target_archE1100ELNS1_3gpuE3ELNS1_3repE0EEENS1_30default_config_static_selectorELNS0_4arch9wavefront6targetE0EEEvT1_.num_vgpr, 0
	.set _ZN7rocprim17ROCPRIM_400000_NS6detail17trampoline_kernelINS0_14default_configENS1_27scan_by_key_config_selectorIiiEEZZNS1_16scan_by_key_implILNS1_25lookback_scan_determinismE0ELb0ES3_N6thrust23THRUST_200600_302600_NS16reverse_iteratorIPKiEESD_NSA_IPiEEiN6hipcub16HIPCUB_304000_NS3MaxENSH_8EqualityEiEE10hipError_tPvRmT2_T3_T4_T5_mT6_T7_P12ihipStream_tbENKUlT_T0_E_clISt17integral_constantIbLb1EESZ_IbLb0EEEEDaSV_SW_EUlSV_E_NS1_11comp_targetILNS1_3genE9ELNS1_11target_archE1100ELNS1_3gpuE3ELNS1_3repE0EEENS1_30default_config_static_selectorELNS0_4arch9wavefront6targetE0EEEvT1_.num_agpr, 0
	.set _ZN7rocprim17ROCPRIM_400000_NS6detail17trampoline_kernelINS0_14default_configENS1_27scan_by_key_config_selectorIiiEEZZNS1_16scan_by_key_implILNS1_25lookback_scan_determinismE0ELb0ES3_N6thrust23THRUST_200600_302600_NS16reverse_iteratorIPKiEESD_NSA_IPiEEiN6hipcub16HIPCUB_304000_NS3MaxENSH_8EqualityEiEE10hipError_tPvRmT2_T3_T4_T5_mT6_T7_P12ihipStream_tbENKUlT_T0_E_clISt17integral_constantIbLb1EESZ_IbLb0EEEEDaSV_SW_EUlSV_E_NS1_11comp_targetILNS1_3genE9ELNS1_11target_archE1100ELNS1_3gpuE3ELNS1_3repE0EEENS1_30default_config_static_selectorELNS0_4arch9wavefront6targetE0EEEvT1_.numbered_sgpr, 0
	.set _ZN7rocprim17ROCPRIM_400000_NS6detail17trampoline_kernelINS0_14default_configENS1_27scan_by_key_config_selectorIiiEEZZNS1_16scan_by_key_implILNS1_25lookback_scan_determinismE0ELb0ES3_N6thrust23THRUST_200600_302600_NS16reverse_iteratorIPKiEESD_NSA_IPiEEiN6hipcub16HIPCUB_304000_NS3MaxENSH_8EqualityEiEE10hipError_tPvRmT2_T3_T4_T5_mT6_T7_P12ihipStream_tbENKUlT_T0_E_clISt17integral_constantIbLb1EESZ_IbLb0EEEEDaSV_SW_EUlSV_E_NS1_11comp_targetILNS1_3genE9ELNS1_11target_archE1100ELNS1_3gpuE3ELNS1_3repE0EEENS1_30default_config_static_selectorELNS0_4arch9wavefront6targetE0EEEvT1_.num_named_barrier, 0
	.set _ZN7rocprim17ROCPRIM_400000_NS6detail17trampoline_kernelINS0_14default_configENS1_27scan_by_key_config_selectorIiiEEZZNS1_16scan_by_key_implILNS1_25lookback_scan_determinismE0ELb0ES3_N6thrust23THRUST_200600_302600_NS16reverse_iteratorIPKiEESD_NSA_IPiEEiN6hipcub16HIPCUB_304000_NS3MaxENSH_8EqualityEiEE10hipError_tPvRmT2_T3_T4_T5_mT6_T7_P12ihipStream_tbENKUlT_T0_E_clISt17integral_constantIbLb1EESZ_IbLb0EEEEDaSV_SW_EUlSV_E_NS1_11comp_targetILNS1_3genE9ELNS1_11target_archE1100ELNS1_3gpuE3ELNS1_3repE0EEENS1_30default_config_static_selectorELNS0_4arch9wavefront6targetE0EEEvT1_.private_seg_size, 0
	.set _ZN7rocprim17ROCPRIM_400000_NS6detail17trampoline_kernelINS0_14default_configENS1_27scan_by_key_config_selectorIiiEEZZNS1_16scan_by_key_implILNS1_25lookback_scan_determinismE0ELb0ES3_N6thrust23THRUST_200600_302600_NS16reverse_iteratorIPKiEESD_NSA_IPiEEiN6hipcub16HIPCUB_304000_NS3MaxENSH_8EqualityEiEE10hipError_tPvRmT2_T3_T4_T5_mT6_T7_P12ihipStream_tbENKUlT_T0_E_clISt17integral_constantIbLb1EESZ_IbLb0EEEEDaSV_SW_EUlSV_E_NS1_11comp_targetILNS1_3genE9ELNS1_11target_archE1100ELNS1_3gpuE3ELNS1_3repE0EEENS1_30default_config_static_selectorELNS0_4arch9wavefront6targetE0EEEvT1_.uses_vcc, 0
	.set _ZN7rocprim17ROCPRIM_400000_NS6detail17trampoline_kernelINS0_14default_configENS1_27scan_by_key_config_selectorIiiEEZZNS1_16scan_by_key_implILNS1_25lookback_scan_determinismE0ELb0ES3_N6thrust23THRUST_200600_302600_NS16reverse_iteratorIPKiEESD_NSA_IPiEEiN6hipcub16HIPCUB_304000_NS3MaxENSH_8EqualityEiEE10hipError_tPvRmT2_T3_T4_T5_mT6_T7_P12ihipStream_tbENKUlT_T0_E_clISt17integral_constantIbLb1EESZ_IbLb0EEEEDaSV_SW_EUlSV_E_NS1_11comp_targetILNS1_3genE9ELNS1_11target_archE1100ELNS1_3gpuE3ELNS1_3repE0EEENS1_30default_config_static_selectorELNS0_4arch9wavefront6targetE0EEEvT1_.uses_flat_scratch, 0
	.set _ZN7rocprim17ROCPRIM_400000_NS6detail17trampoline_kernelINS0_14default_configENS1_27scan_by_key_config_selectorIiiEEZZNS1_16scan_by_key_implILNS1_25lookback_scan_determinismE0ELb0ES3_N6thrust23THRUST_200600_302600_NS16reverse_iteratorIPKiEESD_NSA_IPiEEiN6hipcub16HIPCUB_304000_NS3MaxENSH_8EqualityEiEE10hipError_tPvRmT2_T3_T4_T5_mT6_T7_P12ihipStream_tbENKUlT_T0_E_clISt17integral_constantIbLb1EESZ_IbLb0EEEEDaSV_SW_EUlSV_E_NS1_11comp_targetILNS1_3genE9ELNS1_11target_archE1100ELNS1_3gpuE3ELNS1_3repE0EEENS1_30default_config_static_selectorELNS0_4arch9wavefront6targetE0EEEvT1_.has_dyn_sized_stack, 0
	.set _ZN7rocprim17ROCPRIM_400000_NS6detail17trampoline_kernelINS0_14default_configENS1_27scan_by_key_config_selectorIiiEEZZNS1_16scan_by_key_implILNS1_25lookback_scan_determinismE0ELb0ES3_N6thrust23THRUST_200600_302600_NS16reverse_iteratorIPKiEESD_NSA_IPiEEiN6hipcub16HIPCUB_304000_NS3MaxENSH_8EqualityEiEE10hipError_tPvRmT2_T3_T4_T5_mT6_T7_P12ihipStream_tbENKUlT_T0_E_clISt17integral_constantIbLb1EESZ_IbLb0EEEEDaSV_SW_EUlSV_E_NS1_11comp_targetILNS1_3genE9ELNS1_11target_archE1100ELNS1_3gpuE3ELNS1_3repE0EEENS1_30default_config_static_selectorELNS0_4arch9wavefront6targetE0EEEvT1_.has_recursion, 0
	.set _ZN7rocprim17ROCPRIM_400000_NS6detail17trampoline_kernelINS0_14default_configENS1_27scan_by_key_config_selectorIiiEEZZNS1_16scan_by_key_implILNS1_25lookback_scan_determinismE0ELb0ES3_N6thrust23THRUST_200600_302600_NS16reverse_iteratorIPKiEESD_NSA_IPiEEiN6hipcub16HIPCUB_304000_NS3MaxENSH_8EqualityEiEE10hipError_tPvRmT2_T3_T4_T5_mT6_T7_P12ihipStream_tbENKUlT_T0_E_clISt17integral_constantIbLb1EESZ_IbLb0EEEEDaSV_SW_EUlSV_E_NS1_11comp_targetILNS1_3genE9ELNS1_11target_archE1100ELNS1_3gpuE3ELNS1_3repE0EEENS1_30default_config_static_selectorELNS0_4arch9wavefront6targetE0EEEvT1_.has_indirect_call, 0
	.section	.AMDGPU.csdata,"",@progbits
; Kernel info:
; codeLenInByte = 0
; TotalNumSgprs: 0
; NumVgprs: 0
; ScratchSize: 0
; MemoryBound: 0
; FloatMode: 240
; IeeeMode: 1
; LDSByteSize: 0 bytes/workgroup (compile time only)
; SGPRBlocks: 0
; VGPRBlocks: 0
; NumSGPRsForWavesPerEU: 1
; NumVGPRsForWavesPerEU: 1
; NamedBarCnt: 0
; Occupancy: 16
; WaveLimiterHint : 0
; COMPUTE_PGM_RSRC2:SCRATCH_EN: 0
; COMPUTE_PGM_RSRC2:USER_SGPR: 2
; COMPUTE_PGM_RSRC2:TRAP_HANDLER: 0
; COMPUTE_PGM_RSRC2:TGID_X_EN: 1
; COMPUTE_PGM_RSRC2:TGID_Y_EN: 0
; COMPUTE_PGM_RSRC2:TGID_Z_EN: 0
; COMPUTE_PGM_RSRC2:TIDIG_COMP_CNT: 0
	.section	.text._ZN7rocprim17ROCPRIM_400000_NS6detail17trampoline_kernelINS0_14default_configENS1_27scan_by_key_config_selectorIiiEEZZNS1_16scan_by_key_implILNS1_25lookback_scan_determinismE0ELb0ES3_N6thrust23THRUST_200600_302600_NS16reverse_iteratorIPKiEESD_NSA_IPiEEiN6hipcub16HIPCUB_304000_NS3MaxENSH_8EqualityEiEE10hipError_tPvRmT2_T3_T4_T5_mT6_T7_P12ihipStream_tbENKUlT_T0_E_clISt17integral_constantIbLb1EESZ_IbLb0EEEEDaSV_SW_EUlSV_E_NS1_11comp_targetILNS1_3genE8ELNS1_11target_archE1030ELNS1_3gpuE2ELNS1_3repE0EEENS1_30default_config_static_selectorELNS0_4arch9wavefront6targetE0EEEvT1_,"axG",@progbits,_ZN7rocprim17ROCPRIM_400000_NS6detail17trampoline_kernelINS0_14default_configENS1_27scan_by_key_config_selectorIiiEEZZNS1_16scan_by_key_implILNS1_25lookback_scan_determinismE0ELb0ES3_N6thrust23THRUST_200600_302600_NS16reverse_iteratorIPKiEESD_NSA_IPiEEiN6hipcub16HIPCUB_304000_NS3MaxENSH_8EqualityEiEE10hipError_tPvRmT2_T3_T4_T5_mT6_T7_P12ihipStream_tbENKUlT_T0_E_clISt17integral_constantIbLb1EESZ_IbLb0EEEEDaSV_SW_EUlSV_E_NS1_11comp_targetILNS1_3genE8ELNS1_11target_archE1030ELNS1_3gpuE2ELNS1_3repE0EEENS1_30default_config_static_selectorELNS0_4arch9wavefront6targetE0EEEvT1_,comdat
	.protected	_ZN7rocprim17ROCPRIM_400000_NS6detail17trampoline_kernelINS0_14default_configENS1_27scan_by_key_config_selectorIiiEEZZNS1_16scan_by_key_implILNS1_25lookback_scan_determinismE0ELb0ES3_N6thrust23THRUST_200600_302600_NS16reverse_iteratorIPKiEESD_NSA_IPiEEiN6hipcub16HIPCUB_304000_NS3MaxENSH_8EqualityEiEE10hipError_tPvRmT2_T3_T4_T5_mT6_T7_P12ihipStream_tbENKUlT_T0_E_clISt17integral_constantIbLb1EESZ_IbLb0EEEEDaSV_SW_EUlSV_E_NS1_11comp_targetILNS1_3genE8ELNS1_11target_archE1030ELNS1_3gpuE2ELNS1_3repE0EEENS1_30default_config_static_selectorELNS0_4arch9wavefront6targetE0EEEvT1_ ; -- Begin function _ZN7rocprim17ROCPRIM_400000_NS6detail17trampoline_kernelINS0_14default_configENS1_27scan_by_key_config_selectorIiiEEZZNS1_16scan_by_key_implILNS1_25lookback_scan_determinismE0ELb0ES3_N6thrust23THRUST_200600_302600_NS16reverse_iteratorIPKiEESD_NSA_IPiEEiN6hipcub16HIPCUB_304000_NS3MaxENSH_8EqualityEiEE10hipError_tPvRmT2_T3_T4_T5_mT6_T7_P12ihipStream_tbENKUlT_T0_E_clISt17integral_constantIbLb1EESZ_IbLb0EEEEDaSV_SW_EUlSV_E_NS1_11comp_targetILNS1_3genE8ELNS1_11target_archE1030ELNS1_3gpuE2ELNS1_3repE0EEENS1_30default_config_static_selectorELNS0_4arch9wavefront6targetE0EEEvT1_
	.globl	_ZN7rocprim17ROCPRIM_400000_NS6detail17trampoline_kernelINS0_14default_configENS1_27scan_by_key_config_selectorIiiEEZZNS1_16scan_by_key_implILNS1_25lookback_scan_determinismE0ELb0ES3_N6thrust23THRUST_200600_302600_NS16reverse_iteratorIPKiEESD_NSA_IPiEEiN6hipcub16HIPCUB_304000_NS3MaxENSH_8EqualityEiEE10hipError_tPvRmT2_T3_T4_T5_mT6_T7_P12ihipStream_tbENKUlT_T0_E_clISt17integral_constantIbLb1EESZ_IbLb0EEEEDaSV_SW_EUlSV_E_NS1_11comp_targetILNS1_3genE8ELNS1_11target_archE1030ELNS1_3gpuE2ELNS1_3repE0EEENS1_30default_config_static_selectorELNS0_4arch9wavefront6targetE0EEEvT1_
	.p2align	8
	.type	_ZN7rocprim17ROCPRIM_400000_NS6detail17trampoline_kernelINS0_14default_configENS1_27scan_by_key_config_selectorIiiEEZZNS1_16scan_by_key_implILNS1_25lookback_scan_determinismE0ELb0ES3_N6thrust23THRUST_200600_302600_NS16reverse_iteratorIPKiEESD_NSA_IPiEEiN6hipcub16HIPCUB_304000_NS3MaxENSH_8EqualityEiEE10hipError_tPvRmT2_T3_T4_T5_mT6_T7_P12ihipStream_tbENKUlT_T0_E_clISt17integral_constantIbLb1EESZ_IbLb0EEEEDaSV_SW_EUlSV_E_NS1_11comp_targetILNS1_3genE8ELNS1_11target_archE1030ELNS1_3gpuE2ELNS1_3repE0EEENS1_30default_config_static_selectorELNS0_4arch9wavefront6targetE0EEEvT1_,@function
_ZN7rocprim17ROCPRIM_400000_NS6detail17trampoline_kernelINS0_14default_configENS1_27scan_by_key_config_selectorIiiEEZZNS1_16scan_by_key_implILNS1_25lookback_scan_determinismE0ELb0ES3_N6thrust23THRUST_200600_302600_NS16reverse_iteratorIPKiEESD_NSA_IPiEEiN6hipcub16HIPCUB_304000_NS3MaxENSH_8EqualityEiEE10hipError_tPvRmT2_T3_T4_T5_mT6_T7_P12ihipStream_tbENKUlT_T0_E_clISt17integral_constantIbLb1EESZ_IbLb0EEEEDaSV_SW_EUlSV_E_NS1_11comp_targetILNS1_3genE8ELNS1_11target_archE1030ELNS1_3gpuE2ELNS1_3repE0EEENS1_30default_config_static_selectorELNS0_4arch9wavefront6targetE0EEEvT1_: ; @_ZN7rocprim17ROCPRIM_400000_NS6detail17trampoline_kernelINS0_14default_configENS1_27scan_by_key_config_selectorIiiEEZZNS1_16scan_by_key_implILNS1_25lookback_scan_determinismE0ELb0ES3_N6thrust23THRUST_200600_302600_NS16reverse_iteratorIPKiEESD_NSA_IPiEEiN6hipcub16HIPCUB_304000_NS3MaxENSH_8EqualityEiEE10hipError_tPvRmT2_T3_T4_T5_mT6_T7_P12ihipStream_tbENKUlT_T0_E_clISt17integral_constantIbLb1EESZ_IbLb0EEEEDaSV_SW_EUlSV_E_NS1_11comp_targetILNS1_3genE8ELNS1_11target_archE1030ELNS1_3gpuE2ELNS1_3repE0EEENS1_30default_config_static_selectorELNS0_4arch9wavefront6targetE0EEEvT1_
; %bb.0:
	.section	.rodata,"a",@progbits
	.p2align	6, 0x0
	.amdhsa_kernel _ZN7rocprim17ROCPRIM_400000_NS6detail17trampoline_kernelINS0_14default_configENS1_27scan_by_key_config_selectorIiiEEZZNS1_16scan_by_key_implILNS1_25lookback_scan_determinismE0ELb0ES3_N6thrust23THRUST_200600_302600_NS16reverse_iteratorIPKiEESD_NSA_IPiEEiN6hipcub16HIPCUB_304000_NS3MaxENSH_8EqualityEiEE10hipError_tPvRmT2_T3_T4_T5_mT6_T7_P12ihipStream_tbENKUlT_T0_E_clISt17integral_constantIbLb1EESZ_IbLb0EEEEDaSV_SW_EUlSV_E_NS1_11comp_targetILNS1_3genE8ELNS1_11target_archE1030ELNS1_3gpuE2ELNS1_3repE0EEENS1_30default_config_static_selectorELNS0_4arch9wavefront6targetE0EEEvT1_
		.amdhsa_group_segment_fixed_size 0
		.amdhsa_private_segment_fixed_size 0
		.amdhsa_kernarg_size 112
		.amdhsa_user_sgpr_count 2
		.amdhsa_user_sgpr_dispatch_ptr 0
		.amdhsa_user_sgpr_queue_ptr 0
		.amdhsa_user_sgpr_kernarg_segment_ptr 1
		.amdhsa_user_sgpr_dispatch_id 0
		.amdhsa_user_sgpr_kernarg_preload_length 0
		.amdhsa_user_sgpr_kernarg_preload_offset 0
		.amdhsa_user_sgpr_private_segment_size 0
		.amdhsa_wavefront_size32 1
		.amdhsa_uses_dynamic_stack 0
		.amdhsa_enable_private_segment 0
		.amdhsa_system_sgpr_workgroup_id_x 1
		.amdhsa_system_sgpr_workgroup_id_y 0
		.amdhsa_system_sgpr_workgroup_id_z 0
		.amdhsa_system_sgpr_workgroup_info 0
		.amdhsa_system_vgpr_workitem_id 0
		.amdhsa_next_free_vgpr 1
		.amdhsa_next_free_sgpr 1
		.amdhsa_named_barrier_count 0
		.amdhsa_reserve_vcc 0
		.amdhsa_float_round_mode_32 0
		.amdhsa_float_round_mode_16_64 0
		.amdhsa_float_denorm_mode_32 3
		.amdhsa_float_denorm_mode_16_64 3
		.amdhsa_fp16_overflow 0
		.amdhsa_memory_ordered 1
		.amdhsa_forward_progress 1
		.amdhsa_inst_pref_size 0
		.amdhsa_round_robin_scheduling 0
		.amdhsa_exception_fp_ieee_invalid_op 0
		.amdhsa_exception_fp_denorm_src 0
		.amdhsa_exception_fp_ieee_div_zero 0
		.amdhsa_exception_fp_ieee_overflow 0
		.amdhsa_exception_fp_ieee_underflow 0
		.amdhsa_exception_fp_ieee_inexact 0
		.amdhsa_exception_int_div_zero 0
	.end_amdhsa_kernel
	.section	.text._ZN7rocprim17ROCPRIM_400000_NS6detail17trampoline_kernelINS0_14default_configENS1_27scan_by_key_config_selectorIiiEEZZNS1_16scan_by_key_implILNS1_25lookback_scan_determinismE0ELb0ES3_N6thrust23THRUST_200600_302600_NS16reverse_iteratorIPKiEESD_NSA_IPiEEiN6hipcub16HIPCUB_304000_NS3MaxENSH_8EqualityEiEE10hipError_tPvRmT2_T3_T4_T5_mT6_T7_P12ihipStream_tbENKUlT_T0_E_clISt17integral_constantIbLb1EESZ_IbLb0EEEEDaSV_SW_EUlSV_E_NS1_11comp_targetILNS1_3genE8ELNS1_11target_archE1030ELNS1_3gpuE2ELNS1_3repE0EEENS1_30default_config_static_selectorELNS0_4arch9wavefront6targetE0EEEvT1_,"axG",@progbits,_ZN7rocprim17ROCPRIM_400000_NS6detail17trampoline_kernelINS0_14default_configENS1_27scan_by_key_config_selectorIiiEEZZNS1_16scan_by_key_implILNS1_25lookback_scan_determinismE0ELb0ES3_N6thrust23THRUST_200600_302600_NS16reverse_iteratorIPKiEESD_NSA_IPiEEiN6hipcub16HIPCUB_304000_NS3MaxENSH_8EqualityEiEE10hipError_tPvRmT2_T3_T4_T5_mT6_T7_P12ihipStream_tbENKUlT_T0_E_clISt17integral_constantIbLb1EESZ_IbLb0EEEEDaSV_SW_EUlSV_E_NS1_11comp_targetILNS1_3genE8ELNS1_11target_archE1030ELNS1_3gpuE2ELNS1_3repE0EEENS1_30default_config_static_selectorELNS0_4arch9wavefront6targetE0EEEvT1_,comdat
.Lfunc_end81:
	.size	_ZN7rocprim17ROCPRIM_400000_NS6detail17trampoline_kernelINS0_14default_configENS1_27scan_by_key_config_selectorIiiEEZZNS1_16scan_by_key_implILNS1_25lookback_scan_determinismE0ELb0ES3_N6thrust23THRUST_200600_302600_NS16reverse_iteratorIPKiEESD_NSA_IPiEEiN6hipcub16HIPCUB_304000_NS3MaxENSH_8EqualityEiEE10hipError_tPvRmT2_T3_T4_T5_mT6_T7_P12ihipStream_tbENKUlT_T0_E_clISt17integral_constantIbLb1EESZ_IbLb0EEEEDaSV_SW_EUlSV_E_NS1_11comp_targetILNS1_3genE8ELNS1_11target_archE1030ELNS1_3gpuE2ELNS1_3repE0EEENS1_30default_config_static_selectorELNS0_4arch9wavefront6targetE0EEEvT1_, .Lfunc_end81-_ZN7rocprim17ROCPRIM_400000_NS6detail17trampoline_kernelINS0_14default_configENS1_27scan_by_key_config_selectorIiiEEZZNS1_16scan_by_key_implILNS1_25lookback_scan_determinismE0ELb0ES3_N6thrust23THRUST_200600_302600_NS16reverse_iteratorIPKiEESD_NSA_IPiEEiN6hipcub16HIPCUB_304000_NS3MaxENSH_8EqualityEiEE10hipError_tPvRmT2_T3_T4_T5_mT6_T7_P12ihipStream_tbENKUlT_T0_E_clISt17integral_constantIbLb1EESZ_IbLb0EEEEDaSV_SW_EUlSV_E_NS1_11comp_targetILNS1_3genE8ELNS1_11target_archE1030ELNS1_3gpuE2ELNS1_3repE0EEENS1_30default_config_static_selectorELNS0_4arch9wavefront6targetE0EEEvT1_
                                        ; -- End function
	.set _ZN7rocprim17ROCPRIM_400000_NS6detail17trampoline_kernelINS0_14default_configENS1_27scan_by_key_config_selectorIiiEEZZNS1_16scan_by_key_implILNS1_25lookback_scan_determinismE0ELb0ES3_N6thrust23THRUST_200600_302600_NS16reverse_iteratorIPKiEESD_NSA_IPiEEiN6hipcub16HIPCUB_304000_NS3MaxENSH_8EqualityEiEE10hipError_tPvRmT2_T3_T4_T5_mT6_T7_P12ihipStream_tbENKUlT_T0_E_clISt17integral_constantIbLb1EESZ_IbLb0EEEEDaSV_SW_EUlSV_E_NS1_11comp_targetILNS1_3genE8ELNS1_11target_archE1030ELNS1_3gpuE2ELNS1_3repE0EEENS1_30default_config_static_selectorELNS0_4arch9wavefront6targetE0EEEvT1_.num_vgpr, 0
	.set _ZN7rocprim17ROCPRIM_400000_NS6detail17trampoline_kernelINS0_14default_configENS1_27scan_by_key_config_selectorIiiEEZZNS1_16scan_by_key_implILNS1_25lookback_scan_determinismE0ELb0ES3_N6thrust23THRUST_200600_302600_NS16reverse_iteratorIPKiEESD_NSA_IPiEEiN6hipcub16HIPCUB_304000_NS3MaxENSH_8EqualityEiEE10hipError_tPvRmT2_T3_T4_T5_mT6_T7_P12ihipStream_tbENKUlT_T0_E_clISt17integral_constantIbLb1EESZ_IbLb0EEEEDaSV_SW_EUlSV_E_NS1_11comp_targetILNS1_3genE8ELNS1_11target_archE1030ELNS1_3gpuE2ELNS1_3repE0EEENS1_30default_config_static_selectorELNS0_4arch9wavefront6targetE0EEEvT1_.num_agpr, 0
	.set _ZN7rocprim17ROCPRIM_400000_NS6detail17trampoline_kernelINS0_14default_configENS1_27scan_by_key_config_selectorIiiEEZZNS1_16scan_by_key_implILNS1_25lookback_scan_determinismE0ELb0ES3_N6thrust23THRUST_200600_302600_NS16reverse_iteratorIPKiEESD_NSA_IPiEEiN6hipcub16HIPCUB_304000_NS3MaxENSH_8EqualityEiEE10hipError_tPvRmT2_T3_T4_T5_mT6_T7_P12ihipStream_tbENKUlT_T0_E_clISt17integral_constantIbLb1EESZ_IbLb0EEEEDaSV_SW_EUlSV_E_NS1_11comp_targetILNS1_3genE8ELNS1_11target_archE1030ELNS1_3gpuE2ELNS1_3repE0EEENS1_30default_config_static_selectorELNS0_4arch9wavefront6targetE0EEEvT1_.numbered_sgpr, 0
	.set _ZN7rocprim17ROCPRIM_400000_NS6detail17trampoline_kernelINS0_14default_configENS1_27scan_by_key_config_selectorIiiEEZZNS1_16scan_by_key_implILNS1_25lookback_scan_determinismE0ELb0ES3_N6thrust23THRUST_200600_302600_NS16reverse_iteratorIPKiEESD_NSA_IPiEEiN6hipcub16HIPCUB_304000_NS3MaxENSH_8EqualityEiEE10hipError_tPvRmT2_T3_T4_T5_mT6_T7_P12ihipStream_tbENKUlT_T0_E_clISt17integral_constantIbLb1EESZ_IbLb0EEEEDaSV_SW_EUlSV_E_NS1_11comp_targetILNS1_3genE8ELNS1_11target_archE1030ELNS1_3gpuE2ELNS1_3repE0EEENS1_30default_config_static_selectorELNS0_4arch9wavefront6targetE0EEEvT1_.num_named_barrier, 0
	.set _ZN7rocprim17ROCPRIM_400000_NS6detail17trampoline_kernelINS0_14default_configENS1_27scan_by_key_config_selectorIiiEEZZNS1_16scan_by_key_implILNS1_25lookback_scan_determinismE0ELb0ES3_N6thrust23THRUST_200600_302600_NS16reverse_iteratorIPKiEESD_NSA_IPiEEiN6hipcub16HIPCUB_304000_NS3MaxENSH_8EqualityEiEE10hipError_tPvRmT2_T3_T4_T5_mT6_T7_P12ihipStream_tbENKUlT_T0_E_clISt17integral_constantIbLb1EESZ_IbLb0EEEEDaSV_SW_EUlSV_E_NS1_11comp_targetILNS1_3genE8ELNS1_11target_archE1030ELNS1_3gpuE2ELNS1_3repE0EEENS1_30default_config_static_selectorELNS0_4arch9wavefront6targetE0EEEvT1_.private_seg_size, 0
	.set _ZN7rocprim17ROCPRIM_400000_NS6detail17trampoline_kernelINS0_14default_configENS1_27scan_by_key_config_selectorIiiEEZZNS1_16scan_by_key_implILNS1_25lookback_scan_determinismE0ELb0ES3_N6thrust23THRUST_200600_302600_NS16reverse_iteratorIPKiEESD_NSA_IPiEEiN6hipcub16HIPCUB_304000_NS3MaxENSH_8EqualityEiEE10hipError_tPvRmT2_T3_T4_T5_mT6_T7_P12ihipStream_tbENKUlT_T0_E_clISt17integral_constantIbLb1EESZ_IbLb0EEEEDaSV_SW_EUlSV_E_NS1_11comp_targetILNS1_3genE8ELNS1_11target_archE1030ELNS1_3gpuE2ELNS1_3repE0EEENS1_30default_config_static_selectorELNS0_4arch9wavefront6targetE0EEEvT1_.uses_vcc, 0
	.set _ZN7rocprim17ROCPRIM_400000_NS6detail17trampoline_kernelINS0_14default_configENS1_27scan_by_key_config_selectorIiiEEZZNS1_16scan_by_key_implILNS1_25lookback_scan_determinismE0ELb0ES3_N6thrust23THRUST_200600_302600_NS16reverse_iteratorIPKiEESD_NSA_IPiEEiN6hipcub16HIPCUB_304000_NS3MaxENSH_8EqualityEiEE10hipError_tPvRmT2_T3_T4_T5_mT6_T7_P12ihipStream_tbENKUlT_T0_E_clISt17integral_constantIbLb1EESZ_IbLb0EEEEDaSV_SW_EUlSV_E_NS1_11comp_targetILNS1_3genE8ELNS1_11target_archE1030ELNS1_3gpuE2ELNS1_3repE0EEENS1_30default_config_static_selectorELNS0_4arch9wavefront6targetE0EEEvT1_.uses_flat_scratch, 0
	.set _ZN7rocprim17ROCPRIM_400000_NS6detail17trampoline_kernelINS0_14default_configENS1_27scan_by_key_config_selectorIiiEEZZNS1_16scan_by_key_implILNS1_25lookback_scan_determinismE0ELb0ES3_N6thrust23THRUST_200600_302600_NS16reverse_iteratorIPKiEESD_NSA_IPiEEiN6hipcub16HIPCUB_304000_NS3MaxENSH_8EqualityEiEE10hipError_tPvRmT2_T3_T4_T5_mT6_T7_P12ihipStream_tbENKUlT_T0_E_clISt17integral_constantIbLb1EESZ_IbLb0EEEEDaSV_SW_EUlSV_E_NS1_11comp_targetILNS1_3genE8ELNS1_11target_archE1030ELNS1_3gpuE2ELNS1_3repE0EEENS1_30default_config_static_selectorELNS0_4arch9wavefront6targetE0EEEvT1_.has_dyn_sized_stack, 0
	.set _ZN7rocprim17ROCPRIM_400000_NS6detail17trampoline_kernelINS0_14default_configENS1_27scan_by_key_config_selectorIiiEEZZNS1_16scan_by_key_implILNS1_25lookback_scan_determinismE0ELb0ES3_N6thrust23THRUST_200600_302600_NS16reverse_iteratorIPKiEESD_NSA_IPiEEiN6hipcub16HIPCUB_304000_NS3MaxENSH_8EqualityEiEE10hipError_tPvRmT2_T3_T4_T5_mT6_T7_P12ihipStream_tbENKUlT_T0_E_clISt17integral_constantIbLb1EESZ_IbLb0EEEEDaSV_SW_EUlSV_E_NS1_11comp_targetILNS1_3genE8ELNS1_11target_archE1030ELNS1_3gpuE2ELNS1_3repE0EEENS1_30default_config_static_selectorELNS0_4arch9wavefront6targetE0EEEvT1_.has_recursion, 0
	.set _ZN7rocprim17ROCPRIM_400000_NS6detail17trampoline_kernelINS0_14default_configENS1_27scan_by_key_config_selectorIiiEEZZNS1_16scan_by_key_implILNS1_25lookback_scan_determinismE0ELb0ES3_N6thrust23THRUST_200600_302600_NS16reverse_iteratorIPKiEESD_NSA_IPiEEiN6hipcub16HIPCUB_304000_NS3MaxENSH_8EqualityEiEE10hipError_tPvRmT2_T3_T4_T5_mT6_T7_P12ihipStream_tbENKUlT_T0_E_clISt17integral_constantIbLb1EESZ_IbLb0EEEEDaSV_SW_EUlSV_E_NS1_11comp_targetILNS1_3genE8ELNS1_11target_archE1030ELNS1_3gpuE2ELNS1_3repE0EEENS1_30default_config_static_selectorELNS0_4arch9wavefront6targetE0EEEvT1_.has_indirect_call, 0
	.section	.AMDGPU.csdata,"",@progbits
; Kernel info:
; codeLenInByte = 0
; TotalNumSgprs: 0
; NumVgprs: 0
; ScratchSize: 0
; MemoryBound: 0
; FloatMode: 240
; IeeeMode: 1
; LDSByteSize: 0 bytes/workgroup (compile time only)
; SGPRBlocks: 0
; VGPRBlocks: 0
; NumSGPRsForWavesPerEU: 1
; NumVGPRsForWavesPerEU: 1
; NamedBarCnt: 0
; Occupancy: 16
; WaveLimiterHint : 0
; COMPUTE_PGM_RSRC2:SCRATCH_EN: 0
; COMPUTE_PGM_RSRC2:USER_SGPR: 2
; COMPUTE_PGM_RSRC2:TRAP_HANDLER: 0
; COMPUTE_PGM_RSRC2:TGID_X_EN: 1
; COMPUTE_PGM_RSRC2:TGID_Y_EN: 0
; COMPUTE_PGM_RSRC2:TGID_Z_EN: 0
; COMPUTE_PGM_RSRC2:TIDIG_COMP_CNT: 0
	.section	.text._ZN7rocprim17ROCPRIM_400000_NS6detail30init_device_scan_by_key_kernelINS1_19lookback_scan_stateINS0_5tupleIJibEEELb0ELb1EEEN6thrust23THRUST_200600_302600_NS16reverse_iteratorIPKiEEjNS1_16block_id_wrapperIjLb1EEEEEvT_jjPNSF_10value_typeET0_PNSt15iterator_traitsISI_E10value_typeEmT1_T2_,"axG",@progbits,_ZN7rocprim17ROCPRIM_400000_NS6detail30init_device_scan_by_key_kernelINS1_19lookback_scan_stateINS0_5tupleIJibEEELb0ELb1EEEN6thrust23THRUST_200600_302600_NS16reverse_iteratorIPKiEEjNS1_16block_id_wrapperIjLb1EEEEEvT_jjPNSF_10value_typeET0_PNSt15iterator_traitsISI_E10value_typeEmT1_T2_,comdat
	.protected	_ZN7rocprim17ROCPRIM_400000_NS6detail30init_device_scan_by_key_kernelINS1_19lookback_scan_stateINS0_5tupleIJibEEELb0ELb1EEEN6thrust23THRUST_200600_302600_NS16reverse_iteratorIPKiEEjNS1_16block_id_wrapperIjLb1EEEEEvT_jjPNSF_10value_typeET0_PNSt15iterator_traitsISI_E10value_typeEmT1_T2_ ; -- Begin function _ZN7rocprim17ROCPRIM_400000_NS6detail30init_device_scan_by_key_kernelINS1_19lookback_scan_stateINS0_5tupleIJibEEELb0ELb1EEEN6thrust23THRUST_200600_302600_NS16reverse_iteratorIPKiEEjNS1_16block_id_wrapperIjLb1EEEEEvT_jjPNSF_10value_typeET0_PNSt15iterator_traitsISI_E10value_typeEmT1_T2_
	.globl	_ZN7rocprim17ROCPRIM_400000_NS6detail30init_device_scan_by_key_kernelINS1_19lookback_scan_stateINS0_5tupleIJibEEELb0ELb1EEEN6thrust23THRUST_200600_302600_NS16reverse_iteratorIPKiEEjNS1_16block_id_wrapperIjLb1EEEEEvT_jjPNSF_10value_typeET0_PNSt15iterator_traitsISI_E10value_typeEmT1_T2_
	.p2align	8
	.type	_ZN7rocprim17ROCPRIM_400000_NS6detail30init_device_scan_by_key_kernelINS1_19lookback_scan_stateINS0_5tupleIJibEEELb0ELb1EEEN6thrust23THRUST_200600_302600_NS16reverse_iteratorIPKiEEjNS1_16block_id_wrapperIjLb1EEEEEvT_jjPNSF_10value_typeET0_PNSt15iterator_traitsISI_E10value_typeEmT1_T2_,@function
_ZN7rocprim17ROCPRIM_400000_NS6detail30init_device_scan_by_key_kernelINS1_19lookback_scan_stateINS0_5tupleIJibEEELb0ELb1EEEN6thrust23THRUST_200600_302600_NS16reverse_iteratorIPKiEEjNS1_16block_id_wrapperIjLb1EEEEEvT_jjPNSF_10value_typeET0_PNSt15iterator_traitsISI_E10value_typeEmT1_T2_: ; @_ZN7rocprim17ROCPRIM_400000_NS6detail30init_device_scan_by_key_kernelINS1_19lookback_scan_stateINS0_5tupleIJibEEELb0ELb1EEEN6thrust23THRUST_200600_302600_NS16reverse_iteratorIPKiEEjNS1_16block_id_wrapperIjLb1EEEEEvT_jjPNSF_10value_typeET0_PNSt15iterator_traitsISI_E10value_typeEmT1_T2_
; %bb.0:
	s_clause 0x2
	s_load_b32 s2, s[0:1], 0x4c
	s_load_b32 s14, s[0:1], 0x40
	s_load_b256 s[4:11], s[0:1], 0x0
	s_bfe_u32 s3, ttmp6, 0x4000c
	s_and_b32 s12, ttmp6, 15
	s_add_co_i32 s3, s3, 1
	s_getreg_b32 s13, hwreg(HW_REG_IB_STS2, 6, 4)
	s_mul_i32 s3, ttmp9, s3
	s_delay_alu instid0(SALU_CYCLE_1)
	s_add_co_i32 s12, s12, s3
	s_wait_kmcnt 0x0
	s_and_b32 s15, s2, 0xffff
	s_cmp_eq_u32 s13, 0
	s_cselect_b32 s2, ttmp9, s12
	s_cmp_eq_u64 s[8:9], 0
	v_mad_u32 v4, s2, s15, v0
	s_cbranch_scc1 .LBB82_8
; %bb.1:
	s_cmp_lt_u32 s7, s6
	s_mov_b32 s16, exec_lo
	s_cselect_b32 s2, s7, 0
	s_delay_alu instid0(VALU_DEP_1) | instid1(SALU_CYCLE_1)
	v_cmpx_eq_u32_e64 s2, v4
	s_cbranch_execz .LBB82_7
; %bb.2:
	s_add_co_i32 s2, s7, 32
	s_mov_b32 s3, 0
	v_mov_b32_e32 v7, 0
	s_lshl_b64 s[12:13], s[2:3], 4
	s_mov_b32 s2, exec_lo
	s_add_nc_u64 s[12:13], s[4:5], s[12:13]
	s_delay_alu instid0(SALU_CYCLE_1) | instskip(SKIP_2) | instid1(VALU_DEP_1)
	v_mov_b64_e32 v[0:1], s[12:13]
	;;#ASMSTART
	global_load_b128 v[0:3], v[0:1] off scope:SCOPE_DEV	
s_wait_loadcnt 0x0
	;;#ASMEND
	v_and_b32_e32 v6, 0xff, v2
	v_cmpx_eq_u64_e32 0, v[6:7]
	s_cbranch_execz .LBB82_6
; %bb.3:
	v_mov_b64_e32 v[8:9], s[12:13]
.LBB82_4:                               ; =>This Inner Loop Header: Depth=1
	;;#ASMSTART
	global_load_b128 v[0:3], v[8:9] off scope:SCOPE_DEV	
s_wait_loadcnt 0x0
	;;#ASMEND
	v_and_b32_e32 v6, 0xff, v2
	s_delay_alu instid0(VALU_DEP_1) | instskip(SKIP_1) | instid1(SALU_CYCLE_1)
	v_cmp_ne_u64_e32 vcc_lo, 0, v[6:7]
	s_or_b32 s3, vcc_lo, s3
	s_and_not1_b32 exec_lo, exec_lo, s3
	s_cbranch_execnz .LBB82_4
; %bb.5:
	s_or_b32 exec_lo, exec_lo, s3
.LBB82_6:
	s_delay_alu instid0(SALU_CYCLE_1)
	s_or_b32 exec_lo, exec_lo, s2
	v_mov_b32_e32 v2, 0
	s_clause 0x1
	global_store_b32 v2, v0, s[8:9]
	global_store_b8 v2, v1, s[8:9] offset:4
.LBB82_7:
	s_wait_xcnt 0x0
	s_or_b32 exec_lo, exec_lo, s16
.LBB82_8:
	s_delay_alu instid0(SALU_CYCLE_1) | instskip(NEXT) | instid1(VALU_DEP_1)
	s_mov_b32 s2, exec_lo
	v_cmpx_eq_u32_e32 0, v4
	s_cbranch_execz .LBB82_10
; %bb.9:
	s_load_b64 s[8:9], s[0:1], 0x38
	v_mov_b32_e32 v0, 0
	s_wait_kmcnt 0x0
	global_store_b32 v0, v0, s[8:9]
.LBB82_10:
	s_wait_xcnt 0x0
	s_or_b32 exec_lo, exec_lo, s2
	s_delay_alu instid0(SALU_CYCLE_1)
	s_mov_b32 s2, exec_lo
	v_cmpx_gt_u32_e64 s6, v4
	s_cbranch_execz .LBB82_12
; %bb.11:
	v_dual_mov_b32 v0, 0 :: v_dual_add_nc_u32 v5, 32, v4
	s_delay_alu instid0(VALU_DEP_1)
	v_dual_mov_b32 v1, v0 :: v_dual_mov_b32 v2, v0
	v_mov_b32_e32 v3, v0
	global_store_b128 v5, v[0:3], s[4:5] scale_offset
.LBB82_12:
	s_wait_xcnt 0x0
	s_or_b32 exec_lo, exec_lo, s2
	v_mov_b32_e32 v5, 0
	s_mov_b32 s2, exec_lo
	v_cmpx_gt_u32_e32 32, v4
	s_cbranch_execz .LBB82_14
; %bb.13:
	s_delay_alu instid0(VALU_DEP_2)
	v_lshl_add_u64 v[6:7], v[4:5], 4, s[4:5]
	v_dual_mov_b32 v2, 0xff :: v_dual_mov_b32 v1, v5
	v_dual_mov_b32 v0, v5 :: v_dual_mov_b32 v3, v5
	global_store_b128 v[6:7], v[0:3], off
.LBB82_14:
	s_wait_xcnt 0x0
	s_or_b32 exec_lo, exec_lo, s2
	s_load_b64 s[2:3], s[0:1], 0x28
	s_mov_b32 s4, exec_lo
	s_wait_kmcnt 0x0
	v_cmpx_gt_u64_e64 s[2:3], v[4:5]
	s_cbranch_execz .LBB82_17
; %bb.15:
	s_clause 0x1
	s_load_b32 s4, s[0:1], 0x30
	s_load_b64 s[6:7], s[0:1], 0x20
	s_mov_b32 s5, 0
	s_wait_xcnt 0x0
	s_mov_b32 s1, s5
	s_wait_kmcnt 0x0
	s_add_co_i32 s0, s4, -1
	v_lshl_add_u64 v[2:3], v[4:5], 2, s[6:7]
	v_mad_nc_u64_u32 v[0:1], s4, v4, s[0:1]
	s_mul_i32 s0, s14, s15
	s_delay_alu instid0(SALU_CYCLE_1) | instskip(NEXT) | instid1(SALU_CYCLE_1)
	s_mul_u64 s[8:9], s[4:5], s[0:1]
	s_lshl_b64 s[8:9], s[8:9], 2
	s_delay_alu instid0(SALU_CYCLE_1) | instskip(SKIP_1) | instid1(VALU_DEP_1)
	s_sub_nc_u64 s[6:7], 0, s[8:9]
	s_lshl_b64 s[8:9], s[0:1], 2
	v_not_b32_e32 v1, v1
	s_delay_alu instid0(VALU_DEP_2) | instskip(NEXT) | instid1(VALU_DEP_1)
	v_not_b32_e32 v0, v0
	v_lshl_add_u64 v[0:1], v[0:1], 2, s[10:11]
.LBB82_16:                              ; =>This Inner Loop Header: Depth=1
	global_load_b32 v6, v[0:1], off
	v_add_nc_u64_e32 v[4:5], s[0:1], v[4:5]
	s_wait_xcnt 0x0
	v_add_nc_u64_e32 v[0:1], s[6:7], v[0:1]
	s_delay_alu instid0(VALU_DEP_2)
	v_cmp_le_u64_e32 vcc_lo, s[2:3], v[4:5]
	s_or_b32 s5, vcc_lo, s5
	s_wait_loadcnt 0x0
	global_store_b32 v[2:3], v6, off
	s_wait_xcnt 0x0
	v_add_nc_u64_e32 v[2:3], s[8:9], v[2:3]
	s_and_not1_b32 exec_lo, exec_lo, s5
	s_cbranch_execnz .LBB82_16
.LBB82_17:
	s_endpgm
	.section	.rodata,"a",@progbits
	.p2align	6, 0x0
	.amdhsa_kernel _ZN7rocprim17ROCPRIM_400000_NS6detail30init_device_scan_by_key_kernelINS1_19lookback_scan_stateINS0_5tupleIJibEEELb0ELb1EEEN6thrust23THRUST_200600_302600_NS16reverse_iteratorIPKiEEjNS1_16block_id_wrapperIjLb1EEEEEvT_jjPNSF_10value_typeET0_PNSt15iterator_traitsISI_E10value_typeEmT1_T2_
		.amdhsa_group_segment_fixed_size 0
		.amdhsa_private_segment_fixed_size 0
		.amdhsa_kernarg_size 320
		.amdhsa_user_sgpr_count 2
		.amdhsa_user_sgpr_dispatch_ptr 0
		.amdhsa_user_sgpr_queue_ptr 0
		.amdhsa_user_sgpr_kernarg_segment_ptr 1
		.amdhsa_user_sgpr_dispatch_id 0
		.amdhsa_user_sgpr_kernarg_preload_length 0
		.amdhsa_user_sgpr_kernarg_preload_offset 0
		.amdhsa_user_sgpr_private_segment_size 0
		.amdhsa_wavefront_size32 1
		.amdhsa_uses_dynamic_stack 0
		.amdhsa_enable_private_segment 0
		.amdhsa_system_sgpr_workgroup_id_x 1
		.amdhsa_system_sgpr_workgroup_id_y 0
		.amdhsa_system_sgpr_workgroup_id_z 0
		.amdhsa_system_sgpr_workgroup_info 0
		.amdhsa_system_vgpr_workitem_id 0
		.amdhsa_next_free_vgpr 10
		.amdhsa_next_free_sgpr 17
		.amdhsa_named_barrier_count 0
		.amdhsa_reserve_vcc 1
		.amdhsa_float_round_mode_32 0
		.amdhsa_float_round_mode_16_64 0
		.amdhsa_float_denorm_mode_32 3
		.amdhsa_float_denorm_mode_16_64 3
		.amdhsa_fp16_overflow 0
		.amdhsa_memory_ordered 1
		.amdhsa_forward_progress 1
		.amdhsa_inst_pref_size 6
		.amdhsa_round_robin_scheduling 0
		.amdhsa_exception_fp_ieee_invalid_op 0
		.amdhsa_exception_fp_denorm_src 0
		.amdhsa_exception_fp_ieee_div_zero 0
		.amdhsa_exception_fp_ieee_overflow 0
		.amdhsa_exception_fp_ieee_underflow 0
		.amdhsa_exception_fp_ieee_inexact 0
		.amdhsa_exception_int_div_zero 0
	.end_amdhsa_kernel
	.section	.text._ZN7rocprim17ROCPRIM_400000_NS6detail30init_device_scan_by_key_kernelINS1_19lookback_scan_stateINS0_5tupleIJibEEELb0ELb1EEEN6thrust23THRUST_200600_302600_NS16reverse_iteratorIPKiEEjNS1_16block_id_wrapperIjLb1EEEEEvT_jjPNSF_10value_typeET0_PNSt15iterator_traitsISI_E10value_typeEmT1_T2_,"axG",@progbits,_ZN7rocprim17ROCPRIM_400000_NS6detail30init_device_scan_by_key_kernelINS1_19lookback_scan_stateINS0_5tupleIJibEEELb0ELb1EEEN6thrust23THRUST_200600_302600_NS16reverse_iteratorIPKiEEjNS1_16block_id_wrapperIjLb1EEEEEvT_jjPNSF_10value_typeET0_PNSt15iterator_traitsISI_E10value_typeEmT1_T2_,comdat
.Lfunc_end82:
	.size	_ZN7rocprim17ROCPRIM_400000_NS6detail30init_device_scan_by_key_kernelINS1_19lookback_scan_stateINS0_5tupleIJibEEELb0ELb1EEEN6thrust23THRUST_200600_302600_NS16reverse_iteratorIPKiEEjNS1_16block_id_wrapperIjLb1EEEEEvT_jjPNSF_10value_typeET0_PNSt15iterator_traitsISI_E10value_typeEmT1_T2_, .Lfunc_end82-_ZN7rocprim17ROCPRIM_400000_NS6detail30init_device_scan_by_key_kernelINS1_19lookback_scan_stateINS0_5tupleIJibEEELb0ELb1EEEN6thrust23THRUST_200600_302600_NS16reverse_iteratorIPKiEEjNS1_16block_id_wrapperIjLb1EEEEEvT_jjPNSF_10value_typeET0_PNSt15iterator_traitsISI_E10value_typeEmT1_T2_
                                        ; -- End function
	.set _ZN7rocprim17ROCPRIM_400000_NS6detail30init_device_scan_by_key_kernelINS1_19lookback_scan_stateINS0_5tupleIJibEEELb0ELb1EEEN6thrust23THRUST_200600_302600_NS16reverse_iteratorIPKiEEjNS1_16block_id_wrapperIjLb1EEEEEvT_jjPNSF_10value_typeET0_PNSt15iterator_traitsISI_E10value_typeEmT1_T2_.num_vgpr, 10
	.set _ZN7rocprim17ROCPRIM_400000_NS6detail30init_device_scan_by_key_kernelINS1_19lookback_scan_stateINS0_5tupleIJibEEELb0ELb1EEEN6thrust23THRUST_200600_302600_NS16reverse_iteratorIPKiEEjNS1_16block_id_wrapperIjLb1EEEEEvT_jjPNSF_10value_typeET0_PNSt15iterator_traitsISI_E10value_typeEmT1_T2_.num_agpr, 0
	.set _ZN7rocprim17ROCPRIM_400000_NS6detail30init_device_scan_by_key_kernelINS1_19lookback_scan_stateINS0_5tupleIJibEEELb0ELb1EEEN6thrust23THRUST_200600_302600_NS16reverse_iteratorIPKiEEjNS1_16block_id_wrapperIjLb1EEEEEvT_jjPNSF_10value_typeET0_PNSt15iterator_traitsISI_E10value_typeEmT1_T2_.numbered_sgpr, 17
	.set _ZN7rocprim17ROCPRIM_400000_NS6detail30init_device_scan_by_key_kernelINS1_19lookback_scan_stateINS0_5tupleIJibEEELb0ELb1EEEN6thrust23THRUST_200600_302600_NS16reverse_iteratorIPKiEEjNS1_16block_id_wrapperIjLb1EEEEEvT_jjPNSF_10value_typeET0_PNSt15iterator_traitsISI_E10value_typeEmT1_T2_.num_named_barrier, 0
	.set _ZN7rocprim17ROCPRIM_400000_NS6detail30init_device_scan_by_key_kernelINS1_19lookback_scan_stateINS0_5tupleIJibEEELb0ELb1EEEN6thrust23THRUST_200600_302600_NS16reverse_iteratorIPKiEEjNS1_16block_id_wrapperIjLb1EEEEEvT_jjPNSF_10value_typeET0_PNSt15iterator_traitsISI_E10value_typeEmT1_T2_.private_seg_size, 0
	.set _ZN7rocprim17ROCPRIM_400000_NS6detail30init_device_scan_by_key_kernelINS1_19lookback_scan_stateINS0_5tupleIJibEEELb0ELb1EEEN6thrust23THRUST_200600_302600_NS16reverse_iteratorIPKiEEjNS1_16block_id_wrapperIjLb1EEEEEvT_jjPNSF_10value_typeET0_PNSt15iterator_traitsISI_E10value_typeEmT1_T2_.uses_vcc, 1
	.set _ZN7rocprim17ROCPRIM_400000_NS6detail30init_device_scan_by_key_kernelINS1_19lookback_scan_stateINS0_5tupleIJibEEELb0ELb1EEEN6thrust23THRUST_200600_302600_NS16reverse_iteratorIPKiEEjNS1_16block_id_wrapperIjLb1EEEEEvT_jjPNSF_10value_typeET0_PNSt15iterator_traitsISI_E10value_typeEmT1_T2_.uses_flat_scratch, 0
	.set _ZN7rocprim17ROCPRIM_400000_NS6detail30init_device_scan_by_key_kernelINS1_19lookback_scan_stateINS0_5tupleIJibEEELb0ELb1EEEN6thrust23THRUST_200600_302600_NS16reverse_iteratorIPKiEEjNS1_16block_id_wrapperIjLb1EEEEEvT_jjPNSF_10value_typeET0_PNSt15iterator_traitsISI_E10value_typeEmT1_T2_.has_dyn_sized_stack, 0
	.set _ZN7rocprim17ROCPRIM_400000_NS6detail30init_device_scan_by_key_kernelINS1_19lookback_scan_stateINS0_5tupleIJibEEELb0ELb1EEEN6thrust23THRUST_200600_302600_NS16reverse_iteratorIPKiEEjNS1_16block_id_wrapperIjLb1EEEEEvT_jjPNSF_10value_typeET0_PNSt15iterator_traitsISI_E10value_typeEmT1_T2_.has_recursion, 0
	.set _ZN7rocprim17ROCPRIM_400000_NS6detail30init_device_scan_by_key_kernelINS1_19lookback_scan_stateINS0_5tupleIJibEEELb0ELb1EEEN6thrust23THRUST_200600_302600_NS16reverse_iteratorIPKiEEjNS1_16block_id_wrapperIjLb1EEEEEvT_jjPNSF_10value_typeET0_PNSt15iterator_traitsISI_E10value_typeEmT1_T2_.has_indirect_call, 0
	.section	.AMDGPU.csdata,"",@progbits
; Kernel info:
; codeLenInByte = 644
; TotalNumSgprs: 19
; NumVgprs: 10
; ScratchSize: 0
; MemoryBound: 0
; FloatMode: 240
; IeeeMode: 1
; LDSByteSize: 0 bytes/workgroup (compile time only)
; SGPRBlocks: 0
; VGPRBlocks: 0
; NumSGPRsForWavesPerEU: 19
; NumVGPRsForWavesPerEU: 10
; NamedBarCnt: 0
; Occupancy: 16
; WaveLimiterHint : 0
; COMPUTE_PGM_RSRC2:SCRATCH_EN: 0
; COMPUTE_PGM_RSRC2:USER_SGPR: 2
; COMPUTE_PGM_RSRC2:TRAP_HANDLER: 0
; COMPUTE_PGM_RSRC2:TGID_X_EN: 1
; COMPUTE_PGM_RSRC2:TGID_Y_EN: 0
; COMPUTE_PGM_RSRC2:TGID_Z_EN: 0
; COMPUTE_PGM_RSRC2:TIDIG_COMP_CNT: 0
	.section	.text._ZN7rocprim17ROCPRIM_400000_NS6detail17trampoline_kernelINS0_14default_configENS1_27scan_by_key_config_selectorIiiEEZZNS1_16scan_by_key_implILNS1_25lookback_scan_determinismE0ELb0ES3_N6thrust23THRUST_200600_302600_NS16reverse_iteratorIPKiEESD_NSA_IPiEEiN6hipcub16HIPCUB_304000_NS3MaxENSH_8EqualityEiEE10hipError_tPvRmT2_T3_T4_T5_mT6_T7_P12ihipStream_tbENKUlT_T0_E_clISt17integral_constantIbLb0EESZ_IbLb1EEEEDaSV_SW_EUlSV_E_NS1_11comp_targetILNS1_3genE0ELNS1_11target_archE4294967295ELNS1_3gpuE0ELNS1_3repE0EEENS1_30default_config_static_selectorELNS0_4arch9wavefront6targetE0EEEvT1_,"axG",@progbits,_ZN7rocprim17ROCPRIM_400000_NS6detail17trampoline_kernelINS0_14default_configENS1_27scan_by_key_config_selectorIiiEEZZNS1_16scan_by_key_implILNS1_25lookback_scan_determinismE0ELb0ES3_N6thrust23THRUST_200600_302600_NS16reverse_iteratorIPKiEESD_NSA_IPiEEiN6hipcub16HIPCUB_304000_NS3MaxENSH_8EqualityEiEE10hipError_tPvRmT2_T3_T4_T5_mT6_T7_P12ihipStream_tbENKUlT_T0_E_clISt17integral_constantIbLb0EESZ_IbLb1EEEEDaSV_SW_EUlSV_E_NS1_11comp_targetILNS1_3genE0ELNS1_11target_archE4294967295ELNS1_3gpuE0ELNS1_3repE0EEENS1_30default_config_static_selectorELNS0_4arch9wavefront6targetE0EEEvT1_,comdat
	.protected	_ZN7rocprim17ROCPRIM_400000_NS6detail17trampoline_kernelINS0_14default_configENS1_27scan_by_key_config_selectorIiiEEZZNS1_16scan_by_key_implILNS1_25lookback_scan_determinismE0ELb0ES3_N6thrust23THRUST_200600_302600_NS16reverse_iteratorIPKiEESD_NSA_IPiEEiN6hipcub16HIPCUB_304000_NS3MaxENSH_8EqualityEiEE10hipError_tPvRmT2_T3_T4_T5_mT6_T7_P12ihipStream_tbENKUlT_T0_E_clISt17integral_constantIbLb0EESZ_IbLb1EEEEDaSV_SW_EUlSV_E_NS1_11comp_targetILNS1_3genE0ELNS1_11target_archE4294967295ELNS1_3gpuE0ELNS1_3repE0EEENS1_30default_config_static_selectorELNS0_4arch9wavefront6targetE0EEEvT1_ ; -- Begin function _ZN7rocprim17ROCPRIM_400000_NS6detail17trampoline_kernelINS0_14default_configENS1_27scan_by_key_config_selectorIiiEEZZNS1_16scan_by_key_implILNS1_25lookback_scan_determinismE0ELb0ES3_N6thrust23THRUST_200600_302600_NS16reverse_iteratorIPKiEESD_NSA_IPiEEiN6hipcub16HIPCUB_304000_NS3MaxENSH_8EqualityEiEE10hipError_tPvRmT2_T3_T4_T5_mT6_T7_P12ihipStream_tbENKUlT_T0_E_clISt17integral_constantIbLb0EESZ_IbLb1EEEEDaSV_SW_EUlSV_E_NS1_11comp_targetILNS1_3genE0ELNS1_11target_archE4294967295ELNS1_3gpuE0ELNS1_3repE0EEENS1_30default_config_static_selectorELNS0_4arch9wavefront6targetE0EEEvT1_
	.globl	_ZN7rocprim17ROCPRIM_400000_NS6detail17trampoline_kernelINS0_14default_configENS1_27scan_by_key_config_selectorIiiEEZZNS1_16scan_by_key_implILNS1_25lookback_scan_determinismE0ELb0ES3_N6thrust23THRUST_200600_302600_NS16reverse_iteratorIPKiEESD_NSA_IPiEEiN6hipcub16HIPCUB_304000_NS3MaxENSH_8EqualityEiEE10hipError_tPvRmT2_T3_T4_T5_mT6_T7_P12ihipStream_tbENKUlT_T0_E_clISt17integral_constantIbLb0EESZ_IbLb1EEEEDaSV_SW_EUlSV_E_NS1_11comp_targetILNS1_3genE0ELNS1_11target_archE4294967295ELNS1_3gpuE0ELNS1_3repE0EEENS1_30default_config_static_selectorELNS0_4arch9wavefront6targetE0EEEvT1_
	.p2align	8
	.type	_ZN7rocprim17ROCPRIM_400000_NS6detail17trampoline_kernelINS0_14default_configENS1_27scan_by_key_config_selectorIiiEEZZNS1_16scan_by_key_implILNS1_25lookback_scan_determinismE0ELb0ES3_N6thrust23THRUST_200600_302600_NS16reverse_iteratorIPKiEESD_NSA_IPiEEiN6hipcub16HIPCUB_304000_NS3MaxENSH_8EqualityEiEE10hipError_tPvRmT2_T3_T4_T5_mT6_T7_P12ihipStream_tbENKUlT_T0_E_clISt17integral_constantIbLb0EESZ_IbLb1EEEEDaSV_SW_EUlSV_E_NS1_11comp_targetILNS1_3genE0ELNS1_11target_archE4294967295ELNS1_3gpuE0ELNS1_3repE0EEENS1_30default_config_static_selectorELNS0_4arch9wavefront6targetE0EEEvT1_,@function
_ZN7rocprim17ROCPRIM_400000_NS6detail17trampoline_kernelINS0_14default_configENS1_27scan_by_key_config_selectorIiiEEZZNS1_16scan_by_key_implILNS1_25lookback_scan_determinismE0ELb0ES3_N6thrust23THRUST_200600_302600_NS16reverse_iteratorIPKiEESD_NSA_IPiEEiN6hipcub16HIPCUB_304000_NS3MaxENSH_8EqualityEiEE10hipError_tPvRmT2_T3_T4_T5_mT6_T7_P12ihipStream_tbENKUlT_T0_E_clISt17integral_constantIbLb0EESZ_IbLb1EEEEDaSV_SW_EUlSV_E_NS1_11comp_targetILNS1_3genE0ELNS1_11target_archE4294967295ELNS1_3gpuE0ELNS1_3repE0EEENS1_30default_config_static_selectorELNS0_4arch9wavefront6targetE0EEEvT1_: ; @_ZN7rocprim17ROCPRIM_400000_NS6detail17trampoline_kernelINS0_14default_configENS1_27scan_by_key_config_selectorIiiEEZZNS1_16scan_by_key_implILNS1_25lookback_scan_determinismE0ELb0ES3_N6thrust23THRUST_200600_302600_NS16reverse_iteratorIPKiEESD_NSA_IPiEEiN6hipcub16HIPCUB_304000_NS3MaxENSH_8EqualityEiEE10hipError_tPvRmT2_T3_T4_T5_mT6_T7_P12ihipStream_tbENKUlT_T0_E_clISt17integral_constantIbLb0EESZ_IbLb1EEEEDaSV_SW_EUlSV_E_NS1_11comp_targetILNS1_3genE0ELNS1_11target_archE4294967295ELNS1_3gpuE0ELNS1_3repE0EEENS1_30default_config_static_selectorELNS0_4arch9wavefront6targetE0EEEvT1_
; %bb.0:
	s_clause 0x1
	s_load_b128 s[36:39], s[0:1], 0x28
	s_load_b64 s[40:41], s[0:1], 0x38
	v_cmp_ne_u32_e64 s3, 0, v0
	v_cmp_eq_u32_e64 s2, 0, v0
	s_and_saveexec_b32 s4, s2
	s_cbranch_execz .LBB83_4
; %bb.1:
	s_mov_b32 s6, exec_lo
	s_mov_b32 s5, exec_lo
	v_mbcnt_lo_u32_b32 v1, s6, 0
                                        ; implicit-def: $vgpr2
	s_delay_alu instid0(VALU_DEP_1)
	v_cmpx_eq_u32_e32 0, v1
	s_cbranch_execz .LBB83_3
; %bb.2:
	s_load_b64 s[8:9], s[0:1], 0x68
	s_bcnt1_i32_b32 s6, s6
	s_delay_alu instid0(SALU_CYCLE_1)
	v_dual_mov_b32 v2, 0 :: v_dual_mov_b32 v3, s6
	s_wait_xcnt 0x0
	s_wait_kmcnt 0x0
	global_atomic_add_u32 v2, v2, v3, s[8:9] th:TH_ATOMIC_RETURN scope:SCOPE_DEV
.LBB83_3:
	s_wait_xcnt 0x0
	s_or_b32 exec_lo, exec_lo, s5
	s_wait_loadcnt 0x0
	v_readfirstlane_b32 s5, v2
	s_delay_alu instid0(VALU_DEP_1)
	v_dual_mov_b32 v2, 0 :: v_dual_add_nc_u32 v1, s5, v1
	ds_store_b32 v2, v1
.LBB83_4:
	s_or_b32 exec_lo, exec_lo, s4
	v_mov_b32_e32 v1, 0
	s_clause 0x2
	s_load_b256 s[16:23], s[0:1], 0x0
	s_load_b32 s34, s[0:1], 0x40
	s_load_b256 s[24:31], s[0:1], 0x48
	s_wait_dscnt 0x0
	s_barrier_signal -1
	s_barrier_wait -1
	ds_load_b32 v2, v1
	s_mov_b32 s35, 0
	s_wait_dscnt 0x0
	s_barrier_signal -1
	s_barrier_wait -1
	s_barrier_signal -1
	s_barrier_wait -1
	s_wait_kmcnt 0x0
	s_lshl_b64 s[0:1], s[18:19], 2
	s_mul_u64 s[8:9], s[40:41], s[34:35]
	s_sub_nc_u64 s[6:7], s[16:17], s[0:1]
	s_mov_b32 s17, s35
	s_add_nc_u64 s[4:5], s[24:25], -1
	s_sub_nc_u64 s[0:1], s[20:21], s[0:1]
	s_cmp_eq_u64 s[28:29], 0
	v_readfirstlane_b32 s16, v2
	s_cselect_b32 s39, -1, 0
	s_mul_i32 s33, s4, 0xfffff400
	s_add_nc_u64 s[20:21], s[8:9], s[16:17]
	s_mul_i32 s34, s16, 0xc00
	v_cmp_ge_u64_e64 s17, s[20:21], s[4:5]
	s_lshl_b64 s[8:9], s[34:35], 2
	s_delay_alu instid0(SALU_CYCLE_1)
	s_sub_nc_u64 s[24:25], s[6:7], s[8:9]
	s_sub_nc_u64 s[14:15], s[0:1], s[8:9]
	s_add_nc_u64 s[28:29], s[24:25], -4
	s_and_b32 vcc_lo, exec_lo, s17
	s_cbranch_vccz .LBB83_68
; %bb.5:
	flat_load_b32 v1, v1, s[24:25] offset:-4
	s_add_co_i32 s42, s33, s38
	s_delay_alu instid0(SALU_CYCLE_1)
	v_cmp_gt_u32_e32 vcc_lo, s42, v0
	s_wait_loadcnt_dscnt 0x0
	v_mov_b32_e32 v2, v1
	s_and_saveexec_b32 s0, vcc_lo
	s_cbranch_execz .LBB83_7
; %bb.6:
	v_dual_mov_b32 v3, 0 :: v_dual_lshlrev_b32 v2, 2, v0
	s_delay_alu instid0(VALU_DEP_1)
	v_sub_nc_u64_e32 v[2:3], s[24:25], v[2:3]
	flat_load_b32 v2, v[2:3] offset:-4
.LBB83_7:
	s_wait_xcnt 0x0
	s_or_b32 exec_lo, exec_lo, s0
	v_or_b32_e32 v3, 0x100, v0
	s_delay_alu instid0(VALU_DEP_1)
	v_cmp_gt_u32_e64 s0, s42, v3
	v_mov_b32_e32 v3, v1
	s_and_saveexec_b32 s1, s0
	s_cbranch_execz .LBB83_9
; %bb.8:
	v_dual_mov_b32 v5, 0 :: v_dual_lshlrev_b32 v4, 2, v0
	s_delay_alu instid0(VALU_DEP_1)
	v_sub_nc_u64_e32 v[4:5], s[24:25], v[4:5]
	flat_load_b32 v3, v[4:5] offset:-1028
.LBB83_9:
	s_wait_xcnt 0x0
	s_or_b32 exec_lo, exec_lo, s1
	v_or_b32_e32 v4, 0x200, v0
	s_delay_alu instid0(VALU_DEP_1)
	v_cmp_gt_u32_e64 s1, s42, v4
	v_mov_b32_e32 v4, v1
	s_and_saveexec_b32 s4, s1
	s_cbranch_execz .LBB83_11
; %bb.10:
	v_dual_mov_b32 v5, 0 :: v_dual_lshlrev_b32 v4, 2, v0
	s_delay_alu instid0(VALU_DEP_1)
	v_sub_nc_u64_e32 v[4:5], s[24:25], v[4:5]
	flat_load_b32 v4, v[4:5] offset:-2052
.LBB83_11:
	s_wait_xcnt 0x0
	s_or_b32 exec_lo, exec_lo, s4
	v_or_b32_e32 v5, 0x300, v0
	v_mov_b32_e32 v6, v1
	s_delay_alu instid0(VALU_DEP_2)
	v_cmp_gt_u32_e64 s4, s42, v5
	s_and_saveexec_b32 s5, s4
	s_cbranch_execz .LBB83_13
; %bb.12:
	v_dual_mov_b32 v7, 0 :: v_dual_lshlrev_b32 v6, 2, v0
	s_delay_alu instid0(VALU_DEP_1)
	v_sub_nc_u64_e32 v[6:7], s[24:25], v[6:7]
	flat_load_b32 v6, v[6:7] offset:-3076
.LBB83_13:
	s_wait_xcnt 0x0
	s_or_b32 exec_lo, exec_lo, s5
	v_or_b32_e32 v5, 0x400, v0
	v_mov_b32_e32 v7, v1
	s_delay_alu instid0(VALU_DEP_2)
	v_cmp_gt_u32_e64 s5, s42, v5
	;; [unrolled: 14-line block ×8, first 2 shown]
	s_and_saveexec_b32 s12, s11
	s_cbranch_execz .LBB83_27
; %bb.26:
	v_dual_mov_b32 v15, 0 :: v_dual_lshlrev_b32 v14, 2, v0
	s_delay_alu instid0(VALU_DEP_1)
	v_sub_nc_u64_e32 v[14:15], s[24:25], v[14:15]
	flat_load_b32 v13, v[14:15] offset:-10244
.LBB83_27:
	s_wait_xcnt 0x0
	s_or_b32 exec_lo, exec_lo, s12
	v_or_b32_e32 v5, 0xb00, v0
	s_delay_alu instid0(VALU_DEP_1) | instskip(SKIP_2) | instid1(SALU_CYCLE_1)
	v_cmp_gt_u32_e64 s12, s42, v5
	v_cmp_le_u32_e64 s13, s42, v5
	s_and_saveexec_b32 s43, s13
	s_xor_b32 s13, exec_lo, s43
	s_delay_alu instid0(SALU_CYCLE_1)
	s_and_not1_saveexec_b32 s13, s13
	s_cbranch_execz .LBB83_29
; %bb.28:
	v_dual_mov_b32 v15, 0 :: v_dual_lshlrev_b32 v14, 2, v0
	s_delay_alu instid0(VALU_DEP_1)
	v_sub_nc_u64_e32 v[14:15], s[24:25], v[14:15]
	flat_load_b32 v1, v[14:15] offset:-11268
.LBB83_29:
	s_wait_xcnt 0x0
	s_or_b32 exec_lo, exec_lo, s13
	v_lshlrev_b32_e32 v5, 2, v0
	s_lshl_b64 s[44:45], s[20:21], 2
	s_and_b32 s13, s39, exec_lo
	s_add_nc_u64 s[44:45], s[30:31], s[44:45]
	s_wait_loadcnt_dscnt 0x0
	ds_store_2addr_stride64_b32 v5, v2, v3 offset1:4
	ds_store_2addr_stride64_b32 v5, v4, v6 offset0:8 offset1:12
	ds_store_2addr_stride64_b32 v5, v7, v8 offset0:16 offset1:20
	ds_store_2addr_stride64_b32 v5, v9, v10 offset0:24 offset1:28
	ds_store_2addr_stride64_b32 v5, v11, v12 offset0:32 offset1:36
	ds_store_2addr_stride64_b32 v5, v13, v1 offset0:40 offset1:44
	s_add_nc_u64 s[44:45], s[44:45], -4
	v_mov_b32_e32 v1, 0
	s_cselect_b32 s13, s24, s44
	s_cselect_b32 s43, s25, s45
	s_cmp_eq_u64 s[20:21], 0
	s_wait_dscnt 0x0
	s_cselect_b32 s45, s29, s43
	s_cselect_b32 s44, s28, s13
	s_barrier_signal -1
	s_barrier_wait -1
	flat_load_b32 v20, v1, s[44:45]
	s_wait_xcnt 0x0
	v_mad_u32_u24 v1, v0, 44, v5
	ds_load_b128 v[6:9], v1 offset:32
	ds_load_b128 v[14:17], v1
	ds_load_b128 v[10:13], v1 offset:16
	v_mad_i32_i24 v2, 0xffffffd4, v0, v1
	s_wait_dscnt 0x2
	ds_store_b32 v2, v9 offset:12288
	s_wait_loadcnt_dscnt 0x0
	s_barrier_signal -1
	s_barrier_wait -1
	s_and_saveexec_b32 s13, s3
; %bb.30:
	v_mul_i32_i24_e32 v2, 0xffffffd4, v0
	s_delay_alu instid0(VALU_DEP_1)
	v_add_nc_u32_e32 v2, v1, v2
	ds_load_b32 v20, v2 offset:12284
; %bb.31:
	s_or_b32 exec_lo, exec_lo, s13
	v_lshlrev_b32_e32 v2, 2, v0
	s_wait_dscnt 0x0
	s_barrier_signal -1
	s_barrier_wait -1
                                        ; implicit-def: $vgpr18
	s_and_saveexec_b32 s13, vcc_lo
	s_cbranch_execz .LBB83_102
; %bb.32:
	v_mov_b32_e32 v3, 0
	s_delay_alu instid0(VALU_DEP_1)
	v_sub_nc_u64_e32 v[18:19], s[14:15], v[2:3]
	flat_load_b32 v18, v[18:19] offset:-4
	s_wait_xcnt 0x0
	s_or_b32 exec_lo, exec_lo, s13
                                        ; implicit-def: $vgpr19
	s_and_saveexec_b32 s13, s0
	s_cbranch_execnz .LBB83_103
.LBB83_33:
	s_or_b32 exec_lo, exec_lo, s13
                                        ; implicit-def: $vgpr21
	s_and_saveexec_b32 s0, s1
	s_cbranch_execz .LBB83_104
.LBB83_34:
	v_mov_b32_e32 v3, 0
	s_delay_alu instid0(VALU_DEP_1)
	v_sub_nc_u64_e32 v[22:23], s[14:15], v[2:3]
	flat_load_b32 v21, v[22:23] offset:-2052
	s_wait_xcnt 0x0
	s_or_b32 exec_lo, exec_lo, s0
                                        ; implicit-def: $vgpr22
	s_and_saveexec_b32 s0, s4
	s_cbranch_execnz .LBB83_105
.LBB83_35:
	s_or_b32 exec_lo, exec_lo, s0
                                        ; implicit-def: $vgpr23
	s_and_saveexec_b32 s0, s5
	s_cbranch_execz .LBB83_106
.LBB83_36:
	v_mov_b32_e32 v3, 0
	s_delay_alu instid0(VALU_DEP_1)
	v_sub_nc_u64_e32 v[24:25], s[14:15], v[2:3]
	flat_load_b32 v23, v[24:25] offset:-4100
	s_wait_xcnt 0x0
	s_or_b32 exec_lo, exec_lo, s0
                                        ; implicit-def: $vgpr24
	s_and_saveexec_b32 s0, s6
	s_cbranch_execnz .LBB83_107
.LBB83_37:
	s_or_b32 exec_lo, exec_lo, s0
                                        ; implicit-def: $vgpr25
	s_and_saveexec_b32 s0, s7
	s_cbranch_execz .LBB83_108
.LBB83_38:
	v_mov_b32_e32 v3, 0
	s_delay_alu instid0(VALU_DEP_1)
	v_sub_nc_u64_e32 v[26:27], s[14:15], v[2:3]
	flat_load_b32 v25, v[26:27] offset:-6148
	s_wait_xcnt 0x0
	s_or_b32 exec_lo, exec_lo, s0
                                        ; implicit-def: $vgpr26
	s_and_saveexec_b32 s0, s8
	s_cbranch_execnz .LBB83_109
.LBB83_39:
	s_or_b32 exec_lo, exec_lo, s0
                                        ; implicit-def: $vgpr27
	s_and_saveexec_b32 s0, s9
	s_cbranch_execz .LBB83_110
.LBB83_40:
	v_mov_b32_e32 v3, 0
	s_delay_alu instid0(VALU_DEP_1)
	v_sub_nc_u64_e32 v[28:29], s[14:15], v[2:3]
	flat_load_b32 v27, v[28:29] offset:-8196
	s_wait_xcnt 0x0
	s_or_b32 exec_lo, exec_lo, s0
                                        ; implicit-def: $vgpr28
	s_and_saveexec_b32 s0, s10
	s_cbranch_execnz .LBB83_111
.LBB83_41:
	s_or_b32 exec_lo, exec_lo, s0
                                        ; implicit-def: $vgpr29
	s_and_saveexec_b32 s0, s11
	s_cbranch_execz .LBB83_43
.LBB83_42:
	v_mov_b32_e32 v3, 0
	s_delay_alu instid0(VALU_DEP_1)
	v_sub_nc_u64_e32 v[30:31], s[14:15], v[2:3]
	flat_load_b32 v29, v[30:31] offset:-10244
.LBB83_43:
	s_wait_xcnt 0x0
	s_or_b32 exec_lo, exec_lo, s0
	v_mul_u32_u24_e32 v4, 12, v0
                                        ; implicit-def: $vgpr3
	s_and_saveexec_b32 s0, s12
	s_cbranch_execz .LBB83_45
; %bb.44:
	v_mov_b32_e32 v3, 0
	s_delay_alu instid0(VALU_DEP_1)
	v_sub_nc_u64_e32 v[2:3], s[14:15], v[2:3]
	flat_load_b32 v3, v[2:3] offset:-11268
.LBB83_45:
	s_wait_xcnt 0x0
	s_or_b32 exec_lo, exec_lo, s0
	s_wait_loadcnt_dscnt 0x0
	ds_store_2addr_stride64_b32 v5, v18, v19 offset1:4
	ds_store_2addr_stride64_b32 v5, v21, v22 offset0:8 offset1:12
	ds_store_2addr_stride64_b32 v5, v23, v24 offset0:16 offset1:20
	;; [unrolled: 1-line block ×5, first 2 shown]
	v_mov_b64_e32 v[18:19], 0
	v_mov_b64_e32 v[42:43], 0
	;; [unrolled: 1-line block ×20, first 2 shown]
	s_mov_b32 s1, 0
	s_mov_b32 s0, 0
	s_mov_b32 s5, exec_lo
	s_wait_dscnt 0x0
	s_barrier_signal -1
	s_barrier_wait -1
                                        ; implicit-def: $sgpr4
                                        ; implicit-def: $vgpr5
	v_cmpx_gt_u32_e64 s42, v4
	s_cbranch_execz .LBB83_67
; %bb.46:
	ds_load_b32 v18, v1
	v_cmp_ne_u32_e32 vcc_lo, v20, v14
	v_mov_b64_e32 v[42:43], 0
	v_mov_b64_e32 v[46:47], 0
	;; [unrolled: 1-line block ×18, first 2 shown]
	v_or_b32_e32 v2, 1, v4
	v_cndmask_b32_e64 v19, 0, 1, vcc_lo
	s_mov_b32 s6, exec_lo
                                        ; implicit-def: $sgpr4
                                        ; implicit-def: $vgpr5
	s_delay_alu instid0(VALU_DEP_2)
	v_cmpx_gt_u32_e64 s42, v2
	s_cbranch_execz .LBB83_66
; %bb.47:
	ds_load_2addr_b32 v[42:43], v1 offset0:1 offset1:2
	v_cmp_ne_u32_e32 vcc_lo, v14, v15
	v_mov_b64_e32 v[46:47], 0
	v_mov_b64_e32 v[44:45], 0
	;; [unrolled: 1-line block ×16, first 2 shown]
	v_or_b32_e32 v3, 2, v4
	v_cndmask_b32_e64 v2, 0, 1, vcc_lo
	s_mov_b32 s7, exec_lo
                                        ; implicit-def: $sgpr4
                                        ; implicit-def: $vgpr5
	s_delay_alu instid0(VALU_DEP_2)
	v_cmpx_gt_u32_e64 s42, v3
	s_cbranch_execz .LBB83_65
; %bb.48:
	v_cmp_ne_u32_e32 vcc_lo, v15, v16
	v_mov_b64_e32 v[44:45], 0
	v_mov_b64_e32 v[48:49], 0
	;; [unrolled: 1-line block ×14, first 2 shown]
	v_or_b32_e32 v3, 3, v4
	v_cndmask_b32_e64 v47, 0, 1, vcc_lo
	s_mov_b32 s8, exec_lo
                                        ; implicit-def: $sgpr4
                                        ; implicit-def: $vgpr5
	s_delay_alu instid0(VALU_DEP_2)
	v_cmpx_gt_u32_e64 s42, v3
	s_cbranch_execz .LBB83_64
; %bb.49:
	ds_load_2addr_b32 v[44:45], v1 offset0:3 offset1:4
	v_add_nc_u32_e32 v5, 4, v4
	v_cmp_ne_u32_e32 vcc_lo, v16, v17
	v_mov_b64_e32 v[48:49], 0
	v_mov_b64_e32 v[50:51], 0
	;; [unrolled: 1-line block ×12, first 2 shown]
	v_cndmask_b32_e64 v3, 0, 1, vcc_lo
	v_cmp_gt_u32_e32 vcc_lo, s42, v5
                                        ; implicit-def: $sgpr4
                                        ; implicit-def: $vgpr5
	s_and_saveexec_b32 s9, vcc_lo
	s_cbranch_execz .LBB83_63
; %bb.50:
	v_add_nc_u32_e32 v5, 5, v4
	v_cmp_ne_u32_e32 vcc_lo, v17, v10
	v_mov_b64_e32 v[50:51], 0
	v_mov_b64_e32 v[52:53], 0
	;; [unrolled: 1-line block ×10, first 2 shown]
	v_cndmask_b32_e64 v49, 0, 1, vcc_lo
	v_cmp_gt_u32_e32 vcc_lo, s42, v5
                                        ; implicit-def: $sgpr4
                                        ; implicit-def: $vgpr5
	s_and_saveexec_b32 s10, vcc_lo
	s_cbranch_execz .LBB83_62
; %bb.51:
	ds_load_2addr_b32 v[50:51], v1 offset0:5 offset1:6
	v_add_nc_u32_e32 v5, 6, v4
	v_cmp_ne_u32_e32 vcc_lo, v10, v11
	v_mov_b64_e32 v[52:53], 0
	v_mov_b64_e32 v[54:55], 0
	;; [unrolled: 1-line block ×8, first 2 shown]
	v_cndmask_b32_e64 v10, 0, 1, vcc_lo
	v_cmp_gt_u32_e32 vcc_lo, s42, v5
                                        ; implicit-def: $sgpr4
                                        ; implicit-def: $vgpr5
	s_and_saveexec_b32 s11, vcc_lo
	s_cbranch_execz .LBB83_61
; %bb.52:
	v_add_nc_u32_e32 v5, 7, v4
	v_cmp_ne_u32_e32 vcc_lo, v11, v12
	v_mov_b64_e32 v[54:55], 0
	v_mov_b64_e32 v[56:57], 0
	v_mov_b64_e32 v[58:59], 0
	v_mov_b64_e32 v[26:27], 0
	v_mov_b64_e32 v[24:25], 0
	v_mov_b64_e32 v[22:23], 0
	v_cndmask_b32_e64 v53, 0, 1, vcc_lo
	v_cmp_gt_u32_e32 vcc_lo, s42, v5
                                        ; implicit-def: $sgpr4
                                        ; implicit-def: $vgpr5
	s_and_saveexec_b32 s12, vcc_lo
	s_cbranch_execz .LBB83_60
; %bb.53:
	ds_load_2addr_b32 v[54:55], v1 offset0:7 offset1:8
	v_add_nc_u32_e32 v5, 8, v4
	v_cmp_ne_u32_e32 vcc_lo, v12, v13
	v_mov_b64_e32 v[56:57], 0
	v_mov_b64_e32 v[58:59], 0
	;; [unrolled: 1-line block ×4, first 2 shown]
	v_cndmask_b32_e64 v11, 0, 1, vcc_lo
	v_cmp_gt_u32_e32 vcc_lo, s42, v5
                                        ; implicit-def: $sgpr4
                                        ; implicit-def: $vgpr5
	s_and_saveexec_b32 s13, vcc_lo
	s_cbranch_execz .LBB83_59
; %bb.54:
	v_add_nc_u32_e32 v5, 9, v4
	v_cmp_ne_u32_e32 vcc_lo, v13, v6
	v_mov_b64_e32 v[58:59], 0
	v_mov_b64_e32 v[22:23], 0
                                        ; implicit-def: $sgpr4
	v_cndmask_b32_e64 v57, 0, 1, vcc_lo
	v_cmp_gt_u32_e32 vcc_lo, s42, v5
                                        ; implicit-def: $vgpr5
	s_and_saveexec_b32 s43, vcc_lo
	s_cbranch_execz .LBB83_58
; %bb.55:
	ds_load_2addr_b32 v[58:59], v1 offset0:9 offset1:10
	v_add_nc_u32_e32 v5, 10, v4
	v_cmp_ne_u32_e32 vcc_lo, v6, v7
	v_mov_b64_e32 v[22:23], 0
                                        ; implicit-def: $sgpr4
	v_cndmask_b32_e64 v6, 0, 1, vcc_lo
	s_delay_alu instid0(VALU_DEP_4) | instskip(SKIP_1) | instid1(SALU_CYCLE_1)
	v_cmp_gt_u32_e32 vcc_lo, s42, v5
                                        ; implicit-def: $vgpr5
	s_and_saveexec_b32 s44, vcc_lo
	s_xor_b32 s44, exec_lo, s44
	s_cbranch_execz .LBB83_57
; %bb.56:
	ds_load_b32 v5, v1 offset:44
	s_wait_dscnt 0x1
	v_dual_mov_b32 v22, v59 :: v_dual_add_nc_u32 v1, 11, v4
	v_cmp_ne_u32_e64 s0, v7, v8
	v_cmp_ne_u32_e64 s4, v8, v9
	s_delay_alu instid0(VALU_DEP_3) | instskip(NEXT) | instid1(VALU_DEP_3)
	v_cmp_gt_u32_e32 vcc_lo, s42, v1
	v_cndmask_b32_e64 v23, 0, 1, s0
	s_and_b32 s0, vcc_lo, exec_lo
.LBB83_57:
	s_or_b32 exec_lo, exec_lo, s44
	s_wait_dscnt 0x0
	v_mov_b32_e32 v59, v6
	s_and_b32 s0, s0, exec_lo
.LBB83_58:
	s_or_b32 exec_lo, exec_lo, s43
	s_delay_alu instid0(VALU_DEP_1)
	v_mov_b64_e32 v[24:25], v[58:59]
	s_wait_dscnt 0x0
	v_mov_b32_e32 v56, v55
	s_and_b32 s0, s0, exec_lo
.LBB83_59:
	s_or_b32 exec_lo, exec_lo, s13
	s_delay_alu instid0(VALU_DEP_1)
	v_mov_b64_e32 v[26:27], v[56:57]
	s_wait_dscnt 0x0
	v_mov_b32_e32 v55, v11
	s_and_b32 s0, s0, exec_lo
.LBB83_60:
	s_or_b32 exec_lo, exec_lo, s12
	s_delay_alu instid0(VALU_DEP_1)
	v_mov_b64_e32 v[28:29], v[54:55]
	s_wait_dscnt 0x0
	v_mov_b32_e32 v52, v51
	s_and_b32 s0, s0, exec_lo
.LBB83_61:
	s_or_b32 exec_lo, exec_lo, s11
	s_delay_alu instid0(VALU_DEP_1)
	v_mov_b64_e32 v[30:31], v[52:53]
	s_wait_dscnt 0x0
	v_mov_b32_e32 v51, v10
	s_and_b32 s0, s0, exec_lo
.LBB83_62:
	s_or_b32 exec_lo, exec_lo, s10
	s_delay_alu instid0(VALU_DEP_1)
	v_mov_b64_e32 v[32:33], v[50:51]
	s_wait_dscnt 0x0
	v_mov_b32_e32 v48, v45
	s_and_b32 s0, s0, exec_lo
.LBB83_63:
	s_or_b32 exec_lo, exec_lo, s9
	s_delay_alu instid0(VALU_DEP_1)
	v_mov_b64_e32 v[34:35], v[48:49]
	s_wait_dscnt 0x0
	v_mov_b32_e32 v45, v3
	s_and_b32 s0, s0, exec_lo
.LBB83_64:
	s_or_b32 exec_lo, exec_lo, s8
	s_delay_alu instid0(VALU_DEP_1)
	v_mov_b64_e32 v[36:37], v[44:45]
	s_wait_dscnt 0x0
	v_mov_b32_e32 v46, v43
	s_and_b32 s0, s0, exec_lo
.LBB83_65:
	s_or_b32 exec_lo, exec_lo, s7
	s_delay_alu instid0(VALU_DEP_1)
	v_mov_b64_e32 v[38:39], v[46:47]
	s_wait_dscnt 0x0
	v_mov_b32_e32 v43, v2
	s_and_b32 s0, s0, exec_lo
.LBB83_66:
	s_or_b32 exec_lo, exec_lo, s6
	s_delay_alu instid0(VALU_DEP_1)
	v_mov_b64_e32 v[40:41], v[42:43]
	s_and_b32 s0, s0, exec_lo
.LBB83_67:
	s_or_b32 exec_lo, exec_lo, s5
	v_lshlrev_b32_e32 v20, 2, v0
	s_and_b32 vcc_lo, exec_lo, s1
	s_cbranch_vccnz .LBB83_69
	s_branch .LBB83_72
.LBB83_68:
	s_mov_b32 s0, s35
                                        ; implicit-def: $sgpr4
                                        ; implicit-def: $vgpr5
                                        ; implicit-def: $vgpr18_vgpr19
                                        ; implicit-def: $vgpr42_vgpr43
                                        ; implicit-def: $vgpr46_vgpr47
                                        ; implicit-def: $vgpr44_vgpr45
                                        ; implicit-def: $vgpr48_vgpr49
                                        ; implicit-def: $vgpr50_vgpr51
                                        ; implicit-def: $vgpr52_vgpr53
                                        ; implicit-def: $vgpr54_vgpr55
                                        ; implicit-def: $vgpr56_vgpr57
                                        ; implicit-def: $vgpr58_vgpr59
                                        ; implicit-def: $vgpr40_vgpr41
                                        ; implicit-def: $vgpr38_vgpr39
                                        ; implicit-def: $vgpr36_vgpr37
                                        ; implicit-def: $vgpr34_vgpr35
                                        ; implicit-def: $vgpr32_vgpr33
                                        ; implicit-def: $vgpr30_vgpr31
                                        ; implicit-def: $vgpr28_vgpr29
                                        ; implicit-def: $vgpr26_vgpr27
                                        ; implicit-def: $vgpr24_vgpr25
                                        ; implicit-def: $vgpr22_vgpr23
	v_lshlrev_b32_e32 v20, 2, v0
	s_cbranch_execz .LBB83_72
.LBB83_69:
	v_mov_b32_e32 v1, 0
	s_lshl_b64 s[0:1], s[20:21], 2
	s_and_b32 s4, s39, exec_lo
	s_add_nc_u64 s[0:1], s[30:31], s[0:1]
	v_mad_u32_u24 v16, v0, 44, v20
	v_mov_b32_e32 v21, v1
	s_add_nc_u64 s[0:1], s[0:1], -4
	s_delay_alu instid0(SALU_CYCLE_1) | instskip(SKIP_1) | instid1(VALU_DEP_1)
	s_cselect_b32 s0, s24, s0
	s_cselect_b32 s1, s25, s1
	v_sub_nc_u64_e32 v[2:3], s[24:25], v[20:21]
	s_cmp_eq_u64 s[20:21], 0
	s_wait_dscnt 0x0
	v_mad_i32_i24 v18, 0xffffffd4, v0, v16
	s_cselect_b32 s1, s29, s1
	s_cselect_b32 s0, s28, s0
	s_clause 0xb
	flat_load_b32 v4, v[2:3] offset:-4
	flat_load_b32 v5, v[2:3] offset:-1028
	;; [unrolled: 1-line block ×12, first 2 shown]
	s_wait_loadcnt_dscnt 0xa0a
	ds_store_2addr_stride64_b32 v20, v4, v5 offset1:4
	s_wait_loadcnt_dscnt 0x809
	ds_store_2addr_stride64_b32 v20, v6, v7 offset0:8 offset1:12
	s_wait_loadcnt_dscnt 0x608
	ds_store_2addr_stride64_b32 v20, v8, v9 offset0:16 offset1:20
	;; [unrolled: 2-line block ×5, first 2 shown]
	s_wait_dscnt 0x0
	s_barrier_signal -1
	s_barrier_wait -1
	flat_load_b32 v17, v1, s[0:1]
	ds_load_b128 v[6:9], v16 offset:32
	ds_load_b128 v[2:5], v16
	ds_load_b128 v[10:13], v16 offset:16
	v_sub_nc_u64_e32 v[14:15], 0, v[0:1]
	s_wait_dscnt 0x2
	ds_store_b32 v18, v9 offset:12288
	s_wait_loadcnt_dscnt 0x0
	s_barrier_signal -1
	s_barrier_wait -1
	s_and_saveexec_b32 s0, s3
; %bb.70:
	v_mul_i32_i24_e32 v1, 0xffffffd4, v0
	s_delay_alu instid0(VALU_DEP_1)
	v_add_nc_u32_e32 v1, v16, v1
	ds_load_b32 v17, v1 offset:12284
; %bb.71:
	s_or_b32 exec_lo, exec_lo, s0
	v_lshl_add_u64 v[14:15], v[14:15], 2, s[14:15]
	s_wait_dscnt 0x0
	s_barrier_signal -1
	s_barrier_wait -1
	s_clause 0xb
	flat_load_b32 v1, v[14:15] offset:-4
	flat_load_b32 v18, v[14:15] offset:-1028
	;; [unrolled: 1-line block ×12, first 2 shown]
	v_cmp_ne_u32_e32 vcc_lo, v17, v2
	v_cmp_ne_u32_e64 s4, v8, v9
	s_mov_b32 s0, -1
	s_wait_loadcnt_dscnt 0xa0a
	ds_store_2addr_stride64_b32 v20, v1, v18 offset1:4
	s_wait_loadcnt_dscnt 0x809
	ds_store_2addr_stride64_b32 v20, v21, v22 offset0:8 offset1:12
	s_wait_loadcnt_dscnt 0x608
	ds_store_2addr_stride64_b32 v20, v23, v24 offset0:16 offset1:20
	;; [unrolled: 2-line block ×5, first 2 shown]
	v_cndmask_b32_e64 v19, 0, 1, vcc_lo
	v_cmp_ne_u32_e32 vcc_lo, v2, v3
	s_wait_dscnt 0x0
	s_barrier_signal -1
	s_barrier_wait -1
	v_cndmask_b32_e64 v43, 0, 1, vcc_lo
	v_cmp_ne_u32_e32 vcc_lo, v3, v4
	ds_load_b128 v[24:27], v16
	ds_load_b128 v[28:31], v16 offset:16
	v_cndmask_b32_e64 v47, 0, 1, vcc_lo
	v_cmp_ne_u32_e32 vcc_lo, v4, v5
	v_cndmask_b32_e64 v45, 0, 1, vcc_lo
	v_cmp_ne_u32_e32 vcc_lo, v5, v10
	ds_load_b128 v[2:5], v16 offset:32
	v_cndmask_b32_e64 v49, 0, 1, vcc_lo
	v_cmp_ne_u32_e32 vcc_lo, v10, v11
	s_wait_dscnt 0x2
	v_dual_mov_b32 v18, v24 :: v_dual_mov_b32 v42, v25
	v_cndmask_b32_e64 v51, 0, 1, vcc_lo
	v_cmp_ne_u32_e32 vcc_lo, v11, v12
	v_dual_mov_b32 v46, v26 :: v_dual_mov_b32 v44, v27
	s_wait_dscnt 0x1
	v_dual_mov_b32 v48, v28 :: v_dual_mov_b32 v50, v29
	v_cndmask_b32_e64 v53, 0, 1, vcc_lo
	v_cmp_ne_u32_e32 vcc_lo, v12, v13
	v_dual_mov_b32 v52, v30 :: v_dual_mov_b32 v54, v31
	s_wait_dscnt 0x0
	v_dual_mov_b32 v56, v2 :: v_dual_mov_b32 v58, v3
	v_cndmask_b32_e64 v55, 0, 1, vcc_lo
	v_cmp_ne_u32_e32 vcc_lo, v13, v6
	v_mov_b64_e32 v[40:41], v[42:43]
	v_mov_b64_e32 v[38:39], v[46:47]
	;; [unrolled: 1-line block ×4, first 2 shown]
	v_cndmask_b32_e64 v57, 0, 1, vcc_lo
	v_cmp_ne_u32_e32 vcc_lo, v6, v7
	v_mov_b64_e32 v[32:33], v[50:51]
	v_mov_b64_e32 v[30:31], v[52:53]
	;; [unrolled: 1-line block ×4, first 2 shown]
	v_cndmask_b32_e64 v59, 0, 1, vcc_lo
	v_cmp_ne_u32_e32 vcc_lo, v7, v8
	v_mov_b32_e32 v22, v4
	s_delay_alu instid0(VALU_DEP_3)
	v_mov_b64_e32 v[24:25], v[58:59]
	v_cndmask_b32_e64 v23, 0, 1, vcc_lo
.LBB83_72:
	v_mov_b64_e32 v[16:17], 0
	s_and_saveexec_b32 s1, s0
	s_cbranch_execz .LBB83_74
; %bb.73:
	v_mov_b64_e32 v[24:25], v[58:59]
	v_mov_b64_e32 v[26:27], v[56:57]
	;; [unrolled: 1-line block ×9, first 2 shown]
	v_cndmask_b32_e64 v17, 0, 1, s4
	v_mov_b32_e32 v16, v5
.LBB83_74:
	s_or_b32 exec_lo, exec_lo, s1
	v_dual_lshrrev_b32 v1, 2, v0 :: v_dual_bitop2_b32 v42, v29, v27 bitop3:0x54
	v_or_b32_e32 v21, v25, v23
	s_cmp_lg_u32 s16, 0
	s_wait_dscnt 0x0
	v_cmp_gt_u32_e32 vcc_lo, 32, v0
	s_barrier_signal -1
	s_barrier_wait -1
	s_cbranch_scc0 .LBB83_112
; %bb.75:
	s_mov_b64 s[12:13], 0x100000000
	v_max_i32_e32 v2, v40, v18
	v_cmp_gt_u64_e64 s0, s[12:13], v[40:41]
	v_cmp_gt_u64_e64 s1, s[12:13], v[38:39]
	;; [unrolled: 1-line block ×7, first 2 shown]
	v_dual_cndmask_b32 v2, v40, v2, s0 :: v_dual_bitop2_b32 v5, 56, v1 bitop3:0x40
	v_cmp_gt_u64_e64 s9, s[12:13], v[26:27]
	v_cmp_gt_u64_e64 s10, s[12:13], v[24:25]
	v_cmp_gt_u64_e64 s11, s[12:13], v[22:23]
	v_cmp_gt_u64_e64 s12, s[12:13], v[16:17]
	v_max_i32_e32 v2, v38, v2
	v_or3_b32 v3, v42, v31, v33
	v_lshl_add_u32 v5, v0, 3, v5
	s_delay_alu instid0(VALU_DEP_3) | instskip(NEXT) | instid1(VALU_DEP_3)
	v_cndmask_b32_e64 v2, v38, v2, s1
	v_or3_b32 v3, v3, v35, v37
	s_delay_alu instid0(VALU_DEP_2) | instskip(NEXT) | instid1(VALU_DEP_2)
	v_max_i32_e32 v2, v36, v2
	v_or3_b32 v3, v3, v39, v41
	s_delay_alu instid0(VALU_DEP_2) | instskip(NEXT) | instid1(VALU_DEP_2)
	v_cndmask_b32_e64 v2, v36, v2, s4
	v_or3_b32 v3, v17, v21, v3
	s_delay_alu instid0(VALU_DEP_2) | instskip(NEXT) | instid1(VALU_DEP_2)
	v_max_i32_e32 v2, v34, v2
	v_and_b32_e32 v3, 0xff, v3
	s_delay_alu instid0(VALU_DEP_2) | instskip(NEXT) | instid1(VALU_DEP_1)
	v_cndmask_b32_e64 v2, v34, v2, s5
	v_max_i32_e32 v2, v32, v2
	s_delay_alu instid0(VALU_DEP_1) | instskip(NEXT) | instid1(VALU_DEP_1)
	v_cndmask_b32_e64 v2, v32, v2, s6
	v_max_i32_e32 v2, v30, v2
	s_delay_alu instid0(VALU_DEP_1) | instskip(NEXT) | instid1(VALU_DEP_1)
	;; [unrolled: 3-line block ×6, first 2 shown]
	v_dual_cndmask_b32 v4, v22, v2, s11 :: v_dual_mov_b32 v2, 0
	v_max_i32_e32 v4, v16, v4
	s_delay_alu instid0(VALU_DEP_2) | instskip(NEXT) | instid1(VALU_DEP_1)
	v_cmp_eq_u64_e64 s13, 0, v[2:3]
	v_dual_cndmask_b32 v12, v16, v4, s12 :: v_dual_cndmask_b32 v13, 1, v19, s13
	ds_store_b32 v5, v12
	ds_store_b8 v5, v13 offset:4
	s_wait_dscnt 0x0
	s_barrier_signal -1
	s_barrier_wait -1
	s_and_saveexec_b32 s15, vcc_lo
	s_cbranch_execz .LBB83_85
; %bb.76:
	v_dual_lshlrev_b32 v2, 1, v0 :: v_dual_lshlrev_b32 v3, 6, v0
	s_mov_b32 s14, exec_lo
	s_delay_alu instid0(VALU_DEP_1) | instskip(NEXT) | instid1(VALU_DEP_1)
	v_and_b32_e32 v2, 0x1f8, v2
	v_add_nc_u32_e32 v4, v2, v3
	ds_load_2addr_b32 v[6:7], v4 offset0:2 offset1:4
	ds_load_b64 v[2:3], v4
	ds_load_u8 v5, v4 offset:12
	ds_load_2addr_b32 v[8:9], v4 offset0:6 offset1:8
	ds_load_u8 v10, v4 offset:20
	ds_load_u8 v11, v4 offset:28
	ds_load_u8 v14, v4 offset:36
	ds_load_u8 v15, v4 offset:44
	ds_load_u8 v43, v4 offset:52
	ds_load_b32 v44, v4 offset:56
	s_wait_dscnt 0x8
	v_max_i32_e32 v45, v6, v2
	s_wait_dscnt 0x7
	v_cmp_eq_u16_e64 s13, 0, v5
	s_delay_alu instid0(VALU_DEP_1) | instskip(SKIP_2) | instid1(VALU_DEP_2)
	v_cndmask_b32_e64 v6, v6, v45, s13
	s_wait_dscnt 0x5
	v_cmp_eq_u16_e64 s13, 0, v10
	v_max_i32_e32 v6, v7, v6
	s_delay_alu instid0(VALU_DEP_1) | instskip(SKIP_4) | instid1(VALU_DEP_1)
	v_cndmask_b32_e64 v45, v7, v6, s13
	ds_load_2addr_b32 v[6:7], v4 offset0:10 offset1:12
	s_wait_dscnt 0x5
	v_cmp_eq_u16_e64 s13, 0, v11
	v_max_i32_e32 v45, v8, v45
	v_cndmask_b32_e64 v8, v8, v45, s13
	ds_load_u8 v45, v4 offset:60
	s_wait_dscnt 0x5
	v_cmp_eq_u16_e64 s13, 0, v14
	v_max_i32_e32 v8, v9, v8
	s_delay_alu instid0(VALU_DEP_1) | instskip(SKIP_3) | instid1(VALU_DEP_2)
	v_cndmask_b32_e64 v8, v9, v8, s13
	s_wait_dscnt 0x4
	v_cmp_eq_u16_e64 s13, 0, v15
	s_wait_dscnt 0x1
	v_max_i32_e32 v8, v6, v8
	s_wait_dscnt 0x0
	s_delay_alu instid0(VALU_DEP_1) | instskip(NEXT) | instid1(VALU_DEP_1)
	v_dual_cndmask_b32 v6, v6, v8, s13 :: v_dual_bitop2_b32 v8, 1, v45 bitop3:0x40
	v_max_i32_e32 v6, v7, v6
	v_or_b32_e32 v5, v10, v5
	s_delay_alu instid0(VALU_DEP_1) | instskip(NEXT) | instid1(VALU_DEP_1)
	v_bitop3_b16 v5, v5, v14, v11 bitop3:0xfe
	v_bitop3_b16 v9, v5, v43, v15 bitop3:0xfe
	v_and_b32_e32 v5, 1, v3
	s_delay_alu instid0(VALU_DEP_2) | instskip(NEXT) | instid1(VALU_DEP_1)
	v_cmp_eq_u16_e64 s13, 0, v9
	v_cndmask_b32_e64 v9, 1, v5, s13
	v_cmp_eq_u32_e64 s13, 1, v8
	s_delay_alu instid0(VALU_DEP_1) | instskip(SKIP_1) | instid1(VALU_DEP_2)
	v_cndmask_b32_e64 v9, v9, 1, s13
	v_cmp_eq_u16_e64 s13, 0, v43
	v_and_b32_e32 v8, 0xffff, v9
	s_delay_alu instid0(VALU_DEP_2) | instskip(SKIP_2) | instid1(VALU_DEP_3)
	v_cndmask_b32_e64 v7, v7, v6, s13
	v_and_b32_e32 v6, 0xffffff00, v3
	v_cmp_eq_u16_e64 s13, 0, v45
	v_max_i32_e32 v10, v44, v7
	v_mbcnt_lo_u32_b32 v7, -1, 0
	s_delay_alu instid0(VALU_DEP_2) | instskip(NEXT) | instid1(VALU_DEP_2)
	v_dual_cndmask_b32 v8, v44, v10, s13 :: v_dual_bitop2_b32 v11, v6, v8 bitop3:0x54
	v_and_b32_e32 v10, 15, v7
	s_delay_alu instid0(VALU_DEP_2) | instskip(NEXT) | instid1(VALU_DEP_3)
	v_mov_b32_dpp v15, v11 row_shr:1 row_mask:0xf bank_mask:0xf
	v_mov_b32_dpp v14, v8 row_shr:1 row_mask:0xf bank_mask:0xf
	s_delay_alu instid0(VALU_DEP_3)
	v_cmpx_ne_u32_e32 0, v10
	s_cbranch_execz .LBB83_78
; %bb.77:
	v_and_b32_e32 v11, 1, v9
	v_and_b32_e32 v15, 1, v15
	s_delay_alu instid0(VALU_DEP_2) | instskip(SKIP_1) | instid1(VALU_DEP_2)
	v_cmp_eq_u32_e64 s13, 1, v11
	v_max_i32_e32 v11, v8, v14
	v_cndmask_b32_e64 v15, v15, 1, s13
	v_cmp_eq_u16_e64 s13, 0, v9
	s_delay_alu instid0(VALU_DEP_2) | instskip(NEXT) | instid1(VALU_DEP_2)
	v_and_b32_e32 v14, 0xffff, v15
	v_dual_cndmask_b32 v8, v8, v11, s13 :: v_dual_mov_b32 v9, v15
	s_delay_alu instid0(VALU_DEP_2)
	v_or_b32_e32 v11, v6, v14
.LBB83_78:
	s_or_b32 exec_lo, exec_lo, s14
	s_delay_alu instid0(VALU_DEP_2) | instskip(NEXT) | instid1(VALU_DEP_2)
	v_mov_b32_dpp v14, v8 row_shr:2 row_mask:0xf bank_mask:0xf
	v_mov_b32_dpp v15, v11 row_shr:2 row_mask:0xf bank_mask:0xf
	s_mov_b32 s14, exec_lo
	v_cmpx_lt_u32_e32 1, v10
	s_cbranch_execz .LBB83_80
; %bb.79:
	v_and_b32_e32 v11, 1, v9
	v_and_b32_e32 v15, 1, v15
	s_delay_alu instid0(VALU_DEP_2) | instskip(SKIP_1) | instid1(VALU_DEP_2)
	v_cmp_eq_u32_e64 s13, 1, v11
	v_max_i32_e32 v11, v8, v14
	v_cndmask_b32_e64 v15, v15, 1, s13
	v_cmp_eq_u16_e64 s13, 0, v9
	s_delay_alu instid0(VALU_DEP_2) | instskip(NEXT) | instid1(VALU_DEP_2)
	v_and_b32_e32 v14, 0xffff, v15
	v_dual_cndmask_b32 v8, v8, v11, s13 :: v_dual_mov_b32 v9, v15
	s_delay_alu instid0(VALU_DEP_2)
	v_or_b32_e32 v11, v6, v14
.LBB83_80:
	s_or_b32 exec_lo, exec_lo, s14
	s_delay_alu instid0(VALU_DEP_2) | instskip(NEXT) | instid1(VALU_DEP_2)
	v_mov_b32_dpp v14, v8 row_shr:4 row_mask:0xf bank_mask:0xf
	v_mov_b32_dpp v15, v11 row_shr:4 row_mask:0xf bank_mask:0xf
	s_mov_b32 s14, exec_lo
	v_cmpx_lt_u32_e32 3, v10
	;; [unrolled: 21-line block ×3, first 2 shown]
	s_cbranch_execz .LBB83_84
; %bb.83:
	v_and_b32_e32 v10, 1, v9
	v_and_b32_e32 v11, 1, v15
	s_delay_alu instid0(VALU_DEP_2) | instskip(NEXT) | instid1(VALU_DEP_1)
	v_cmp_eq_u32_e64 s13, 1, v10
	v_cndmask_b32_e64 v10, v11, 1, s13
	v_max_i32_e32 v11, v8, v14
	v_cmp_eq_u16_e64 s13, 0, v9
	s_delay_alu instid0(VALU_DEP_3) | instskip(NEXT) | instid1(VALU_DEP_2)
	v_and_b32_e32 v14, 0xffff, v10
	v_dual_mov_b32 v9, v10 :: v_dual_cndmask_b32 v8, v8, v11, s13
	s_delay_alu instid0(VALU_DEP_2)
	v_or_b32_e32 v11, v6, v14
.LBB83_84:
	s_or_b32 exec_lo, exec_lo, s14
	ds_swizzle_b32 v10, v8 offset:swizzle(BROADCAST,32,15)
	ds_swizzle_b32 v11, v11 offset:swizzle(BROADCAST,32,15)
	v_cmp_eq_u16_e64 s13, 0, v9
	v_and_b32_e32 v3, 0xff, v3
	; wave barrier
	s_wait_dscnt 0x1
	v_max_i32_e32 v10, v8, v10
	v_and_b32_e32 v14, 16, v7
	s_wait_dscnt 0x0
	s_delay_alu instid0(VALU_DEP_2) | instskip(NEXT) | instid1(VALU_DEP_2)
	v_dual_cndmask_b32 v10, v8, v10, s13 :: v_dual_bitop2_b32 v11, 1, v11 bitop3:0x40
	v_cmp_eq_u32_e64 s13, 0, v14
	v_dual_add_nc_u32 v14, -1, v7 :: v_dual_bitop2_b32 v15, 1, v9 bitop3:0x40
	s_delay_alu instid0(VALU_DEP_2) | instskip(NEXT) | instid1(VALU_DEP_2)
	v_cndmask_b32_e64 v8, v10, v8, s13
	v_cmp_eq_u32_e64 s14, 1, v15
	s_delay_alu instid0(VALU_DEP_1) | instskip(NEXT) | instid1(VALU_DEP_1)
	v_cndmask_b32_e64 v11, v11, 1, s14
	v_cndmask_b32_e64 v9, v11, v9, s13
	v_cmp_gt_i32_e64 s13, 0, v14
	s_delay_alu instid0(VALU_DEP_1) | instskip(NEXT) | instid1(VALU_DEP_3)
	v_cndmask_b32_e64 v7, v14, v7, s13
	v_and_b32_e32 v9, 0xffff, v9
	v_cmp_eq_u16_e64 s13, 0, v3
	s_delay_alu instid0(VALU_DEP_2)
	v_dual_lshlrev_b32 v7, 2, v7 :: v_dual_bitop2_b32 v6, v6, v9 bitop3:0x54
	ds_bpermute_b32 v8, v7, v8
	ds_bpermute_b32 v6, v7, v6
	s_wait_dscnt 0x1
	v_max_i32_e32 v7, v2, v8
	s_wait_dscnt 0x0
	s_delay_alu instid0(VALU_DEP_1) | instskip(SKIP_1) | instid1(VALU_DEP_2)
	v_dual_cndmask_b32 v2, v2, v7, s13 :: v_dual_bitop2_b32 v6, 1, v6 bitop3:0x40
	v_cmp_eq_u32_e64 s13, 1, v5
	v_cndmask_b32_e64 v5, v2, v12, s2
	s_delay_alu instid0(VALU_DEP_2) | instskip(NEXT) | instid1(VALU_DEP_1)
	v_cndmask_b32_e64 v3, v6, 1, s13
	v_cndmask_b32_e64 v8, v3, v13, s2
	ds_store_b32 v4, v5
	ds_store_b8 v4, v8 offset:4
	; wave barrier
	ds_load_2addr_b32 v[2:3], v4 offset0:2 offset1:4
	ds_load_u8 v9, v4 offset:12
	ds_load_u8 v10, v4 offset:20
	ds_load_2addr_b32 v[6:7], v4 offset0:6 offset1:8
	ds_load_u8 v11, v4 offset:28
	ds_load_u8 v14, v4 offset:36
	;; [unrolled: 1-line block ×4, first 2 shown]
	ds_load_b32 v44, v4 offset:56
	ds_load_u8 v45, v4 offset:60
	s_wait_dscnt 0x9
	v_max_i32_e32 v5, v2, v5
	s_wait_dscnt 0x8
	v_cmp_eq_u16_e64 s13, 0, v9
	s_wait_dscnt 0x0
	v_and_b32_e32 v48, 1, v45
	s_delay_alu instid0(VALU_DEP_2) | instskip(SKIP_2) | instid1(VALU_DEP_3)
	v_cndmask_b32_e64 v5, v2, v5, s13
	v_cmp_eq_u16_e64 s13, 0, v10
	v_and_b32_e32 v10, 1, v10
	v_max_i32_e32 v2, v3, v5
	s_delay_alu instid0(VALU_DEP_1)
	v_cndmask_b32_e64 v46, v3, v2, s13
	ds_load_2addr_b32 v[2:3], v4 offset0:10 offset1:12
	v_cmp_eq_u16_e64 s13, 0, v11
	v_max_i32_e32 v47, v6, v46
	ds_store_2addr_b32 v4, v5, v46 offset0:2 offset1:4
	v_cndmask_b32_e64 v6, v6, v47, s13
	s_delay_alu instid0(VALU_DEP_1) | instskip(SKIP_1) | instid1(VALU_DEP_1)
	v_max_i32_e32 v47, v7, v6
	v_and_b32_e32 v9, 1, v9
	v_cmp_eq_u32_e64 s13, 1, v9
	v_and_b32_e32 v9, 1, v11
	v_and_b32_e32 v11, 1, v14
	s_delay_alu instid0(VALU_DEP_3) | instskip(SKIP_1) | instid1(VALU_DEP_1)
	v_cndmask_b32_e64 v8, v8, 1, s13
	v_cmp_eq_u16_e64 s13, 0, v14
	v_cndmask_b32_e64 v7, v7, v47, s13
	v_cmp_eq_u32_e64 s13, 1, v10
	v_and_b32_e32 v47, 1, v15
	s_wait_dscnt 0x1
	s_delay_alu instid0(VALU_DEP_3) | instskip(NEXT) | instid1(VALU_DEP_3)
	v_max_i32_e32 v14, v2, v7
	v_cndmask_b32_e64 v10, v8, 1, s13
	v_cmp_eq_u32_e64 s13, 1, v9
	s_delay_alu instid0(VALU_DEP_1) | instskip(SKIP_1) | instid1(VALU_DEP_1)
	v_cndmask_b32_e64 v9, v10, 1, s13
	v_cmp_eq_u16_e64 s13, 0, v15
	v_cndmask_b32_e64 v2, v2, v14, s13
	v_cmp_eq_u32_e64 s13, 1, v11
	v_and_b32_e32 v14, 1, v43
	s_delay_alu instid0(VALU_DEP_3) | instskip(NEXT) | instid1(VALU_DEP_3)
	v_max_i32_e32 v15, v3, v2
	v_cndmask_b32_e64 v11, v9, 1, s13
	v_cmp_eq_u32_e64 s13, 1, v47
	s_delay_alu instid0(VALU_DEP_1) | instskip(SKIP_1) | instid1(VALU_DEP_1)
	v_cndmask_b32_e64 v47, v11, 1, s13
	v_cmp_eq_u16_e64 s13, 0, v43
	v_cndmask_b32_e64 v3, v3, v15, s13
	v_cmp_eq_u32_e64 s13, 1, v14
	ds_store_2addr_b32 v4, v6, v7 offset0:6 offset1:8
	ds_store_2addr_b32 v4, v2, v3 offset0:10 offset1:12
	v_max_i32_e32 v5, v44, v3
	v_cndmask_b32_e64 v14, v47, 1, s13
	v_cmp_eq_u32_e64 s13, 1, v48
	s_delay_alu instid0(VALU_DEP_1) | instskip(SKIP_1) | instid1(VALU_DEP_1)
	v_cndmask_b32_e64 v15, v14, 1, s13
	v_cmp_eq_u16_e64 s13, 0, v45
	v_cndmask_b32_e64 v2, v44, v5, s13
	ds_store_b8 v4, v8 offset:12
	ds_store_b8 v4, v10 offset:20
	;; [unrolled: 1-line block ×6, first 2 shown]
	ds_store_b32 v4, v2 offset:56
	ds_store_b8 v4, v15 offset:60
.LBB83_85:
	s_or_b32 exec_lo, exec_lo, s15
	s_wait_dscnt 0x0
	s_barrier_signal -1
	s_barrier_wait -1
	s_and_saveexec_b32 s13, s3
	s_cbranch_execz .LBB83_87
; %bb.86:
	v_add_nc_u32_e32 v2, -1, v0
	s_delay_alu instid0(VALU_DEP_1) | instskip(NEXT) | instid1(VALU_DEP_1)
	v_lshrrev_b32_e32 v3, 2, v2
	v_and_b32_e32 v3, 0x3ffffff8, v3
	s_delay_alu instid0(VALU_DEP_1)
	v_lshl_add_u32 v2, v2, 3, v3
	ds_load_b32 v12, v2
	ds_load_u8 v13, v2 offset:4
.LBB83_87:
	s_or_b32 exec_lo, exec_lo, s13
	s_and_saveexec_b32 s24, vcc_lo
	s_cbranch_execz .LBB83_117
; %bb.88:
	v_mov_b32_e32 v5, 0
	v_mbcnt_lo_u32_b32 v14, -1, 0
	s_mov_b32 s15, 0
	ds_load_b64 v[2:3], v5 offset:2096
	v_cmp_eq_u32_e64 s13, 0, v14
	s_and_saveexec_b32 s20, s13
	s_cbranch_execz .LBB83_90
; %bb.89:
	s_add_co_i32 s14, s16, 32
	v_mov_b32_e32 v4, 1
	s_lshl_b64 s[14:15], s[14:15], 4
	s_delay_alu instid0(SALU_CYCLE_1) | instskip(NEXT) | instid1(SALU_CYCLE_1)
	s_add_nc_u64 s[14:15], s[36:37], s[14:15]
	v_mov_b64_e32 v[6:7], s[14:15]
	s_wait_dscnt 0x0
	;;#ASMSTART
	global_store_b128 v[6:7], v[2:5] off scope:SCOPE_DEV	
s_wait_storecnt 0x0
	;;#ASMEND
.LBB83_90:
	s_or_b32 exec_lo, exec_lo, s20
	v_xad_u32 v8, v14, -1, s16
	s_mov_b32 s14, exec_lo
	s_delay_alu instid0(VALU_DEP_1) | instskip(NEXT) | instid1(VALU_DEP_1)
	v_add_nc_u32_e32 v4, 32, v8
	v_lshl_add_u64 v[10:11], v[4:5], 4, s[36:37]
	;;#ASMSTART
	global_load_b128 v[4:7], v[10:11] off scope:SCOPE_DEV	
s_wait_loadcnt 0x0
	;;#ASMEND
	v_and_b32_e32 v7, 0xff, v6
	v_and_b32_e32 v5, 0xff, v5
	s_delay_alu instid0(VALU_DEP_2)
	v_cmpx_eq_u16_e32 0, v7
	s_cbranch_execz .LBB83_94
; %bb.91:
	s_mov_b32 s15, 0
.LBB83_92:                              ; =>This Inner Loop Header: Depth=1
	;;#ASMSTART
	global_load_b128 v[4:7], v[10:11] off scope:SCOPE_DEV	
s_wait_loadcnt 0x0
	;;#ASMEND
	v_and_b32_e32 v7, 0xff, v6
	s_delay_alu instid0(VALU_DEP_1) | instskip(SKIP_1) | instid1(SALU_CYCLE_1)
	v_cmp_ne_u16_e32 vcc_lo, 0, v7
	s_or_b32 s15, vcc_lo, s15
	s_and_not1_b32 exec_lo, exec_lo, s15
	s_cbranch_execnz .LBB83_92
; %bb.93:
	s_or_b32 exec_lo, exec_lo, s15
	v_and_b32_e32 v5, 0xff, v5
.LBB83_94:
	s_or_b32 exec_lo, exec_lo, s14
	v_cmp_ne_u32_e32 vcc_lo, 31, v14
	v_and_b32_e32 v9, 0xff, v6
	v_lshlrev_b32_e64 v43, v14, -1
	s_mov_b64 s[20:21], 0x100000000
	v_lshl_or_b32 v52, v14, 2, 64
	v_add_co_ci_u32_e64 v7, null, 0, v14, vcc_lo
	v_cmp_eq_u16_e32 vcc_lo, 2, v9
	v_cmp_gt_u64_e64 s14, s[20:21], v[4:5]
	s_delay_alu instid0(VALU_DEP_3) | instskip(SKIP_2) | instid1(VALU_DEP_3)
	v_dual_lshlrev_b32 v15, 2, v7 :: v_dual_bitop2_b32 v10, 1, v5 bitop3:0x40
	v_add_nc_u32_e32 v53, 16, v14
	v_and_or_b32 v9, vcc_lo, v43, 0x80000000
	v_cmp_eq_u32_e32 vcc_lo, 1, v10
	ds_bpermute_b32 v7, v15, v5
	ds_bpermute_b32 v11, v15, v4
	v_ctz_i32_b32_e32 v9, v9
	s_wait_dscnt 0x1
	v_and_b32_e32 v7, 1, v7
	s_wait_dscnt 0x0
	v_max_i32_e32 v11, v4, v11
	s_delay_alu instid0(VALU_DEP_2) | instskip(SKIP_1) | instid1(VALU_DEP_2)
	v_cndmask_b32_e64 v7, v7, 1, vcc_lo
	v_cmp_gt_u32_e32 vcc_lo, 30, v14
	v_and_b32_e32 v45, 0xffff, v7
	v_cndmask_b32_e64 v10, 0, 2, vcc_lo
	v_cmp_lt_u32_e32 vcc_lo, v14, v9
	s_delay_alu instid0(VALU_DEP_2) | instskip(NEXT) | instid1(VALU_DEP_4)
	v_add_lshl_u32 v44, v10, v14, 2
	v_dual_cndmask_b32 v10, v5, v45 :: v_dual_cndmask_b32 v7, v5, v7
	s_and_b32 vcc_lo, vcc_lo, s14
	v_dual_cndmask_b32 v4, v4, v11 :: v_dual_add_nc_u32 v45, 2, v14
	ds_bpermute_b32 v5, v44, v10
	s_wait_dscnt 0x0
	v_and_b32_e32 v5, 1, v5
	v_and_b32_e32 v46, 1, v7
	;; [unrolled: 1-line block ×3, first 2 shown]
	s_delay_alu instid0(VALU_DEP_2) | instskip(NEXT) | instid1(VALU_DEP_2)
	v_cmp_eq_u32_e32 vcc_lo, 1, v46
	v_cmp_eq_u16_e64 s14, 0, v48
	v_cndmask_b32_e64 v5, v5, 1, vcc_lo
	v_cmp_gt_u32_e32 vcc_lo, 28, v14
	s_delay_alu instid0(VALU_DEP_2) | instskip(SKIP_2) | instid1(VALU_DEP_2)
	v_and_b32_e32 v47, 0xffff, v5
	v_cndmask_b32_e64 v46, 0, 4, vcc_lo
	v_cmp_gt_u32_e32 vcc_lo, v45, v9
	v_add_lshl_u32 v46, v46, v14, 2
	s_delay_alu instid0(VALU_DEP_4)
	v_dual_cndmask_b32 v5, v5, v7, vcc_lo :: v_dual_cndmask_b32 v7, v47, v10, vcc_lo
	ds_bpermute_b32 v11, v44, v4
	v_dual_add_nc_u32 v47, 4, v14 :: v_dual_bitop2_b32 v48, 1, v5 bitop3:0x40
	v_and_b32_e32 v49, 0xff, v5
	s_wait_dscnt 0x0
	v_max_i32_e32 v11, v4, v11
	s_delay_alu instid0(VALU_DEP_1)
	v_cndmask_b32_e64 v10, v4, v11, s14
	ds_bpermute_b32 v11, v46, v7
	v_cmp_eq_u16_e64 s14, 0, v49
	v_dual_cndmask_b32 v4, v10, v4 :: v_dual_add_nc_u32 v49, 8, v14
	v_cmp_eq_u32_e32 vcc_lo, 1, v48
	ds_bpermute_b32 v10, v46, v4
	s_wait_dscnt 0x1
	v_and_b32_e32 v11, 1, v11
	s_delay_alu instid0(VALU_DEP_1) | instskip(SKIP_1) | instid1(VALU_DEP_2)
	v_cndmask_b32_e64 v11, v11, 1, vcc_lo
	v_cmp_gt_u32_e32 vcc_lo, 24, v14
	v_and_b32_e32 v50, 0xffff, v11
	v_cndmask_b32_e64 v48, 0, 8, vcc_lo
	v_cmp_gt_u32_e32 vcc_lo, v47, v9
	s_wait_dscnt 0x0
	v_max_i32_e32 v10, v4, v10
	s_delay_alu instid0(VALU_DEP_3) | instskip(NEXT) | instid1(VALU_DEP_2)
	v_add_lshl_u32 v48, v48, v14, 2
	v_dual_cndmask_b32 v5, v11, v5, vcc_lo :: v_dual_cndmask_b32 v10, v4, v10, s14
	s_delay_alu instid0(VALU_DEP_1) | instskip(NEXT) | instid1(VALU_DEP_2)
	v_dual_cndmask_b32 v7, v50, v7, vcc_lo :: v_dual_bitop2_b32 v50, 1, v5 bitop3:0x40
	v_cndmask_b32_e32 v4, v10, v4, vcc_lo
	ds_bpermute_b32 v10, v48, v7
	v_and_b32_e32 v51, 0xff, v5
	v_cmp_eq_u32_e32 vcc_lo, 1, v50
	ds_bpermute_b32 v11, v48, v4
	s_wait_dscnt 0x0
	v_max_i32_e32 v11, v4, v11
	v_and_b32_e32 v10, 1, v10
	s_delay_alu instid0(VALU_DEP_1) | instskip(SKIP_1) | instid1(VALU_DEP_2)
	v_cndmask_b32_e64 v10, v10, 1, vcc_lo
	v_cmp_eq_u16_e32 vcc_lo, 0, v51
	v_and_b32_e32 v50, 0xffff, v10
	v_cndmask_b32_e32 v11, v4, v11, vcc_lo
	v_cmp_gt_u32_e32 vcc_lo, v49, v9
	s_delay_alu instid0(VALU_DEP_2) | instskip(NEXT) | instid1(VALU_DEP_1)
	v_dual_cndmask_b32 v5, v10, v5 :: v_dual_cndmask_b32 v4, v11, v4
	v_and_b32_e32 v11, 0xff, v5
	ds_bpermute_b32 v10, v52, v4
	v_dual_cndmask_b32 v7, v50, v7, vcc_lo :: v_dual_bitop2_b32 v50, 1, v5 bitop3:0x40
	v_cmp_eq_u16_e32 vcc_lo, 0, v11
	s_wait_dscnt 0x0
	v_max_i32_e32 v10, v4, v10
	ds_bpermute_b32 v7, v52, v7
	v_cndmask_b32_e32 v10, v4, v10, vcc_lo
	v_cmp_eq_u32_e32 vcc_lo, 1, v50
	s_wait_dscnt 0x0
	v_and_b32_e32 v7, 1, v7
	s_delay_alu instid0(VALU_DEP_1) | instskip(SKIP_1) | instid1(VALU_DEP_2)
	v_cndmask_b32_e64 v7, v7, 1, vcc_lo
	v_cmp_gt_u32_e32 vcc_lo, v53, v9
	v_dual_mov_b32 v9, 0 :: v_dual_cndmask_b32 v5, v7, v5, vcc_lo
	v_cndmask_b32_e32 v4, v10, v4, vcc_lo
	s_branch .LBB83_98
.LBB83_95:                              ;   in Loop: Header=BB83_98 Depth=1
	s_or_b32 exec_lo, exec_lo, s15
	v_and_b32_e32 v5, 0xff, v5
.LBB83_96:                              ;   in Loop: Header=BB83_98 Depth=1
	s_or_b32 exec_lo, exec_lo, s14
	ds_bpermute_b32 v7, v15, v5
	ds_bpermute_b32 v54, v15, v4
	v_and_b32_e32 v10, 0xff, v6
	v_cmp_gt_u64_e64 s14, s[20:21], v[4:5]
	v_subrev_nc_u32_e32 v8, 32, v8
	s_delay_alu instid0(VALU_DEP_3) | instskip(SKIP_2) | instid1(VALU_DEP_2)
	v_cmp_eq_u16_e32 vcc_lo, 2, v10
	v_and_b32_e32 v10, 1, v5
	v_and_or_b32 v11, vcc_lo, v43, 0x80000000
	v_cmp_eq_u32_e32 vcc_lo, 1, v10
	s_delay_alu instid0(VALU_DEP_2) | instskip(SKIP_3) | instid1(VALU_DEP_1)
	v_ctz_i32_b32_e32 v10, v11
	s_wait_dscnt 0x0
	v_max_i32_e32 v54, v4, v54
	v_and_b32_e32 v7, 1, v7
	v_cndmask_b32_e64 v7, v7, 1, vcc_lo
	v_cmp_lt_u32_e32 vcc_lo, v14, v10
	s_delay_alu instid0(VALU_DEP_2) | instskip(SKIP_1) | instid1(VALU_DEP_2)
	v_and_b32_e32 v11, 0xffff, v7
	v_cndmask_b32_e32 v7, v5, v7, vcc_lo
	v_cndmask_b32_e32 v11, v5, v11, vcc_lo
	s_and_b32 vcc_lo, vcc_lo, s14
	s_delay_alu instid0(VALU_DEP_2)
	v_and_b32_e32 v56, 0xff, v7
	v_cndmask_b32_e32 v4, v4, v54, vcc_lo
	ds_bpermute_b32 v5, v44, v11
	v_cmp_eq_u16_e64 s14, 0, v56
	ds_bpermute_b32 v54, v44, v4
	s_wait_dscnt 0x1
	v_and_b32_e32 v5, 1, v5
	s_wait_dscnt 0x0
	v_max_i32_e32 v54, v4, v54
	v_and_b32_e32 v55, 1, v7
	s_delay_alu instid0(VALU_DEP_1) | instskip(SKIP_2) | instid1(VALU_DEP_2)
	v_cmp_eq_u32_e32 vcc_lo, 1, v55
	v_cndmask_b32_e64 v5, v5, 1, vcc_lo
	v_cmp_gt_u32_e32 vcc_lo, v45, v10
	v_and_b32_e32 v55, 0xffff, v5
	v_cndmask_b32_e32 v5, v5, v7, vcc_lo
	s_delay_alu instid0(VALU_DEP_2) | instskip(NEXT) | instid1(VALU_DEP_2)
	v_dual_cndmask_b32 v7, v55, v11, vcc_lo :: v_dual_cndmask_b32 v11, v4, v54, s14
	v_and_b32_e32 v55, 1, v5
	ds_bpermute_b32 v54, v46, v7
	v_cndmask_b32_e32 v4, v11, v4, vcc_lo
	v_cmp_eq_u32_e32 vcc_lo, 1, v55
	v_and_b32_e32 v55, 0xff, v5
	ds_bpermute_b32 v11, v46, v4
	v_cmp_eq_u16_e64 s14, 0, v55
	s_wait_dscnt 0x0
	v_max_i32_e32 v11, v4, v11
	s_delay_alu instid0(VALU_DEP_1) | instskip(NEXT) | instid1(VALU_DEP_1)
	v_dual_cndmask_b32 v11, v4, v11, s14 :: v_dual_bitop2_b32 v54, 1, v54 bitop3:0x40
	v_cndmask_b32_e64 v54, v54, 1, vcc_lo
	v_cmp_gt_u32_e32 vcc_lo, v47, v10
	s_mov_b32 s14, 0
	s_delay_alu instid0(VALU_DEP_2) | instskip(SKIP_1) | instid1(VALU_DEP_2)
	v_and_b32_e32 v56, 0xffff, v54
	v_dual_cndmask_b32 v4, v11, v4 :: v_dual_cndmask_b32 v5, v54, v5
	v_cndmask_b32_e32 v7, v56, v7, vcc_lo
	ds_bpermute_b32 v54, v48, v4
	v_and_b32_e32 v56, 0xff, v5
	ds_bpermute_b32 v11, v48, v7
	s_wait_dscnt 0x1
	v_max_i32_e32 v54, v4, v54
	v_and_b32_e32 v55, 1, v5
	s_wait_dscnt 0x0
	v_and_b32_e32 v11, 1, v11
	s_delay_alu instid0(VALU_DEP_2) | instskip(NEXT) | instid1(VALU_DEP_2)
	v_cmp_eq_u32_e32 vcc_lo, 1, v55
	v_cndmask_b32_e64 v11, v11, 1, vcc_lo
	v_cmp_eq_u16_e32 vcc_lo, 0, v56
	s_delay_alu instid0(VALU_DEP_2) | instskip(SKIP_2) | instid1(VALU_DEP_2)
	v_and_b32_e32 v55, 0xffff, v11
	v_cndmask_b32_e32 v54, v4, v54, vcc_lo
	v_cmp_gt_u32_e32 vcc_lo, v49, v10
	v_dual_cndmask_b32 v5, v11, v5 :: v_dual_cndmask_b32 v4, v54, v4
	s_delay_alu instid0(VALU_DEP_1)
	v_dual_cndmask_b32 v7, v55, v7, vcc_lo :: v_dual_bitop2_b32 v54, 1, v5 bitop3:0x40
	ds_bpermute_b32 v11, v52, v4
	ds_bpermute_b32 v7, v52, v7
	v_and_b32_e32 v55, 0xff, v5
	v_cmp_eq_u32_e32 vcc_lo, 1, v54
	s_wait_dscnt 0x0
	v_cndmask_b32_e64 v7, v7, 1, vcc_lo
	v_max_i32_e32 v11, v4, v11
	v_cmp_eq_u16_e32 vcc_lo, 0, v55
	s_delay_alu instid0(VALU_DEP_2) | instskip(SKIP_1) | instid1(VALU_DEP_2)
	v_cndmask_b32_e32 v11, v4, v11, vcc_lo
	v_cmp_gt_u32_e32 vcc_lo, v53, v10
	v_dual_cndmask_b32 v4, v11, v4, vcc_lo :: v_dual_bitop2_b32 v10, 1, v50 bitop3:0x40
	v_cndmask_b32_e32 v5, v7, v5, vcc_lo
	v_and_b32_e32 v7, 0xff, v50
	s_delay_alu instid0(VALU_DEP_3) | instskip(NEXT) | instid1(VALU_DEP_2)
	v_max_i32_e32 v4, v51, v4
	v_cmp_eq_u16_e32 vcc_lo, 0, v7
	s_delay_alu instid0(VALU_DEP_2) | instskip(SKIP_1) | instid1(VALU_DEP_2)
	v_dual_cndmask_b32 v4, v51, v4, vcc_lo :: v_dual_bitop2_b32 v5, 1, v5 bitop3:0x40
	v_cmp_eq_u32_e32 vcc_lo, 1, v10
	v_cndmask_b32_e64 v5, v5, 1, vcc_lo
.LBB83_97:                              ;   in Loop: Header=BB83_98 Depth=1
	s_and_b32 vcc_lo, exec_lo, s14
	s_cbranch_vccnz .LBB83_113
.LBB83_98:                              ; =>This Loop Header: Depth=1
                                        ;     Child Loop BB83_101 Depth 2
	v_and_b32_e32 v6, 0xff, v6
	s_delay_alu instid0(VALU_DEP_2) | instskip(SKIP_1) | instid1(VALU_DEP_2)
	v_dual_mov_b32 v50, v5 :: v_dual_mov_b32 v51, v4
	s_mov_b32 s14, -1
                                        ; implicit-def: $vgpr5
                                        ; implicit-def: $vgpr4
	v_cmp_ne_u16_e32 vcc_lo, 2, v6
                                        ; implicit-def: $vgpr6
	s_cmp_lg_u32 vcc_lo, exec_lo
	s_cbranch_scc1 .LBB83_97
; %bb.99:                               ;   in Loop: Header=BB83_98 Depth=1
	v_lshl_add_u64 v[10:11], v[8:9], 4, s[36:37]
	;;#ASMSTART
	global_load_b128 v[4:7], v[10:11] off scope:SCOPE_DEV	
s_wait_loadcnt 0x0
	;;#ASMEND
	v_and_b32_e32 v7, 0xff, v6
	v_and_b32_e32 v5, 0xff, v5
	s_mov_b32 s14, exec_lo
	s_delay_alu instid0(VALU_DEP_2)
	v_cmpx_eq_u16_e32 0, v7
	s_cbranch_execz .LBB83_96
; %bb.100:                              ;   in Loop: Header=BB83_98 Depth=1
	s_mov_b32 s15, 0
.LBB83_101:                             ;   Parent Loop BB83_98 Depth=1
                                        ; =>  This Inner Loop Header: Depth=2
	;;#ASMSTART
	global_load_b128 v[4:7], v[10:11] off scope:SCOPE_DEV	
s_wait_loadcnt 0x0
	;;#ASMEND
	v_and_b32_e32 v7, 0xff, v6
	s_delay_alu instid0(VALU_DEP_1) | instskip(SKIP_1) | instid1(SALU_CYCLE_1)
	v_cmp_ne_u16_e32 vcc_lo, 0, v7
	s_or_b32 s15, vcc_lo, s15
	s_and_not1_b32 exec_lo, exec_lo, s15
	s_cbranch_execnz .LBB83_101
	s_branch .LBB83_95
.LBB83_102:
	s_or_b32 exec_lo, exec_lo, s13
                                        ; implicit-def: $vgpr19
	s_and_saveexec_b32 s13, s0
	s_cbranch_execz .LBB83_33
.LBB83_103:
	v_mov_b32_e32 v3, 0
	s_delay_alu instid0(VALU_DEP_1)
	v_sub_nc_u64_e32 v[22:23], s[14:15], v[2:3]
	flat_load_b32 v19, v[22:23] offset:-1028
	s_wait_xcnt 0x0
	s_or_b32 exec_lo, exec_lo, s13
                                        ; implicit-def: $vgpr21
	s_and_saveexec_b32 s0, s1
	s_cbranch_execnz .LBB83_34
.LBB83_104:
	s_or_b32 exec_lo, exec_lo, s0
                                        ; implicit-def: $vgpr22
	s_and_saveexec_b32 s0, s4
	s_cbranch_execz .LBB83_35
.LBB83_105:
	v_mov_b32_e32 v3, 0
	s_delay_alu instid0(VALU_DEP_1)
	v_sub_nc_u64_e32 v[22:23], s[14:15], v[2:3]
	flat_load_b32 v22, v[22:23] offset:-3076
	s_wait_xcnt 0x0
	s_or_b32 exec_lo, exec_lo, s0
                                        ; implicit-def: $vgpr23
	s_and_saveexec_b32 s0, s5
	s_cbranch_execnz .LBB83_36
.LBB83_106:
	s_or_b32 exec_lo, exec_lo, s0
                                        ; implicit-def: $vgpr24
	s_and_saveexec_b32 s0, s6
	s_cbranch_execz .LBB83_37
.LBB83_107:
	v_mov_b32_e32 v3, 0
	s_delay_alu instid0(VALU_DEP_1)
	v_sub_nc_u64_e32 v[24:25], s[14:15], v[2:3]
	flat_load_b32 v24, v[24:25] offset:-5124
	s_wait_xcnt 0x0
	s_or_b32 exec_lo, exec_lo, s0
                                        ; implicit-def: $vgpr25
	s_and_saveexec_b32 s0, s7
	s_cbranch_execnz .LBB83_38
.LBB83_108:
	s_or_b32 exec_lo, exec_lo, s0
                                        ; implicit-def: $vgpr26
	s_and_saveexec_b32 s0, s8
	s_cbranch_execz .LBB83_39
.LBB83_109:
	v_mov_b32_e32 v3, 0
	s_delay_alu instid0(VALU_DEP_1)
	v_sub_nc_u64_e32 v[26:27], s[14:15], v[2:3]
	flat_load_b32 v26, v[26:27] offset:-7172
	s_wait_xcnt 0x0
	s_or_b32 exec_lo, exec_lo, s0
                                        ; implicit-def: $vgpr27
	s_and_saveexec_b32 s0, s9
	s_cbranch_execnz .LBB83_40
.LBB83_110:
	s_or_b32 exec_lo, exec_lo, s0
                                        ; implicit-def: $vgpr28
	s_and_saveexec_b32 s0, s10
	s_cbranch_execz .LBB83_41
.LBB83_111:
	v_mov_b32_e32 v3, 0
	s_delay_alu instid0(VALU_DEP_1)
	v_sub_nc_u64_e32 v[28:29], s[14:15], v[2:3]
	flat_load_b32 v28, v[28:29] offset:-9220
	s_wait_xcnt 0x0
	s_or_b32 exec_lo, exec_lo, s0
                                        ; implicit-def: $vgpr29
	s_and_saveexec_b32 s0, s11
	s_cbranch_execz .LBB83_43
	s_branch .LBB83_42
.LBB83_112:
                                        ; implicit-def: $vgpr13
                                        ; implicit-def: $vgpr5
                                        ; implicit-def: $vgpr9
                                        ; implicit-def: $vgpr14_vgpr15
	s_cbranch_execnz .LBB83_118
	s_branch .LBB83_135
.LBB83_113:
	s_and_saveexec_b32 s14, s13
	s_cbranch_execz .LBB83_115
; %bb.114:
	v_and_b32_e32 v4, 0xff, v3
	v_max_i32_e32 v5, v2, v51
	s_mov_b32 s21, 0
	s_add_co_i32 s20, s16, 32
	v_and_b32_e32 v6, 1, v50
	v_cmp_eq_u32_e32 vcc_lo, 0, v4
	v_dual_mov_b32 v4, 2 :: v_dual_bitop2_b32 v3, 1, v3 bitop3:0x40
	s_lshl_b64 s[20:21], s[20:21], 4
	s_delay_alu instid0(SALU_CYCLE_1) | instskip(SKIP_1) | instid1(VALU_DEP_2)
	s_add_nc_u64 s[20:21], s[36:37], s[20:21]
	v_cndmask_b32_e32 v2, v2, v5, vcc_lo
	v_cmp_eq_u32_e32 vcc_lo, 1, v3
	v_mov_b32_e32 v5, 0
	v_cndmask_b32_e64 v3, v6, 1, vcc_lo
	v_mov_b64_e32 v[6:7], s[20:21]
	;;#ASMSTART
	global_store_b128 v[6:7], v[2:5] off scope:SCOPE_DEV	
s_wait_storecnt 0x0
	;;#ASMEND
.LBB83_115:
	s_or_b32 exec_lo, exec_lo, s14
	s_delay_alu instid0(SALU_CYCLE_1)
	s_and_b32 exec_lo, exec_lo, s2
	s_cbranch_execz .LBB83_117
; %bb.116:
	v_mov_b32_e32 v2, 0
	ds_store_b32 v2, v51
	ds_store_b8 v2, v50 offset:4
.LBB83_117:
	s_or_b32 exec_lo, exec_lo, s24
	v_dual_mov_b32 v2, 0 :: v_dual_bitop2_b32 v3, 1, v19 bitop3:0x40
	s_wait_dscnt 0x0
	s_barrier_signal -1
	s_barrier_wait -1
	s_delay_alu instid0(VALU_DEP_1) | instskip(SKIP_4) | instid1(VALU_DEP_2)
	v_cmp_eq_u32_e32 vcc_lo, 1, v3
	ds_load_b32 v2, v2
	s_mov_b64 s[14:15], 0x100000000
	v_cndmask_b32_e64 v3, v13, 1, vcc_lo
	v_cmp_gt_u64_e32 vcc_lo, s[14:15], v[18:19]
	v_dual_cndmask_b32 v3, v3, v19, s2 :: v_dual_max_i32 v4, v18, v12
	s_delay_alu instid0(VALU_DEP_1) | instskip(NEXT) | instid1(VALU_DEP_2)
	v_cndmask_b32_e32 v4, v18, v4, vcc_lo
	v_and_b32_e32 v3, 0xff, v3
	s_delay_alu instid0(VALU_DEP_2) | instskip(NEXT) | instid1(VALU_DEP_2)
	v_cndmask_b32_e64 v4, v4, v18, s2
	v_cmp_eq_u16_e32 vcc_lo, 0, v3
	s_wait_dscnt 0x0
	s_delay_alu instid0(VALU_DEP_2) | instskip(NEXT) | instid1(VALU_DEP_1)
	v_max_i32_e32 v2, v4, v2
	v_cndmask_b32_e32 v6, v4, v2, vcc_lo
	s_delay_alu instid0(VALU_DEP_1) | instskip(NEXT) | instid1(VALU_DEP_1)
	v_max_i32_e32 v2, v40, v6
	v_cndmask_b32_e64 v7, v40, v2, s0
	s_delay_alu instid0(VALU_DEP_1) | instskip(NEXT) | instid1(VALU_DEP_1)
	v_max_i32_e32 v2, v38, v7
	v_cndmask_b32_e64 v8, v38, v2, s1
	;; [unrolled: 3-line block ×3, first 2 shown]
	s_delay_alu instid0(VALU_DEP_1) | instskip(SKIP_1) | instid1(VALU_DEP_2)
	v_max_i32_e32 v2, v34, v9
	v_mov_b64_e32 v[14:15], v[6:7]
	v_cndmask_b32_e64 v2, v34, v2, s5
	s_delay_alu instid0(VALU_DEP_1) | instskip(NEXT) | instid1(VALU_DEP_1)
	v_max_i32_e32 v3, v32, v2
	v_cndmask_b32_e64 v3, v32, v3, s6
	s_delay_alu instid0(VALU_DEP_1) | instskip(NEXT) | instid1(VALU_DEP_1)
	v_max_i32_e32 v4, v30, v3
	;; [unrolled: 3-line block ×7, first 2 shown]
	v_cndmask_b32_e64 v13, v16, v13, s12
	s_branch .LBB83_135
.LBB83_118:
	s_cmp_lg_u64 s[40:41], 0
	s_cselect_b32 s0, -1, 0
	s_cmp_lg_u64 s[26:27], 0
	s_cselect_b32 s1, -1, 0
	s_delay_alu instid0(SALU_CYCLE_1) | instskip(NEXT) | instid1(SALU_CYCLE_1)
	s_and_b32 s0, s0, s1
	s_and_b32 s1, s2, s0
	s_delay_alu instid0(SALU_CYCLE_1)
	s_and_saveexec_b32 s0, s1
	s_cbranch_execz .LBB83_120
; %bb.119:
	v_dual_mov_b32 v2, 0 :: v_dual_bitop2_b32 v3, 1, v19 bitop3:0x40
	s_mov_b64 s[4:5], 0x100000000
	s_clause 0x1
	global_load_b32 v4, v2, s[26:27]
	global_load_u8 v5, v2, s[26:27] offset:4
	v_cmp_gt_u64_e32 vcc_lo, s[4:5], v[18:19]
	s_wait_loadcnt 0x0
	v_and_b32_e32 v5, 1, v5
	v_max_i32_e32 v4, v18, v4
	s_delay_alu instid0(VALU_DEP_1) | instskip(SKIP_1) | instid1(VALU_DEP_4)
	v_cndmask_b32_e32 v18, v18, v4, vcc_lo
	v_cmp_eq_u64_e32 vcc_lo, 0, v[2:3]
	v_cndmask_b32_e32 v19, 1, v5, vcc_lo
.LBB83_120:
	s_or_b32 exec_lo, exec_lo, s0
	s_mov_b64 s[12:13], 0x100000000
	v_or3_b32 v12, v42, v31, v33
	v_cmp_gt_u64_e32 vcc_lo, s[12:13], v[40:41]
	v_cmp_gt_u64_e64 s6, s[12:13], v[30:31]
	v_max_i32_e32 v2, v40, v18
	v_cmp_gt_u64_e64 s0, s[12:13], v[38:39]
	v_cmp_gt_u64_e64 s7, s[12:13], v[28:29]
	;; [unrolled: 1-line block ×4, first 2 shown]
	v_cndmask_b32_e32 v7, v40, v2, vcc_lo
	v_cmp_gt_u64_e64 s4, s[12:13], v[34:35]
	v_cmp_gt_u64_e64 s5, s[12:13], v[32:33]
	v_cmp_gt_u64_e64 s11, s[12:13], v[22:23]
	v_cmp_gt_u64_e64 s10, s[12:13], v[24:25]
	v_max_i32_e32 v2, v38, v7
	v_cmp_gt_u64_e64 s8, s[12:13], v[16:17]
	s_mov_b32 s14, exec_lo
	v_dual_mov_b32 v14, 0 :: v_dual_cndmask_b32 v8, v38, v2, s0
	s_delay_alu instid0(VALU_DEP_1) | instskip(NEXT) | instid1(VALU_DEP_1)
	v_max_i32_e32 v2, v36, v8
	v_cndmask_b32_e64 v9, v36, v2, s1
	s_delay_alu instid0(VALU_DEP_1) | instskip(NEXT) | instid1(VALU_DEP_1)
	v_max_i32_e32 v2, v34, v9
	v_cndmask_b32_e64 v2, v34, v2, s4
	;; [unrolled: 3-line block ×7, first 2 shown]
	v_or3_b32 v6, v12, v35, v37
	s_delay_alu instid0(VALU_DEP_2) | instskip(NEXT) | instid1(VALU_DEP_2)
	v_max_i32_e32 v12, v22, v11
	v_or3_b32 v6, v6, v39, v41
	s_delay_alu instid0(VALU_DEP_2) | instskip(NEXT) | instid1(VALU_DEP_2)
	v_cndmask_b32_e64 v12, v22, v12, s11
	v_or3_b32 v6, v17, v21, v6
	s_delay_alu instid0(VALU_DEP_2) | instskip(NEXT) | instid1(VALU_DEP_2)
	v_max_i32_e32 v13, v16, v12
	v_and_b32_e32 v15, 0xff, v6
	s_delay_alu instid0(VALU_DEP_2) | instskip(NEXT) | instid1(VALU_DEP_2)
	v_cndmask_b32_e64 v13, v16, v13, s8
	v_cmp_eq_u64_e64 s12, 0, v[14:15]
	s_delay_alu instid0(VALU_DEP_1) | instskip(NEXT) | instid1(VALU_DEP_1)
	v_dual_cndmask_b32 v6, 1, v19, s12 :: v_dual_bitop2_b32 v1, 56, v1 bitop3:0x40
	v_lshl_add_u32 v1, v0, 3, v1
	ds_store_b32 v1, v13
	ds_store_b8 v1, v6 offset:4
	s_wait_dscnt 0x0
	s_barrier_signal -1
	s_barrier_wait -1
	v_cmpx_gt_u32_e32 32, v0
	s_cbranch_execz .LBB83_130
; %bb.121:
	v_dual_lshlrev_b32 v1, 1, v0 :: v_dual_lshlrev_b32 v14, 6, v0
	s_mov_b32 s13, exec_lo
	s_delay_alu instid0(VALU_DEP_1) | instskip(NEXT) | instid1(VALU_DEP_1)
	v_and_b32_e32 v1, 0x1f8, v1
	v_add_nc_u32_e32 v1, v1, v14
	ds_load_2addr_b32 v[42:43], v1 offset0:2 offset1:4
	ds_load_b64 v[14:15], v1
	ds_load_u8 v17, v1 offset:12
	ds_load_2addr_b32 v[44:45], v1 offset0:6 offset1:8
	ds_load_u8 v21, v1 offset:20
	ds_load_u8 v23, v1 offset:28
	;; [unrolled: 1-line block ×5, first 2 shown]
	ds_load_b32 v33, v1 offset:56
	s_wait_dscnt 0x8
	v_max_i32_e32 v31, v42, v14
	s_wait_dscnt 0x7
	v_cmp_eq_u16_e64 s12, 0, v17
	ds_load_u8 v35, v1 offset:60
	s_wait_dscnt 0x6
	v_dual_cndmask_b32 v31, v42, v31, s12 :: v_dual_bitop2_b32 v17, v21, v17 bitop3:0x54
	v_cmp_eq_u16_e64 s12, 0, v21
	s_wait_dscnt 0x4
	s_delay_alu instid0(VALU_DEP_2) | instskip(NEXT) | instid1(VALU_DEP_3)
	v_bitop3_b16 v17, v17, v25, v23 bitop3:0xfe
	v_max_i32_e32 v31, v43, v31
	s_delay_alu instid0(VALU_DEP_1)
	v_cndmask_b32_e64 v31, v43, v31, s12
	ds_load_2addr_b32 v[42:43], v1 offset0:10 offset1:12
	v_cmp_eq_u16_e64 s12, 0, v23
	s_wait_dscnt 0x3
	v_bitop3_b16 v23, v17, v29, v27 bitop3:0xfe
	v_and_b32_e32 v17, 1, v15
	v_max_i32_e32 v31, v44, v31
	s_delay_alu instid0(VALU_DEP_1) | instskip(SKIP_3) | instid1(VALU_DEP_3)
	v_cndmask_b32_e64 v31, v44, v31, s12
	v_cmp_eq_u16_e64 s12, 0, v25
	s_wait_dscnt 0x1
	v_and_b32_e32 v25, 1, v35
	v_max_i32_e32 v31, v45, v31
	s_delay_alu instid0(VALU_DEP_1) | instskip(SKIP_2) | instid1(VALU_DEP_2)
	v_cndmask_b32_e64 v21, v45, v31, s12
	v_cmp_eq_u16_e64 s12, 0, v27
	s_wait_dscnt 0x0
	v_max_i32_e32 v21, v42, v21
	s_delay_alu instid0(VALU_DEP_1) | instskip(SKIP_1) | instid1(VALU_DEP_2)
	v_cndmask_b32_e64 v21, v42, v21, s12
	v_cmp_eq_u16_e64 s12, 0, v23
	v_max_i32_e32 v21, v43, v21
	s_delay_alu instid0(VALU_DEP_2) | instskip(SKIP_1) | instid1(VALU_DEP_1)
	v_cndmask_b32_e64 v23, 1, v17, s12
	v_cmp_eq_u32_e64 s12, 1, v25
	v_cndmask_b32_e64 v27, v23, 1, s12
	v_cmp_eq_u16_e64 s12, 0, v29
	s_delay_alu instid0(VALU_DEP_2) | instskip(NEXT) | instid1(VALU_DEP_2)
	v_and_b32_e32 v25, 0xffff, v27
	v_cndmask_b32_e64 v23, v43, v21, s12
	v_and_b32_e32 v21, 0xffffff00, v15
	v_cmp_eq_u16_e64 s12, 0, v35
	s_delay_alu instid0(VALU_DEP_3) | instskip(SKIP_1) | instid1(VALU_DEP_4)
	v_max_i32_e32 v29, v33, v23
	v_mbcnt_lo_u32_b32 v23, -1, 0
	v_or_b32_e32 v31, v21, v25
	s_delay_alu instid0(VALU_DEP_2) | instskip(NEXT) | instid1(VALU_DEP_2)
	v_dual_cndmask_b32 v25, v33, v29, s12 :: v_dual_bitop2_b32 v29, 15, v23 bitop3:0x40
	v_mov_b32_dpp v35, v31 row_shr:1 row_mask:0xf bank_mask:0xf
	s_delay_alu instid0(VALU_DEP_2) | instskip(NEXT) | instid1(VALU_DEP_3)
	v_mov_b32_dpp v33, v25 row_shr:1 row_mask:0xf bank_mask:0xf
	v_cmpx_ne_u32_e32 0, v29
	s_cbranch_execz .LBB83_123
; %bb.122:
	v_and_b32_e32 v31, 1, v27
	v_and_b32_e32 v35, 1, v35
	s_delay_alu instid0(VALU_DEP_2) | instskip(SKIP_1) | instid1(VALU_DEP_2)
	v_cmp_eq_u32_e64 s12, 1, v31
	v_max_i32_e32 v31, v25, v33
	v_cndmask_b32_e64 v35, v35, 1, s12
	v_cmp_eq_u16_e64 s12, 0, v27
	s_delay_alu instid0(VALU_DEP_2) | instskip(NEXT) | instid1(VALU_DEP_2)
	v_and_b32_e32 v33, 0xffff, v35
	v_dual_cndmask_b32 v25, v25, v31, s12 :: v_dual_mov_b32 v27, v35
	s_delay_alu instid0(VALU_DEP_2)
	v_or_b32_e32 v31, v21, v33
.LBB83_123:
	s_or_b32 exec_lo, exec_lo, s13
	s_delay_alu instid0(VALU_DEP_2) | instskip(NEXT) | instid1(VALU_DEP_2)
	v_mov_b32_dpp v33, v25 row_shr:2 row_mask:0xf bank_mask:0xf
	v_mov_b32_dpp v35, v31 row_shr:2 row_mask:0xf bank_mask:0xf
	s_mov_b32 s13, exec_lo
	v_cmpx_lt_u32_e32 1, v29
	s_cbranch_execz .LBB83_125
; %bb.124:
	v_and_b32_e32 v31, 1, v27
	v_and_b32_e32 v35, 1, v35
	s_delay_alu instid0(VALU_DEP_2) | instskip(SKIP_1) | instid1(VALU_DEP_2)
	v_cmp_eq_u32_e64 s12, 1, v31
	v_max_i32_e32 v31, v25, v33
	v_cndmask_b32_e64 v35, v35, 1, s12
	v_cmp_eq_u16_e64 s12, 0, v27
	s_delay_alu instid0(VALU_DEP_2) | instskip(NEXT) | instid1(VALU_DEP_2)
	v_and_b32_e32 v33, 0xffff, v35
	v_dual_cndmask_b32 v25, v25, v31, s12 :: v_dual_mov_b32 v27, v35
	s_delay_alu instid0(VALU_DEP_2)
	v_or_b32_e32 v31, v21, v33
.LBB83_125:
	s_or_b32 exec_lo, exec_lo, s13
	s_delay_alu instid0(VALU_DEP_2) | instskip(NEXT) | instid1(VALU_DEP_2)
	v_mov_b32_dpp v33, v25 row_shr:4 row_mask:0xf bank_mask:0xf
	v_mov_b32_dpp v35, v31 row_shr:4 row_mask:0xf bank_mask:0xf
	s_mov_b32 s13, exec_lo
	v_cmpx_lt_u32_e32 3, v29
	;; [unrolled: 21-line block ×3, first 2 shown]
	s_cbranch_execz .LBB83_129
; %bb.128:
	v_and_b32_e32 v29, 1, v27
	v_and_b32_e32 v31, 1, v35
	s_delay_alu instid0(VALU_DEP_2) | instskip(NEXT) | instid1(VALU_DEP_1)
	v_cmp_eq_u32_e64 s12, 1, v29
	v_cndmask_b32_e64 v29, v31, 1, s12
	v_max_i32_e32 v31, v25, v33
	v_cmp_eq_u16_e64 s12, 0, v27
	s_delay_alu instid0(VALU_DEP_3) | instskip(SKIP_1) | instid1(VALU_DEP_3)
	v_and_b32_e32 v33, 0xffff, v29
	v_mov_b32_e32 v27, v29
	v_cndmask_b32_e64 v25, v25, v31, s12
	s_delay_alu instid0(VALU_DEP_3)
	v_or_b32_e32 v31, v21, v33
.LBB83_129:
	s_or_b32 exec_lo, exec_lo, s13
	ds_swizzle_b32 v29, v25 offset:swizzle(BROADCAST,32,15)
	ds_swizzle_b32 v31, v31 offset:swizzle(BROADCAST,32,15)
	v_cmp_eq_u16_e64 s12, 0, v27
	v_and_b32_e32 v15, 0xff, v15
	; wave barrier
	s_wait_dscnt 0x1
	v_max_i32_e32 v29, v25, v29
	v_and_b32_e32 v33, 16, v23
	s_wait_dscnt 0x0
	s_delay_alu instid0(VALU_DEP_2) | instskip(NEXT) | instid1(VALU_DEP_2)
	v_dual_cndmask_b32 v29, v25, v29, s12 :: v_dual_bitop2_b32 v31, 1, v31 bitop3:0x40
	v_cmp_eq_u32_e64 s12, 0, v33
	v_and_b32_e32 v35, 1, v27
	s_delay_alu instid0(VALU_DEP_2) | instskip(NEXT) | instid1(VALU_DEP_2)
	v_dual_add_nc_u32 v33, -1, v23 :: v_dual_cndmask_b32 v25, v29, v25, s12
	v_cmp_eq_u32_e64 s13, 1, v35
	s_delay_alu instid0(VALU_DEP_1) | instskip(NEXT) | instid1(VALU_DEP_1)
	v_cndmask_b32_e64 v31, v31, 1, s13
	v_cndmask_b32_e64 v27, v31, v27, s12
	s_delay_alu instid0(VALU_DEP_4) | instskip(NEXT) | instid1(VALU_DEP_2)
	v_cmp_gt_i32_e64 s12, 0, v33
	v_and_b32_e32 v27, 0xffff, v27
	s_delay_alu instid0(VALU_DEP_2) | instskip(SKIP_1) | instid1(VALU_DEP_3)
	v_cndmask_b32_e64 v23, v33, v23, s12
	v_cmp_eq_u16_e64 s12, 0, v15
	v_or_b32_e32 v21, v21, v27
	s_delay_alu instid0(VALU_DEP_3)
	v_lshlrev_b32_e32 v23, 2, v23
	ds_bpermute_b32 v25, v23, v25
	ds_bpermute_b32 v21, v23, v21
	s_wait_dscnt 0x1
	v_max_i32_e32 v23, v14, v25
	s_wait_dscnt 0x0
	s_delay_alu instid0(VALU_DEP_1) | instskip(SKIP_1) | instid1(VALU_DEP_2)
	v_dual_cndmask_b32 v14, v14, v23, s12 :: v_dual_bitop2_b32 v21, 1, v21 bitop3:0x40
	v_cmp_eq_u32_e64 s12, 1, v17
	v_cndmask_b32_e64 v17, v14, v13, s2
	s_delay_alu instid0(VALU_DEP_2) | instskip(NEXT) | instid1(VALU_DEP_1)
	v_cndmask_b32_e64 v15, v21, 1, s12
	v_cndmask_b32_e64 v6, v15, v6, s2
	ds_store_b32 v1, v17
	ds_store_b8 v1, v6 offset:4
	; wave barrier
	ds_load_2addr_b32 v[14:15], v1 offset0:2 offset1:4
	ds_load_u8 v21, v1 offset:12
	ds_load_u8 v23, v1 offset:20
	ds_load_2addr_b32 v[42:43], v1 offset0:6 offset1:8
	ds_load_u8 v25, v1 offset:28
	ds_load_u8 v27, v1 offset:36
	;; [unrolled: 1-line block ×4, first 2 shown]
	ds_load_b32 v33, v1 offset:56
	ds_load_u8 v35, v1 offset:60
	s_wait_dscnt 0x9
	v_max_i32_e32 v17, v14, v17
	s_wait_dscnt 0x8
	v_cmp_eq_u16_e64 s12, 0, v21
	v_and_b32_e32 v21, 1, v21
	s_delay_alu instid0(VALU_DEP_2) | instskip(SKIP_2) | instid1(VALU_DEP_2)
	v_cndmask_b32_e64 v17, v14, v17, s12
	s_wait_dscnt 0x7
	v_cmp_eq_u16_e64 s12, 0, v23
	v_max_i32_e32 v14, v15, v17
	s_delay_alu instid0(VALU_DEP_1)
	v_cndmask_b32_e64 v37, v15, v14, s12
	s_wait_dscnt 0x5
	v_cmp_eq_u16_e64 s12, 0, v25
	ds_load_2addr_b32 v[14:15], v1 offset0:10 offset1:12
	v_max_i32_e32 v39, v42, v37
	ds_store_2addr_b32 v1, v17, v37 offset0:2 offset1:4
	v_cndmask_b32_e64 v39, v42, v39, s12
	v_cmp_eq_u32_e64 s12, 1, v21
	v_and_b32_e32 v21, 1, v25
	s_wait_dscnt 0x5
	v_and_b32_e32 v42, 1, v29
	v_max_i32_e32 v41, v43, v39
	v_cndmask_b32_e64 v6, v6, 1, s12
	v_cmp_eq_u16_e64 s12, 0, v27
	s_delay_alu instid0(VALU_DEP_1) | instskip(NEXT) | instid1(VALU_DEP_1)
	v_dual_cndmask_b32 v25, v43, v41, s12 :: v_dual_bitop2_b32 v23, 1, v23 bitop3:0x40
	v_cmp_eq_u32_e64 s12, 1, v23
	s_wait_dscnt 0x2
	v_and_b32_e32 v43, 1, v35
	s_wait_dscnt 0x1
	v_max_i32_e32 v41, v14, v25
	v_cndmask_b32_e64 v23, v6, 1, s12
	v_cmp_eq_u32_e64 s12, 1, v21
	s_delay_alu instid0(VALU_DEP_1) | instskip(SKIP_1) | instid1(VALU_DEP_1)
	v_cndmask_b32_e64 v21, v23, 1, s12
	v_cmp_eq_u16_e64 s12, 0, v29
	v_dual_cndmask_b32 v14, v14, v41, s12 :: v_dual_bitop2_b32 v27, 1, v27 bitop3:0x40
	s_delay_alu instid0(VALU_DEP_1) | instskip(NEXT) | instid1(VALU_DEP_2)
	v_cmp_eq_u32_e64 s12, 1, v27
	v_max_i32_e32 v41, v15, v14
	s_delay_alu instid0(VALU_DEP_2) | instskip(SKIP_1) | instid1(VALU_DEP_1)
	v_cndmask_b32_e64 v27, v21, 1, s12
	v_cmp_eq_u32_e64 s12, 1, v42
	v_cndmask_b32_e64 v42, v27, 1, s12
	v_cmp_eq_u16_e64 s12, 0, v31
	s_delay_alu instid0(VALU_DEP_1) | instskip(NEXT) | instid1(VALU_DEP_1)
	v_dual_cndmask_b32 v15, v15, v41, s12 :: v_dual_bitop2_b32 v29, 1, v31 bitop3:0x40
	v_cmp_eq_u32_e64 s12, 1, v29
	ds_store_2addr_b32 v1, v39, v25 offset0:6 offset1:8
	ds_store_2addr_b32 v1, v14, v15 offset0:10 offset1:12
	v_max_i32_e32 v17, v33, v15
	v_cndmask_b32_e64 v29, v42, 1, s12
	v_cmp_eq_u32_e64 s12, 1, v43
	s_delay_alu instid0(VALU_DEP_1) | instskip(SKIP_1) | instid1(VALU_DEP_1)
	v_cndmask_b32_e64 v31, v29, 1, s12
	v_cmp_eq_u16_e64 s12, 0, v35
	v_cndmask_b32_e64 v14, v33, v17, s12
	ds_store_b8 v1, v6 offset:12
	ds_store_b8 v1, v23 offset:20
	;; [unrolled: 1-line block ×6, first 2 shown]
	ds_store_b32 v1, v14 offset:56
	ds_store_b8 v1, v31 offset:60
.LBB83_130:
	s_or_b32 exec_lo, exec_lo, s14
	v_mov_b32_e32 v6, v18
	s_wait_dscnt 0x0
	s_barrier_signal -1
	s_barrier_wait -1
	s_delay_alu instid0(VALU_DEP_1)
	v_mov_b64_e32 v[14:15], v[6:7]
	s_and_saveexec_b32 s12, s3
	s_cbranch_execz .LBB83_132
; %bb.131:
	v_add_nc_u32_e32 v1, -1, v0
	v_and_b32_e32 v3, 0xff, v19
	s_delay_alu instid0(VALU_DEP_2) | instskip(NEXT) | instid1(VALU_DEP_1)
	v_lshrrev_b32_e32 v2, 2, v1
	v_and_b32_e32 v2, 0x3ffffff8, v2
	s_delay_alu instid0(VALU_DEP_1)
	v_lshl_add_u32 v1, v1, 3, v2
	v_mov_b32_e32 v2, 0
	ds_load_b32 v1, v1
	v_cmp_eq_u64_e64 s3, 0, v[2:3]
	;;#ASMSTART
	;;#ASMEND
	s_wait_dscnt 0x0
	v_max_i32_e32 v1, v18, v1
	s_delay_alu instid0(VALU_DEP_1) | instskip(NEXT) | instid1(VALU_DEP_1)
	v_cndmask_b32_e64 v14, v18, v1, s3
	v_max_i32_e32 v1, v40, v14
	s_delay_alu instid0(VALU_DEP_1) | instskip(NEXT) | instid1(VALU_DEP_1)
	v_dual_cndmask_b32 v15, v40, v1 :: v_dual_mov_b32 v18, v14
	v_dual_mov_b32 v7, v15 :: v_dual_max_i32 v1, v38, v15
	s_delay_alu instid0(VALU_DEP_1) | instskip(NEXT) | instid1(VALU_DEP_1)
	v_cndmask_b32_e64 v8, v38, v1, s0
	v_max_i32_e32 v1, v36, v8
	s_delay_alu instid0(VALU_DEP_1) | instskip(NEXT) | instid1(VALU_DEP_1)
	v_cndmask_b32_e64 v9, v36, v1, s1
	v_max_i32_e32 v1, v34, v9
	s_delay_alu instid0(VALU_DEP_1) | instskip(NEXT) | instid1(VALU_DEP_1)
	v_cndmask_b32_e64 v2, v34, v1, s4
	v_max_i32_e32 v1, v32, v2
	s_delay_alu instid0(VALU_DEP_1) | instskip(NEXT) | instid1(VALU_DEP_1)
	v_cndmask_b32_e64 v3, v32, v1, s5
	v_max_i32_e32 v1, v30, v3
	s_delay_alu instid0(VALU_DEP_1) | instskip(NEXT) | instid1(VALU_DEP_1)
	v_cndmask_b32_e64 v4, v30, v1, s6
	v_max_i32_e32 v1, v28, v4
	s_delay_alu instid0(VALU_DEP_1) | instskip(NEXT) | instid1(VALU_DEP_1)
	v_cndmask_b32_e64 v5, v28, v1, s7
	v_max_i32_e32 v1, v26, v5
	s_delay_alu instid0(VALU_DEP_1) | instskip(NEXT) | instid1(VALU_DEP_1)
	v_cndmask_b32_e64 v10, v26, v1, s9
	v_max_i32_e32 v1, v24, v10
	s_delay_alu instid0(VALU_DEP_1) | instskip(NEXT) | instid1(VALU_DEP_1)
	v_cndmask_b32_e64 v11, v24, v1, s10
	v_max_i32_e32 v1, v22, v11
	s_delay_alu instid0(VALU_DEP_1) | instskip(NEXT) | instid1(VALU_DEP_1)
	v_cndmask_b32_e64 v12, v22, v1, s11
	v_max_i32_e32 v1, v16, v12
	s_delay_alu instid0(VALU_DEP_1)
	v_cndmask_b32_e64 v13, v16, v1, s8
.LBB83_132:
	s_or_b32 exec_lo, exec_lo, s12
	s_and_saveexec_b32 s0, s2
	s_cbranch_execz .LBB83_134
; %bb.133:
	v_dual_mov_b32 v25, 0 :: v_dual_mov_b32 v24, 2
	s_add_nc_u64 s[2:3], s[36:37], 0x200
	ds_load_b32 v22, v25 offset:2096
	ds_load_u8 v23, v25 offset:2100
	v_mov_b64_e32 v[16:17], s[2:3]
	s_wait_dscnt 0x0
	;;#ASMSTART
	global_store_b128 v[16:17], v[22:25] off scope:SCOPE_DEV	
s_wait_storecnt 0x0
	;;#ASMEND
.LBB83_134:
	s_or_b32 exec_lo, exec_lo, s0
	v_mov_b32_e32 v6, v18
.LBB83_135:
	s_sub_nc_u64 s[2:3], 0, s[18:19]
	s_sub_nc_u64 s[0:1], 0, s[34:35]
	s_lshl_b64 s[2:3], s[2:3], 2
	s_lshl_b64 s[0:1], s[0:1], 2
	s_add_nc_u64 s[2:3], s[22:23], s[2:3]
	s_and_b32 vcc_lo, exec_lo, s17
	s_add_nc_u64 s[0:1], s[2:3], s[0:1]
	s_cbranch_vccz .LBB83_175
; %bb.136:
	v_mul_u32_u24_e32 v1, 12, v0
	s_add_co_i32 s33, s33, s38
	s_mov_b32 s2, exec_lo
	s_delay_alu instid0(VALU_DEP_1)
	v_cmpx_gt_u32_e64 s33, v1
	s_cbranch_execz .LBB83_152
; %bb.137:
	v_or_b32_e32 v16, 1, v1
	s_mov_b32 s3, exec_lo
	s_delay_alu instid0(VALU_DEP_1)
	v_cmpx_gt_u32_e64 s33, v16
	s_cbranch_execz .LBB83_151
; %bb.138:
	v_or_b32_e32 v16, 2, v1
	;; [unrolled: 6-line block ×3, first 2 shown]
	s_mov_b32 s5, exec_lo
	s_delay_alu instid0(VALU_DEP_1)
	v_cmpx_gt_u32_e64 s33, v16
	s_cbranch_execz .LBB83_149
; %bb.140:
	v_add_nc_u32_e32 v16, 4, v1
	s_mov_b32 s6, exec_lo
	s_delay_alu instid0(VALU_DEP_1)
	v_cmpx_gt_u32_e64 s33, v16
	s_cbranch_execz .LBB83_148
; %bb.141:
	v_add_nc_u32_e32 v16, 5, v1
	;; [unrolled: 6-line block ×4, first 2 shown]
	s_mov_b32 s9, exec_lo
	s_delay_alu instid0(VALU_DEP_1)
	v_cmpx_gt_u32_e64 s33, v16
; %bb.144:
	v_add_nc_u32_e32 v16, 8, v1
	s_mov_b32 s10, exec_lo
	s_delay_alu instid0(VALU_DEP_1)
	v_cmpx_gt_u32_e64 s33, v16
	s_or_b32 exec_lo, exec_lo, s10
; %bb.145:
	s_delay_alu instid0(SALU_CYCLE_1)
	s_or_b32 exec_lo, exec_lo, s9
.LBB83_146:
	s_delay_alu instid0(SALU_CYCLE_1)
	s_or_b32 exec_lo, exec_lo, s8
.LBB83_147:
	s_delay_alu instid0(SALU_CYCLE_1)
	s_or_b32 exec_lo, exec_lo, s7
.LBB83_148:
	s_delay_alu instid0(SALU_CYCLE_1)
	s_or_b32 exec_lo, exec_lo, s6
.LBB83_149:
	s_delay_alu instid0(SALU_CYCLE_1)
	s_or_b32 exec_lo, exec_lo, s5
.LBB83_150:
	s_delay_alu instid0(SALU_CYCLE_1)
	s_or_b32 exec_lo, exec_lo, s4
.LBB83_151:
	s_delay_alu instid0(SALU_CYCLE_1)
	s_or_b32 exec_lo, exec_lo, s3
.LBB83_152:
	s_delay_alu instid0(SALU_CYCLE_1) | instskip(SKIP_3) | instid1(VALU_DEP_1)
	s_or_b32 exec_lo, exec_lo, s2
	v_lshlrev_b32_e32 v30, 2, v1
	s_barrier_signal -1
	s_barrier_wait -1
	v_mad_i32_i24 v1, 0xffffffd4, v0, v30
	ds_store_b128 v30, v[6:9]
	ds_store_b128 v30, v[2:5] offset:16
	ds_store_b128 v30, v[10:13] offset:32
	s_wait_dscnt 0x0
	s_barrier_signal -1
	s_barrier_wait -1
	ds_load_2addr_stride64_b32 v[28:29], v1 offset0:4 offset1:8
	ds_load_2addr_stride64_b32 v[26:27], v1 offset0:12 offset1:16
	;; [unrolled: 1-line block ×5, first 2 shown]
	ds_load_b32 v7, v1 offset:11264
	v_mov_b32_e32 v1, 0
	s_mov_b32 s2, exec_lo
	s_delay_alu instid0(VALU_DEP_1) | instskip(NEXT) | instid1(VALU_DEP_1)
	v_mov_b32_e32 v21, v1
	v_sub_nc_u64_e32 v[18:19], s[0:1], v[20:21]
	v_cmpx_gt_u32_e64 s33, v0
	s_cbranch_execz .LBB83_154
; %bb.153:
	v_mul_i32_i24_e32 v6, 0xffffffd4, v0
	s_delay_alu instid0(VALU_DEP_1)
	v_add_nc_u32_e32 v6, v30, v6
	ds_load_b32 v6, v6
	s_wait_dscnt 0x0
	flat_store_b32 v[18:19], v6 offset:-4
.LBB83_154:
	s_wait_xcnt 0x0
	s_or_b32 exec_lo, exec_lo, s2
	v_or_b32_e32 v6, 0x100, v0
	s_mov_b32 s2, exec_lo
	s_delay_alu instid0(VALU_DEP_1)
	v_cmpx_gt_u32_e64 s33, v6
	s_cbranch_execz .LBB83_156
; %bb.155:
	s_wait_dscnt 0x5
	flat_store_b32 v[18:19], v28 offset:-1028
.LBB83_156:
	s_wait_xcnt 0x0
	s_or_b32 exec_lo, exec_lo, s2
	v_or_b32_e32 v6, 0x200, v0
	s_mov_b32 s2, exec_lo
	s_delay_alu instid0(VALU_DEP_1)
	v_cmpx_gt_u32_e64 s33, v6
	s_cbranch_execz .LBB83_158
; %bb.157:
	s_wait_dscnt 0x5
	flat_store_b32 v[18:19], v29 offset:-2052
.LBB83_158:
	;; [unrolled: 11-line block ×10, first 2 shown]
	s_wait_xcnt 0x0
	s_or_b32 exec_lo, exec_lo, s2
	v_or_b32_e32 v6, 0xb00, v0
	s_wait_dscnt 0x1
	v_sub_nc_u64_e32 v[16:17], 0, v[0:1]
	s_delay_alu instid0(VALU_DEP_2)
	v_cmp_gt_u32_e64 s2, s33, v6
	s_branch .LBB83_177
.LBB83_175:
	s_mov_b32 s2, 0
                                        ; implicit-def: $vgpr7
                                        ; implicit-def: $vgpr16_vgpr17
	s_cbranch_execz .LBB83_177
; %bb.176:
	v_mul_i32_i24_e32 v6, 0xffffffd4, v0
	v_mul_u32_u24_e32 v1, 48, v0
	v_dual_mov_b32 v16, v8 :: v_dual_mov_b32 v17, v9
	s_wait_storecnt_dscnt 0x0
	s_delay_alu instid0(VALU_DEP_3)
	v_mad_u32_u24 v6, v0, 48, v6
	s_barrier_signal -1
	s_barrier_wait -1
	ds_store_b128 v1, v[14:17]
	ds_store_b128 v1, v[2:5] offset:16
	ds_store_b128 v1, v[10:13] offset:32
	s_wait_dscnt 0x0
	s_barrier_signal -1
	s_barrier_wait -1
	ds_load_2addr_stride64_b32 v[2:3], v6 offset1:4
	ds_load_2addr_stride64_b32 v[4:5], v6 offset0:8 offset1:12
	ds_load_2addr_stride64_b32 v[8:9], v6 offset0:16 offset1:20
	;; [unrolled: 1-line block ×5, first 2 shown]
	v_mov_b32_e32 v1, 0
	s_or_b32 s2, s2, exec_lo
	s_delay_alu instid0(VALU_DEP_1) | instskip(SKIP_1) | instid1(VALU_DEP_2)
	v_mov_b32_e32 v21, v1
	v_sub_nc_u64_e32 v[16:17], 0, v[0:1]
	v_sub_nc_u64_e32 v[14:15], s[0:1], v[20:21]
	s_wait_dscnt 0x5
	s_clause 0x1
	flat_store_b32 v[14:15], v2 offset:-4
	flat_store_b32 v[14:15], v3 offset:-1028
	s_wait_dscnt 0x6
	s_clause 0x1
	flat_store_b32 v[14:15], v4 offset:-2052
	flat_store_b32 v[14:15], v5 offset:-3076
	;; [unrolled: 4-line block ×5, first 2 shown]
	s_wait_dscnt 0xa
	flat_store_b32 v[14:15], v6 offset:-10244
.LBB83_177:
	s_wait_xcnt 0x0
	s_delay_alu instid0(VALU_DEP_1)
	s_and_saveexec_b32 s3, s2
	s_cbranch_execz .LBB83_179
; %bb.178:
	s_delay_alu instid0(VALU_DEP_2)
	v_lshl_add_u64 v[0:1], v[16:17], 2, s[0:1]
	s_wait_dscnt 0x0
	flat_store_b32 v[0:1], v7 offset:-11268
	s_endpgm
.LBB83_179:
	s_endpgm
	.section	.rodata,"a",@progbits
	.p2align	6, 0x0
	.amdhsa_kernel _ZN7rocprim17ROCPRIM_400000_NS6detail17trampoline_kernelINS0_14default_configENS1_27scan_by_key_config_selectorIiiEEZZNS1_16scan_by_key_implILNS1_25lookback_scan_determinismE0ELb0ES3_N6thrust23THRUST_200600_302600_NS16reverse_iteratorIPKiEESD_NSA_IPiEEiN6hipcub16HIPCUB_304000_NS3MaxENSH_8EqualityEiEE10hipError_tPvRmT2_T3_T4_T5_mT6_T7_P12ihipStream_tbENKUlT_T0_E_clISt17integral_constantIbLb0EESZ_IbLb1EEEEDaSV_SW_EUlSV_E_NS1_11comp_targetILNS1_3genE0ELNS1_11target_archE4294967295ELNS1_3gpuE0ELNS1_3repE0EEENS1_30default_config_static_selectorELNS0_4arch9wavefront6targetE0EEEvT1_
		.amdhsa_group_segment_fixed_size 14336
		.amdhsa_private_segment_fixed_size 0
		.amdhsa_kernarg_size 112
		.amdhsa_user_sgpr_count 2
		.amdhsa_user_sgpr_dispatch_ptr 0
		.amdhsa_user_sgpr_queue_ptr 0
		.amdhsa_user_sgpr_kernarg_segment_ptr 1
		.amdhsa_user_sgpr_dispatch_id 0
		.amdhsa_user_sgpr_kernarg_preload_length 0
		.amdhsa_user_sgpr_kernarg_preload_offset 0
		.amdhsa_user_sgpr_private_segment_size 0
		.amdhsa_wavefront_size32 1
		.amdhsa_uses_dynamic_stack 0
		.amdhsa_enable_private_segment 0
		.amdhsa_system_sgpr_workgroup_id_x 1
		.amdhsa_system_sgpr_workgroup_id_y 0
		.amdhsa_system_sgpr_workgroup_id_z 0
		.amdhsa_system_sgpr_workgroup_info 0
		.amdhsa_system_vgpr_workitem_id 0
		.amdhsa_next_free_vgpr 60
		.amdhsa_next_free_sgpr 46
		.amdhsa_named_barrier_count 0
		.amdhsa_reserve_vcc 1
		.amdhsa_float_round_mode_32 0
		.amdhsa_float_round_mode_16_64 0
		.amdhsa_float_denorm_mode_32 3
		.amdhsa_float_denorm_mode_16_64 3
		.amdhsa_fp16_overflow 0
		.amdhsa_memory_ordered 1
		.amdhsa_forward_progress 1
		.amdhsa_inst_pref_size 97
		.amdhsa_round_robin_scheduling 0
		.amdhsa_exception_fp_ieee_invalid_op 0
		.amdhsa_exception_fp_denorm_src 0
		.amdhsa_exception_fp_ieee_div_zero 0
		.amdhsa_exception_fp_ieee_overflow 0
		.amdhsa_exception_fp_ieee_underflow 0
		.amdhsa_exception_fp_ieee_inexact 0
		.amdhsa_exception_int_div_zero 0
	.end_amdhsa_kernel
	.section	.text._ZN7rocprim17ROCPRIM_400000_NS6detail17trampoline_kernelINS0_14default_configENS1_27scan_by_key_config_selectorIiiEEZZNS1_16scan_by_key_implILNS1_25lookback_scan_determinismE0ELb0ES3_N6thrust23THRUST_200600_302600_NS16reverse_iteratorIPKiEESD_NSA_IPiEEiN6hipcub16HIPCUB_304000_NS3MaxENSH_8EqualityEiEE10hipError_tPvRmT2_T3_T4_T5_mT6_T7_P12ihipStream_tbENKUlT_T0_E_clISt17integral_constantIbLb0EESZ_IbLb1EEEEDaSV_SW_EUlSV_E_NS1_11comp_targetILNS1_3genE0ELNS1_11target_archE4294967295ELNS1_3gpuE0ELNS1_3repE0EEENS1_30default_config_static_selectorELNS0_4arch9wavefront6targetE0EEEvT1_,"axG",@progbits,_ZN7rocprim17ROCPRIM_400000_NS6detail17trampoline_kernelINS0_14default_configENS1_27scan_by_key_config_selectorIiiEEZZNS1_16scan_by_key_implILNS1_25lookback_scan_determinismE0ELb0ES3_N6thrust23THRUST_200600_302600_NS16reverse_iteratorIPKiEESD_NSA_IPiEEiN6hipcub16HIPCUB_304000_NS3MaxENSH_8EqualityEiEE10hipError_tPvRmT2_T3_T4_T5_mT6_T7_P12ihipStream_tbENKUlT_T0_E_clISt17integral_constantIbLb0EESZ_IbLb1EEEEDaSV_SW_EUlSV_E_NS1_11comp_targetILNS1_3genE0ELNS1_11target_archE4294967295ELNS1_3gpuE0ELNS1_3repE0EEENS1_30default_config_static_selectorELNS0_4arch9wavefront6targetE0EEEvT1_,comdat
.Lfunc_end83:
	.size	_ZN7rocprim17ROCPRIM_400000_NS6detail17trampoline_kernelINS0_14default_configENS1_27scan_by_key_config_selectorIiiEEZZNS1_16scan_by_key_implILNS1_25lookback_scan_determinismE0ELb0ES3_N6thrust23THRUST_200600_302600_NS16reverse_iteratorIPKiEESD_NSA_IPiEEiN6hipcub16HIPCUB_304000_NS3MaxENSH_8EqualityEiEE10hipError_tPvRmT2_T3_T4_T5_mT6_T7_P12ihipStream_tbENKUlT_T0_E_clISt17integral_constantIbLb0EESZ_IbLb1EEEEDaSV_SW_EUlSV_E_NS1_11comp_targetILNS1_3genE0ELNS1_11target_archE4294967295ELNS1_3gpuE0ELNS1_3repE0EEENS1_30default_config_static_selectorELNS0_4arch9wavefront6targetE0EEEvT1_, .Lfunc_end83-_ZN7rocprim17ROCPRIM_400000_NS6detail17trampoline_kernelINS0_14default_configENS1_27scan_by_key_config_selectorIiiEEZZNS1_16scan_by_key_implILNS1_25lookback_scan_determinismE0ELb0ES3_N6thrust23THRUST_200600_302600_NS16reverse_iteratorIPKiEESD_NSA_IPiEEiN6hipcub16HIPCUB_304000_NS3MaxENSH_8EqualityEiEE10hipError_tPvRmT2_T3_T4_T5_mT6_T7_P12ihipStream_tbENKUlT_T0_E_clISt17integral_constantIbLb0EESZ_IbLb1EEEEDaSV_SW_EUlSV_E_NS1_11comp_targetILNS1_3genE0ELNS1_11target_archE4294967295ELNS1_3gpuE0ELNS1_3repE0EEENS1_30default_config_static_selectorELNS0_4arch9wavefront6targetE0EEEvT1_
                                        ; -- End function
	.set _ZN7rocprim17ROCPRIM_400000_NS6detail17trampoline_kernelINS0_14default_configENS1_27scan_by_key_config_selectorIiiEEZZNS1_16scan_by_key_implILNS1_25lookback_scan_determinismE0ELb0ES3_N6thrust23THRUST_200600_302600_NS16reverse_iteratorIPKiEESD_NSA_IPiEEiN6hipcub16HIPCUB_304000_NS3MaxENSH_8EqualityEiEE10hipError_tPvRmT2_T3_T4_T5_mT6_T7_P12ihipStream_tbENKUlT_T0_E_clISt17integral_constantIbLb0EESZ_IbLb1EEEEDaSV_SW_EUlSV_E_NS1_11comp_targetILNS1_3genE0ELNS1_11target_archE4294967295ELNS1_3gpuE0ELNS1_3repE0EEENS1_30default_config_static_selectorELNS0_4arch9wavefront6targetE0EEEvT1_.num_vgpr, 60
	.set _ZN7rocprim17ROCPRIM_400000_NS6detail17trampoline_kernelINS0_14default_configENS1_27scan_by_key_config_selectorIiiEEZZNS1_16scan_by_key_implILNS1_25lookback_scan_determinismE0ELb0ES3_N6thrust23THRUST_200600_302600_NS16reverse_iteratorIPKiEESD_NSA_IPiEEiN6hipcub16HIPCUB_304000_NS3MaxENSH_8EqualityEiEE10hipError_tPvRmT2_T3_T4_T5_mT6_T7_P12ihipStream_tbENKUlT_T0_E_clISt17integral_constantIbLb0EESZ_IbLb1EEEEDaSV_SW_EUlSV_E_NS1_11comp_targetILNS1_3genE0ELNS1_11target_archE4294967295ELNS1_3gpuE0ELNS1_3repE0EEENS1_30default_config_static_selectorELNS0_4arch9wavefront6targetE0EEEvT1_.num_agpr, 0
	.set _ZN7rocprim17ROCPRIM_400000_NS6detail17trampoline_kernelINS0_14default_configENS1_27scan_by_key_config_selectorIiiEEZZNS1_16scan_by_key_implILNS1_25lookback_scan_determinismE0ELb0ES3_N6thrust23THRUST_200600_302600_NS16reverse_iteratorIPKiEESD_NSA_IPiEEiN6hipcub16HIPCUB_304000_NS3MaxENSH_8EqualityEiEE10hipError_tPvRmT2_T3_T4_T5_mT6_T7_P12ihipStream_tbENKUlT_T0_E_clISt17integral_constantIbLb0EESZ_IbLb1EEEEDaSV_SW_EUlSV_E_NS1_11comp_targetILNS1_3genE0ELNS1_11target_archE4294967295ELNS1_3gpuE0ELNS1_3repE0EEENS1_30default_config_static_selectorELNS0_4arch9wavefront6targetE0EEEvT1_.numbered_sgpr, 46
	.set _ZN7rocprim17ROCPRIM_400000_NS6detail17trampoline_kernelINS0_14default_configENS1_27scan_by_key_config_selectorIiiEEZZNS1_16scan_by_key_implILNS1_25lookback_scan_determinismE0ELb0ES3_N6thrust23THRUST_200600_302600_NS16reverse_iteratorIPKiEESD_NSA_IPiEEiN6hipcub16HIPCUB_304000_NS3MaxENSH_8EqualityEiEE10hipError_tPvRmT2_T3_T4_T5_mT6_T7_P12ihipStream_tbENKUlT_T0_E_clISt17integral_constantIbLb0EESZ_IbLb1EEEEDaSV_SW_EUlSV_E_NS1_11comp_targetILNS1_3genE0ELNS1_11target_archE4294967295ELNS1_3gpuE0ELNS1_3repE0EEENS1_30default_config_static_selectorELNS0_4arch9wavefront6targetE0EEEvT1_.num_named_barrier, 0
	.set _ZN7rocprim17ROCPRIM_400000_NS6detail17trampoline_kernelINS0_14default_configENS1_27scan_by_key_config_selectorIiiEEZZNS1_16scan_by_key_implILNS1_25lookback_scan_determinismE0ELb0ES3_N6thrust23THRUST_200600_302600_NS16reverse_iteratorIPKiEESD_NSA_IPiEEiN6hipcub16HIPCUB_304000_NS3MaxENSH_8EqualityEiEE10hipError_tPvRmT2_T3_T4_T5_mT6_T7_P12ihipStream_tbENKUlT_T0_E_clISt17integral_constantIbLb0EESZ_IbLb1EEEEDaSV_SW_EUlSV_E_NS1_11comp_targetILNS1_3genE0ELNS1_11target_archE4294967295ELNS1_3gpuE0ELNS1_3repE0EEENS1_30default_config_static_selectorELNS0_4arch9wavefront6targetE0EEEvT1_.private_seg_size, 0
	.set _ZN7rocprim17ROCPRIM_400000_NS6detail17trampoline_kernelINS0_14default_configENS1_27scan_by_key_config_selectorIiiEEZZNS1_16scan_by_key_implILNS1_25lookback_scan_determinismE0ELb0ES3_N6thrust23THRUST_200600_302600_NS16reverse_iteratorIPKiEESD_NSA_IPiEEiN6hipcub16HIPCUB_304000_NS3MaxENSH_8EqualityEiEE10hipError_tPvRmT2_T3_T4_T5_mT6_T7_P12ihipStream_tbENKUlT_T0_E_clISt17integral_constantIbLb0EESZ_IbLb1EEEEDaSV_SW_EUlSV_E_NS1_11comp_targetILNS1_3genE0ELNS1_11target_archE4294967295ELNS1_3gpuE0ELNS1_3repE0EEENS1_30default_config_static_selectorELNS0_4arch9wavefront6targetE0EEEvT1_.uses_vcc, 1
	.set _ZN7rocprim17ROCPRIM_400000_NS6detail17trampoline_kernelINS0_14default_configENS1_27scan_by_key_config_selectorIiiEEZZNS1_16scan_by_key_implILNS1_25lookback_scan_determinismE0ELb0ES3_N6thrust23THRUST_200600_302600_NS16reverse_iteratorIPKiEESD_NSA_IPiEEiN6hipcub16HIPCUB_304000_NS3MaxENSH_8EqualityEiEE10hipError_tPvRmT2_T3_T4_T5_mT6_T7_P12ihipStream_tbENKUlT_T0_E_clISt17integral_constantIbLb0EESZ_IbLb1EEEEDaSV_SW_EUlSV_E_NS1_11comp_targetILNS1_3genE0ELNS1_11target_archE4294967295ELNS1_3gpuE0ELNS1_3repE0EEENS1_30default_config_static_selectorELNS0_4arch9wavefront6targetE0EEEvT1_.uses_flat_scratch, 1
	.set _ZN7rocprim17ROCPRIM_400000_NS6detail17trampoline_kernelINS0_14default_configENS1_27scan_by_key_config_selectorIiiEEZZNS1_16scan_by_key_implILNS1_25lookback_scan_determinismE0ELb0ES3_N6thrust23THRUST_200600_302600_NS16reverse_iteratorIPKiEESD_NSA_IPiEEiN6hipcub16HIPCUB_304000_NS3MaxENSH_8EqualityEiEE10hipError_tPvRmT2_T3_T4_T5_mT6_T7_P12ihipStream_tbENKUlT_T0_E_clISt17integral_constantIbLb0EESZ_IbLb1EEEEDaSV_SW_EUlSV_E_NS1_11comp_targetILNS1_3genE0ELNS1_11target_archE4294967295ELNS1_3gpuE0ELNS1_3repE0EEENS1_30default_config_static_selectorELNS0_4arch9wavefront6targetE0EEEvT1_.has_dyn_sized_stack, 0
	.set _ZN7rocprim17ROCPRIM_400000_NS6detail17trampoline_kernelINS0_14default_configENS1_27scan_by_key_config_selectorIiiEEZZNS1_16scan_by_key_implILNS1_25lookback_scan_determinismE0ELb0ES3_N6thrust23THRUST_200600_302600_NS16reverse_iteratorIPKiEESD_NSA_IPiEEiN6hipcub16HIPCUB_304000_NS3MaxENSH_8EqualityEiEE10hipError_tPvRmT2_T3_T4_T5_mT6_T7_P12ihipStream_tbENKUlT_T0_E_clISt17integral_constantIbLb0EESZ_IbLb1EEEEDaSV_SW_EUlSV_E_NS1_11comp_targetILNS1_3genE0ELNS1_11target_archE4294967295ELNS1_3gpuE0ELNS1_3repE0EEENS1_30default_config_static_selectorELNS0_4arch9wavefront6targetE0EEEvT1_.has_recursion, 0
	.set _ZN7rocprim17ROCPRIM_400000_NS6detail17trampoline_kernelINS0_14default_configENS1_27scan_by_key_config_selectorIiiEEZZNS1_16scan_by_key_implILNS1_25lookback_scan_determinismE0ELb0ES3_N6thrust23THRUST_200600_302600_NS16reverse_iteratorIPKiEESD_NSA_IPiEEiN6hipcub16HIPCUB_304000_NS3MaxENSH_8EqualityEiEE10hipError_tPvRmT2_T3_T4_T5_mT6_T7_P12ihipStream_tbENKUlT_T0_E_clISt17integral_constantIbLb0EESZ_IbLb1EEEEDaSV_SW_EUlSV_E_NS1_11comp_targetILNS1_3genE0ELNS1_11target_archE4294967295ELNS1_3gpuE0ELNS1_3repE0EEENS1_30default_config_static_selectorELNS0_4arch9wavefront6targetE0EEEvT1_.has_indirect_call, 0
	.section	.AMDGPU.csdata,"",@progbits
; Kernel info:
; codeLenInByte = 12308
; TotalNumSgprs: 48
; NumVgprs: 60
; ScratchSize: 0
; MemoryBound: 0
; FloatMode: 240
; IeeeMode: 1
; LDSByteSize: 14336 bytes/workgroup (compile time only)
; SGPRBlocks: 0
; VGPRBlocks: 3
; NumSGPRsForWavesPerEU: 48
; NumVGPRsForWavesPerEU: 60
; NamedBarCnt: 0
; Occupancy: 16
; WaveLimiterHint : 1
; COMPUTE_PGM_RSRC2:SCRATCH_EN: 0
; COMPUTE_PGM_RSRC2:USER_SGPR: 2
; COMPUTE_PGM_RSRC2:TRAP_HANDLER: 0
; COMPUTE_PGM_RSRC2:TGID_X_EN: 1
; COMPUTE_PGM_RSRC2:TGID_Y_EN: 0
; COMPUTE_PGM_RSRC2:TGID_Z_EN: 0
; COMPUTE_PGM_RSRC2:TIDIG_COMP_CNT: 0
	.section	.text._ZN7rocprim17ROCPRIM_400000_NS6detail17trampoline_kernelINS0_14default_configENS1_27scan_by_key_config_selectorIiiEEZZNS1_16scan_by_key_implILNS1_25lookback_scan_determinismE0ELb0ES3_N6thrust23THRUST_200600_302600_NS16reverse_iteratorIPKiEESD_NSA_IPiEEiN6hipcub16HIPCUB_304000_NS3MaxENSH_8EqualityEiEE10hipError_tPvRmT2_T3_T4_T5_mT6_T7_P12ihipStream_tbENKUlT_T0_E_clISt17integral_constantIbLb0EESZ_IbLb1EEEEDaSV_SW_EUlSV_E_NS1_11comp_targetILNS1_3genE10ELNS1_11target_archE1201ELNS1_3gpuE5ELNS1_3repE0EEENS1_30default_config_static_selectorELNS0_4arch9wavefront6targetE0EEEvT1_,"axG",@progbits,_ZN7rocprim17ROCPRIM_400000_NS6detail17trampoline_kernelINS0_14default_configENS1_27scan_by_key_config_selectorIiiEEZZNS1_16scan_by_key_implILNS1_25lookback_scan_determinismE0ELb0ES3_N6thrust23THRUST_200600_302600_NS16reverse_iteratorIPKiEESD_NSA_IPiEEiN6hipcub16HIPCUB_304000_NS3MaxENSH_8EqualityEiEE10hipError_tPvRmT2_T3_T4_T5_mT6_T7_P12ihipStream_tbENKUlT_T0_E_clISt17integral_constantIbLb0EESZ_IbLb1EEEEDaSV_SW_EUlSV_E_NS1_11comp_targetILNS1_3genE10ELNS1_11target_archE1201ELNS1_3gpuE5ELNS1_3repE0EEENS1_30default_config_static_selectorELNS0_4arch9wavefront6targetE0EEEvT1_,comdat
	.protected	_ZN7rocprim17ROCPRIM_400000_NS6detail17trampoline_kernelINS0_14default_configENS1_27scan_by_key_config_selectorIiiEEZZNS1_16scan_by_key_implILNS1_25lookback_scan_determinismE0ELb0ES3_N6thrust23THRUST_200600_302600_NS16reverse_iteratorIPKiEESD_NSA_IPiEEiN6hipcub16HIPCUB_304000_NS3MaxENSH_8EqualityEiEE10hipError_tPvRmT2_T3_T4_T5_mT6_T7_P12ihipStream_tbENKUlT_T0_E_clISt17integral_constantIbLb0EESZ_IbLb1EEEEDaSV_SW_EUlSV_E_NS1_11comp_targetILNS1_3genE10ELNS1_11target_archE1201ELNS1_3gpuE5ELNS1_3repE0EEENS1_30default_config_static_selectorELNS0_4arch9wavefront6targetE0EEEvT1_ ; -- Begin function _ZN7rocprim17ROCPRIM_400000_NS6detail17trampoline_kernelINS0_14default_configENS1_27scan_by_key_config_selectorIiiEEZZNS1_16scan_by_key_implILNS1_25lookback_scan_determinismE0ELb0ES3_N6thrust23THRUST_200600_302600_NS16reverse_iteratorIPKiEESD_NSA_IPiEEiN6hipcub16HIPCUB_304000_NS3MaxENSH_8EqualityEiEE10hipError_tPvRmT2_T3_T4_T5_mT6_T7_P12ihipStream_tbENKUlT_T0_E_clISt17integral_constantIbLb0EESZ_IbLb1EEEEDaSV_SW_EUlSV_E_NS1_11comp_targetILNS1_3genE10ELNS1_11target_archE1201ELNS1_3gpuE5ELNS1_3repE0EEENS1_30default_config_static_selectorELNS0_4arch9wavefront6targetE0EEEvT1_
	.globl	_ZN7rocprim17ROCPRIM_400000_NS6detail17trampoline_kernelINS0_14default_configENS1_27scan_by_key_config_selectorIiiEEZZNS1_16scan_by_key_implILNS1_25lookback_scan_determinismE0ELb0ES3_N6thrust23THRUST_200600_302600_NS16reverse_iteratorIPKiEESD_NSA_IPiEEiN6hipcub16HIPCUB_304000_NS3MaxENSH_8EqualityEiEE10hipError_tPvRmT2_T3_T4_T5_mT6_T7_P12ihipStream_tbENKUlT_T0_E_clISt17integral_constantIbLb0EESZ_IbLb1EEEEDaSV_SW_EUlSV_E_NS1_11comp_targetILNS1_3genE10ELNS1_11target_archE1201ELNS1_3gpuE5ELNS1_3repE0EEENS1_30default_config_static_selectorELNS0_4arch9wavefront6targetE0EEEvT1_
	.p2align	8
	.type	_ZN7rocprim17ROCPRIM_400000_NS6detail17trampoline_kernelINS0_14default_configENS1_27scan_by_key_config_selectorIiiEEZZNS1_16scan_by_key_implILNS1_25lookback_scan_determinismE0ELb0ES3_N6thrust23THRUST_200600_302600_NS16reverse_iteratorIPKiEESD_NSA_IPiEEiN6hipcub16HIPCUB_304000_NS3MaxENSH_8EqualityEiEE10hipError_tPvRmT2_T3_T4_T5_mT6_T7_P12ihipStream_tbENKUlT_T0_E_clISt17integral_constantIbLb0EESZ_IbLb1EEEEDaSV_SW_EUlSV_E_NS1_11comp_targetILNS1_3genE10ELNS1_11target_archE1201ELNS1_3gpuE5ELNS1_3repE0EEENS1_30default_config_static_selectorELNS0_4arch9wavefront6targetE0EEEvT1_,@function
_ZN7rocprim17ROCPRIM_400000_NS6detail17trampoline_kernelINS0_14default_configENS1_27scan_by_key_config_selectorIiiEEZZNS1_16scan_by_key_implILNS1_25lookback_scan_determinismE0ELb0ES3_N6thrust23THRUST_200600_302600_NS16reverse_iteratorIPKiEESD_NSA_IPiEEiN6hipcub16HIPCUB_304000_NS3MaxENSH_8EqualityEiEE10hipError_tPvRmT2_T3_T4_T5_mT6_T7_P12ihipStream_tbENKUlT_T0_E_clISt17integral_constantIbLb0EESZ_IbLb1EEEEDaSV_SW_EUlSV_E_NS1_11comp_targetILNS1_3genE10ELNS1_11target_archE1201ELNS1_3gpuE5ELNS1_3repE0EEENS1_30default_config_static_selectorELNS0_4arch9wavefront6targetE0EEEvT1_: ; @_ZN7rocprim17ROCPRIM_400000_NS6detail17trampoline_kernelINS0_14default_configENS1_27scan_by_key_config_selectorIiiEEZZNS1_16scan_by_key_implILNS1_25lookback_scan_determinismE0ELb0ES3_N6thrust23THRUST_200600_302600_NS16reverse_iteratorIPKiEESD_NSA_IPiEEiN6hipcub16HIPCUB_304000_NS3MaxENSH_8EqualityEiEE10hipError_tPvRmT2_T3_T4_T5_mT6_T7_P12ihipStream_tbENKUlT_T0_E_clISt17integral_constantIbLb0EESZ_IbLb1EEEEDaSV_SW_EUlSV_E_NS1_11comp_targetILNS1_3genE10ELNS1_11target_archE1201ELNS1_3gpuE5ELNS1_3repE0EEENS1_30default_config_static_selectorELNS0_4arch9wavefront6targetE0EEEvT1_
; %bb.0:
	.section	.rodata,"a",@progbits
	.p2align	6, 0x0
	.amdhsa_kernel _ZN7rocprim17ROCPRIM_400000_NS6detail17trampoline_kernelINS0_14default_configENS1_27scan_by_key_config_selectorIiiEEZZNS1_16scan_by_key_implILNS1_25lookback_scan_determinismE0ELb0ES3_N6thrust23THRUST_200600_302600_NS16reverse_iteratorIPKiEESD_NSA_IPiEEiN6hipcub16HIPCUB_304000_NS3MaxENSH_8EqualityEiEE10hipError_tPvRmT2_T3_T4_T5_mT6_T7_P12ihipStream_tbENKUlT_T0_E_clISt17integral_constantIbLb0EESZ_IbLb1EEEEDaSV_SW_EUlSV_E_NS1_11comp_targetILNS1_3genE10ELNS1_11target_archE1201ELNS1_3gpuE5ELNS1_3repE0EEENS1_30default_config_static_selectorELNS0_4arch9wavefront6targetE0EEEvT1_
		.amdhsa_group_segment_fixed_size 0
		.amdhsa_private_segment_fixed_size 0
		.amdhsa_kernarg_size 112
		.amdhsa_user_sgpr_count 2
		.amdhsa_user_sgpr_dispatch_ptr 0
		.amdhsa_user_sgpr_queue_ptr 0
		.amdhsa_user_sgpr_kernarg_segment_ptr 1
		.amdhsa_user_sgpr_dispatch_id 0
		.amdhsa_user_sgpr_kernarg_preload_length 0
		.amdhsa_user_sgpr_kernarg_preload_offset 0
		.amdhsa_user_sgpr_private_segment_size 0
		.amdhsa_wavefront_size32 1
		.amdhsa_uses_dynamic_stack 0
		.amdhsa_enable_private_segment 0
		.amdhsa_system_sgpr_workgroup_id_x 1
		.amdhsa_system_sgpr_workgroup_id_y 0
		.amdhsa_system_sgpr_workgroup_id_z 0
		.amdhsa_system_sgpr_workgroup_info 0
		.amdhsa_system_vgpr_workitem_id 0
		.amdhsa_next_free_vgpr 1
		.amdhsa_next_free_sgpr 1
		.amdhsa_named_barrier_count 0
		.amdhsa_reserve_vcc 0
		.amdhsa_float_round_mode_32 0
		.amdhsa_float_round_mode_16_64 0
		.amdhsa_float_denorm_mode_32 3
		.amdhsa_float_denorm_mode_16_64 3
		.amdhsa_fp16_overflow 0
		.amdhsa_memory_ordered 1
		.amdhsa_forward_progress 1
		.amdhsa_inst_pref_size 0
		.amdhsa_round_robin_scheduling 0
		.amdhsa_exception_fp_ieee_invalid_op 0
		.amdhsa_exception_fp_denorm_src 0
		.amdhsa_exception_fp_ieee_div_zero 0
		.amdhsa_exception_fp_ieee_overflow 0
		.amdhsa_exception_fp_ieee_underflow 0
		.amdhsa_exception_fp_ieee_inexact 0
		.amdhsa_exception_int_div_zero 0
	.end_amdhsa_kernel
	.section	.text._ZN7rocprim17ROCPRIM_400000_NS6detail17trampoline_kernelINS0_14default_configENS1_27scan_by_key_config_selectorIiiEEZZNS1_16scan_by_key_implILNS1_25lookback_scan_determinismE0ELb0ES3_N6thrust23THRUST_200600_302600_NS16reverse_iteratorIPKiEESD_NSA_IPiEEiN6hipcub16HIPCUB_304000_NS3MaxENSH_8EqualityEiEE10hipError_tPvRmT2_T3_T4_T5_mT6_T7_P12ihipStream_tbENKUlT_T0_E_clISt17integral_constantIbLb0EESZ_IbLb1EEEEDaSV_SW_EUlSV_E_NS1_11comp_targetILNS1_3genE10ELNS1_11target_archE1201ELNS1_3gpuE5ELNS1_3repE0EEENS1_30default_config_static_selectorELNS0_4arch9wavefront6targetE0EEEvT1_,"axG",@progbits,_ZN7rocprim17ROCPRIM_400000_NS6detail17trampoline_kernelINS0_14default_configENS1_27scan_by_key_config_selectorIiiEEZZNS1_16scan_by_key_implILNS1_25lookback_scan_determinismE0ELb0ES3_N6thrust23THRUST_200600_302600_NS16reverse_iteratorIPKiEESD_NSA_IPiEEiN6hipcub16HIPCUB_304000_NS3MaxENSH_8EqualityEiEE10hipError_tPvRmT2_T3_T4_T5_mT6_T7_P12ihipStream_tbENKUlT_T0_E_clISt17integral_constantIbLb0EESZ_IbLb1EEEEDaSV_SW_EUlSV_E_NS1_11comp_targetILNS1_3genE10ELNS1_11target_archE1201ELNS1_3gpuE5ELNS1_3repE0EEENS1_30default_config_static_selectorELNS0_4arch9wavefront6targetE0EEEvT1_,comdat
.Lfunc_end84:
	.size	_ZN7rocprim17ROCPRIM_400000_NS6detail17trampoline_kernelINS0_14default_configENS1_27scan_by_key_config_selectorIiiEEZZNS1_16scan_by_key_implILNS1_25lookback_scan_determinismE0ELb0ES3_N6thrust23THRUST_200600_302600_NS16reverse_iteratorIPKiEESD_NSA_IPiEEiN6hipcub16HIPCUB_304000_NS3MaxENSH_8EqualityEiEE10hipError_tPvRmT2_T3_T4_T5_mT6_T7_P12ihipStream_tbENKUlT_T0_E_clISt17integral_constantIbLb0EESZ_IbLb1EEEEDaSV_SW_EUlSV_E_NS1_11comp_targetILNS1_3genE10ELNS1_11target_archE1201ELNS1_3gpuE5ELNS1_3repE0EEENS1_30default_config_static_selectorELNS0_4arch9wavefront6targetE0EEEvT1_, .Lfunc_end84-_ZN7rocprim17ROCPRIM_400000_NS6detail17trampoline_kernelINS0_14default_configENS1_27scan_by_key_config_selectorIiiEEZZNS1_16scan_by_key_implILNS1_25lookback_scan_determinismE0ELb0ES3_N6thrust23THRUST_200600_302600_NS16reverse_iteratorIPKiEESD_NSA_IPiEEiN6hipcub16HIPCUB_304000_NS3MaxENSH_8EqualityEiEE10hipError_tPvRmT2_T3_T4_T5_mT6_T7_P12ihipStream_tbENKUlT_T0_E_clISt17integral_constantIbLb0EESZ_IbLb1EEEEDaSV_SW_EUlSV_E_NS1_11comp_targetILNS1_3genE10ELNS1_11target_archE1201ELNS1_3gpuE5ELNS1_3repE0EEENS1_30default_config_static_selectorELNS0_4arch9wavefront6targetE0EEEvT1_
                                        ; -- End function
	.set _ZN7rocprim17ROCPRIM_400000_NS6detail17trampoline_kernelINS0_14default_configENS1_27scan_by_key_config_selectorIiiEEZZNS1_16scan_by_key_implILNS1_25lookback_scan_determinismE0ELb0ES3_N6thrust23THRUST_200600_302600_NS16reverse_iteratorIPKiEESD_NSA_IPiEEiN6hipcub16HIPCUB_304000_NS3MaxENSH_8EqualityEiEE10hipError_tPvRmT2_T3_T4_T5_mT6_T7_P12ihipStream_tbENKUlT_T0_E_clISt17integral_constantIbLb0EESZ_IbLb1EEEEDaSV_SW_EUlSV_E_NS1_11comp_targetILNS1_3genE10ELNS1_11target_archE1201ELNS1_3gpuE5ELNS1_3repE0EEENS1_30default_config_static_selectorELNS0_4arch9wavefront6targetE0EEEvT1_.num_vgpr, 0
	.set _ZN7rocprim17ROCPRIM_400000_NS6detail17trampoline_kernelINS0_14default_configENS1_27scan_by_key_config_selectorIiiEEZZNS1_16scan_by_key_implILNS1_25lookback_scan_determinismE0ELb0ES3_N6thrust23THRUST_200600_302600_NS16reverse_iteratorIPKiEESD_NSA_IPiEEiN6hipcub16HIPCUB_304000_NS3MaxENSH_8EqualityEiEE10hipError_tPvRmT2_T3_T4_T5_mT6_T7_P12ihipStream_tbENKUlT_T0_E_clISt17integral_constantIbLb0EESZ_IbLb1EEEEDaSV_SW_EUlSV_E_NS1_11comp_targetILNS1_3genE10ELNS1_11target_archE1201ELNS1_3gpuE5ELNS1_3repE0EEENS1_30default_config_static_selectorELNS0_4arch9wavefront6targetE0EEEvT1_.num_agpr, 0
	.set _ZN7rocprim17ROCPRIM_400000_NS6detail17trampoline_kernelINS0_14default_configENS1_27scan_by_key_config_selectorIiiEEZZNS1_16scan_by_key_implILNS1_25lookback_scan_determinismE0ELb0ES3_N6thrust23THRUST_200600_302600_NS16reverse_iteratorIPKiEESD_NSA_IPiEEiN6hipcub16HIPCUB_304000_NS3MaxENSH_8EqualityEiEE10hipError_tPvRmT2_T3_T4_T5_mT6_T7_P12ihipStream_tbENKUlT_T0_E_clISt17integral_constantIbLb0EESZ_IbLb1EEEEDaSV_SW_EUlSV_E_NS1_11comp_targetILNS1_3genE10ELNS1_11target_archE1201ELNS1_3gpuE5ELNS1_3repE0EEENS1_30default_config_static_selectorELNS0_4arch9wavefront6targetE0EEEvT1_.numbered_sgpr, 0
	.set _ZN7rocprim17ROCPRIM_400000_NS6detail17trampoline_kernelINS0_14default_configENS1_27scan_by_key_config_selectorIiiEEZZNS1_16scan_by_key_implILNS1_25lookback_scan_determinismE0ELb0ES3_N6thrust23THRUST_200600_302600_NS16reverse_iteratorIPKiEESD_NSA_IPiEEiN6hipcub16HIPCUB_304000_NS3MaxENSH_8EqualityEiEE10hipError_tPvRmT2_T3_T4_T5_mT6_T7_P12ihipStream_tbENKUlT_T0_E_clISt17integral_constantIbLb0EESZ_IbLb1EEEEDaSV_SW_EUlSV_E_NS1_11comp_targetILNS1_3genE10ELNS1_11target_archE1201ELNS1_3gpuE5ELNS1_3repE0EEENS1_30default_config_static_selectorELNS0_4arch9wavefront6targetE0EEEvT1_.num_named_barrier, 0
	.set _ZN7rocprim17ROCPRIM_400000_NS6detail17trampoline_kernelINS0_14default_configENS1_27scan_by_key_config_selectorIiiEEZZNS1_16scan_by_key_implILNS1_25lookback_scan_determinismE0ELb0ES3_N6thrust23THRUST_200600_302600_NS16reverse_iteratorIPKiEESD_NSA_IPiEEiN6hipcub16HIPCUB_304000_NS3MaxENSH_8EqualityEiEE10hipError_tPvRmT2_T3_T4_T5_mT6_T7_P12ihipStream_tbENKUlT_T0_E_clISt17integral_constantIbLb0EESZ_IbLb1EEEEDaSV_SW_EUlSV_E_NS1_11comp_targetILNS1_3genE10ELNS1_11target_archE1201ELNS1_3gpuE5ELNS1_3repE0EEENS1_30default_config_static_selectorELNS0_4arch9wavefront6targetE0EEEvT1_.private_seg_size, 0
	.set _ZN7rocprim17ROCPRIM_400000_NS6detail17trampoline_kernelINS0_14default_configENS1_27scan_by_key_config_selectorIiiEEZZNS1_16scan_by_key_implILNS1_25lookback_scan_determinismE0ELb0ES3_N6thrust23THRUST_200600_302600_NS16reverse_iteratorIPKiEESD_NSA_IPiEEiN6hipcub16HIPCUB_304000_NS3MaxENSH_8EqualityEiEE10hipError_tPvRmT2_T3_T4_T5_mT6_T7_P12ihipStream_tbENKUlT_T0_E_clISt17integral_constantIbLb0EESZ_IbLb1EEEEDaSV_SW_EUlSV_E_NS1_11comp_targetILNS1_3genE10ELNS1_11target_archE1201ELNS1_3gpuE5ELNS1_3repE0EEENS1_30default_config_static_selectorELNS0_4arch9wavefront6targetE0EEEvT1_.uses_vcc, 0
	.set _ZN7rocprim17ROCPRIM_400000_NS6detail17trampoline_kernelINS0_14default_configENS1_27scan_by_key_config_selectorIiiEEZZNS1_16scan_by_key_implILNS1_25lookback_scan_determinismE0ELb0ES3_N6thrust23THRUST_200600_302600_NS16reverse_iteratorIPKiEESD_NSA_IPiEEiN6hipcub16HIPCUB_304000_NS3MaxENSH_8EqualityEiEE10hipError_tPvRmT2_T3_T4_T5_mT6_T7_P12ihipStream_tbENKUlT_T0_E_clISt17integral_constantIbLb0EESZ_IbLb1EEEEDaSV_SW_EUlSV_E_NS1_11comp_targetILNS1_3genE10ELNS1_11target_archE1201ELNS1_3gpuE5ELNS1_3repE0EEENS1_30default_config_static_selectorELNS0_4arch9wavefront6targetE0EEEvT1_.uses_flat_scratch, 0
	.set _ZN7rocprim17ROCPRIM_400000_NS6detail17trampoline_kernelINS0_14default_configENS1_27scan_by_key_config_selectorIiiEEZZNS1_16scan_by_key_implILNS1_25lookback_scan_determinismE0ELb0ES3_N6thrust23THRUST_200600_302600_NS16reverse_iteratorIPKiEESD_NSA_IPiEEiN6hipcub16HIPCUB_304000_NS3MaxENSH_8EqualityEiEE10hipError_tPvRmT2_T3_T4_T5_mT6_T7_P12ihipStream_tbENKUlT_T0_E_clISt17integral_constantIbLb0EESZ_IbLb1EEEEDaSV_SW_EUlSV_E_NS1_11comp_targetILNS1_3genE10ELNS1_11target_archE1201ELNS1_3gpuE5ELNS1_3repE0EEENS1_30default_config_static_selectorELNS0_4arch9wavefront6targetE0EEEvT1_.has_dyn_sized_stack, 0
	.set _ZN7rocprim17ROCPRIM_400000_NS6detail17trampoline_kernelINS0_14default_configENS1_27scan_by_key_config_selectorIiiEEZZNS1_16scan_by_key_implILNS1_25lookback_scan_determinismE0ELb0ES3_N6thrust23THRUST_200600_302600_NS16reverse_iteratorIPKiEESD_NSA_IPiEEiN6hipcub16HIPCUB_304000_NS3MaxENSH_8EqualityEiEE10hipError_tPvRmT2_T3_T4_T5_mT6_T7_P12ihipStream_tbENKUlT_T0_E_clISt17integral_constantIbLb0EESZ_IbLb1EEEEDaSV_SW_EUlSV_E_NS1_11comp_targetILNS1_3genE10ELNS1_11target_archE1201ELNS1_3gpuE5ELNS1_3repE0EEENS1_30default_config_static_selectorELNS0_4arch9wavefront6targetE0EEEvT1_.has_recursion, 0
	.set _ZN7rocprim17ROCPRIM_400000_NS6detail17trampoline_kernelINS0_14default_configENS1_27scan_by_key_config_selectorIiiEEZZNS1_16scan_by_key_implILNS1_25lookback_scan_determinismE0ELb0ES3_N6thrust23THRUST_200600_302600_NS16reverse_iteratorIPKiEESD_NSA_IPiEEiN6hipcub16HIPCUB_304000_NS3MaxENSH_8EqualityEiEE10hipError_tPvRmT2_T3_T4_T5_mT6_T7_P12ihipStream_tbENKUlT_T0_E_clISt17integral_constantIbLb0EESZ_IbLb1EEEEDaSV_SW_EUlSV_E_NS1_11comp_targetILNS1_3genE10ELNS1_11target_archE1201ELNS1_3gpuE5ELNS1_3repE0EEENS1_30default_config_static_selectorELNS0_4arch9wavefront6targetE0EEEvT1_.has_indirect_call, 0
	.section	.AMDGPU.csdata,"",@progbits
; Kernel info:
; codeLenInByte = 0
; TotalNumSgprs: 0
; NumVgprs: 0
; ScratchSize: 0
; MemoryBound: 0
; FloatMode: 240
; IeeeMode: 1
; LDSByteSize: 0 bytes/workgroup (compile time only)
; SGPRBlocks: 0
; VGPRBlocks: 0
; NumSGPRsForWavesPerEU: 1
; NumVGPRsForWavesPerEU: 1
; NamedBarCnt: 0
; Occupancy: 16
; WaveLimiterHint : 0
; COMPUTE_PGM_RSRC2:SCRATCH_EN: 0
; COMPUTE_PGM_RSRC2:USER_SGPR: 2
; COMPUTE_PGM_RSRC2:TRAP_HANDLER: 0
; COMPUTE_PGM_RSRC2:TGID_X_EN: 1
; COMPUTE_PGM_RSRC2:TGID_Y_EN: 0
; COMPUTE_PGM_RSRC2:TGID_Z_EN: 0
; COMPUTE_PGM_RSRC2:TIDIG_COMP_CNT: 0
	.section	.text._ZN7rocprim17ROCPRIM_400000_NS6detail17trampoline_kernelINS0_14default_configENS1_27scan_by_key_config_selectorIiiEEZZNS1_16scan_by_key_implILNS1_25lookback_scan_determinismE0ELb0ES3_N6thrust23THRUST_200600_302600_NS16reverse_iteratorIPKiEESD_NSA_IPiEEiN6hipcub16HIPCUB_304000_NS3MaxENSH_8EqualityEiEE10hipError_tPvRmT2_T3_T4_T5_mT6_T7_P12ihipStream_tbENKUlT_T0_E_clISt17integral_constantIbLb0EESZ_IbLb1EEEEDaSV_SW_EUlSV_E_NS1_11comp_targetILNS1_3genE5ELNS1_11target_archE942ELNS1_3gpuE9ELNS1_3repE0EEENS1_30default_config_static_selectorELNS0_4arch9wavefront6targetE0EEEvT1_,"axG",@progbits,_ZN7rocprim17ROCPRIM_400000_NS6detail17trampoline_kernelINS0_14default_configENS1_27scan_by_key_config_selectorIiiEEZZNS1_16scan_by_key_implILNS1_25lookback_scan_determinismE0ELb0ES3_N6thrust23THRUST_200600_302600_NS16reverse_iteratorIPKiEESD_NSA_IPiEEiN6hipcub16HIPCUB_304000_NS3MaxENSH_8EqualityEiEE10hipError_tPvRmT2_T3_T4_T5_mT6_T7_P12ihipStream_tbENKUlT_T0_E_clISt17integral_constantIbLb0EESZ_IbLb1EEEEDaSV_SW_EUlSV_E_NS1_11comp_targetILNS1_3genE5ELNS1_11target_archE942ELNS1_3gpuE9ELNS1_3repE0EEENS1_30default_config_static_selectorELNS0_4arch9wavefront6targetE0EEEvT1_,comdat
	.protected	_ZN7rocprim17ROCPRIM_400000_NS6detail17trampoline_kernelINS0_14default_configENS1_27scan_by_key_config_selectorIiiEEZZNS1_16scan_by_key_implILNS1_25lookback_scan_determinismE0ELb0ES3_N6thrust23THRUST_200600_302600_NS16reverse_iteratorIPKiEESD_NSA_IPiEEiN6hipcub16HIPCUB_304000_NS3MaxENSH_8EqualityEiEE10hipError_tPvRmT2_T3_T4_T5_mT6_T7_P12ihipStream_tbENKUlT_T0_E_clISt17integral_constantIbLb0EESZ_IbLb1EEEEDaSV_SW_EUlSV_E_NS1_11comp_targetILNS1_3genE5ELNS1_11target_archE942ELNS1_3gpuE9ELNS1_3repE0EEENS1_30default_config_static_selectorELNS0_4arch9wavefront6targetE0EEEvT1_ ; -- Begin function _ZN7rocprim17ROCPRIM_400000_NS6detail17trampoline_kernelINS0_14default_configENS1_27scan_by_key_config_selectorIiiEEZZNS1_16scan_by_key_implILNS1_25lookback_scan_determinismE0ELb0ES3_N6thrust23THRUST_200600_302600_NS16reverse_iteratorIPKiEESD_NSA_IPiEEiN6hipcub16HIPCUB_304000_NS3MaxENSH_8EqualityEiEE10hipError_tPvRmT2_T3_T4_T5_mT6_T7_P12ihipStream_tbENKUlT_T0_E_clISt17integral_constantIbLb0EESZ_IbLb1EEEEDaSV_SW_EUlSV_E_NS1_11comp_targetILNS1_3genE5ELNS1_11target_archE942ELNS1_3gpuE9ELNS1_3repE0EEENS1_30default_config_static_selectorELNS0_4arch9wavefront6targetE0EEEvT1_
	.globl	_ZN7rocprim17ROCPRIM_400000_NS6detail17trampoline_kernelINS0_14default_configENS1_27scan_by_key_config_selectorIiiEEZZNS1_16scan_by_key_implILNS1_25lookback_scan_determinismE0ELb0ES3_N6thrust23THRUST_200600_302600_NS16reverse_iteratorIPKiEESD_NSA_IPiEEiN6hipcub16HIPCUB_304000_NS3MaxENSH_8EqualityEiEE10hipError_tPvRmT2_T3_T4_T5_mT6_T7_P12ihipStream_tbENKUlT_T0_E_clISt17integral_constantIbLb0EESZ_IbLb1EEEEDaSV_SW_EUlSV_E_NS1_11comp_targetILNS1_3genE5ELNS1_11target_archE942ELNS1_3gpuE9ELNS1_3repE0EEENS1_30default_config_static_selectorELNS0_4arch9wavefront6targetE0EEEvT1_
	.p2align	8
	.type	_ZN7rocprim17ROCPRIM_400000_NS6detail17trampoline_kernelINS0_14default_configENS1_27scan_by_key_config_selectorIiiEEZZNS1_16scan_by_key_implILNS1_25lookback_scan_determinismE0ELb0ES3_N6thrust23THRUST_200600_302600_NS16reverse_iteratorIPKiEESD_NSA_IPiEEiN6hipcub16HIPCUB_304000_NS3MaxENSH_8EqualityEiEE10hipError_tPvRmT2_T3_T4_T5_mT6_T7_P12ihipStream_tbENKUlT_T0_E_clISt17integral_constantIbLb0EESZ_IbLb1EEEEDaSV_SW_EUlSV_E_NS1_11comp_targetILNS1_3genE5ELNS1_11target_archE942ELNS1_3gpuE9ELNS1_3repE0EEENS1_30default_config_static_selectorELNS0_4arch9wavefront6targetE0EEEvT1_,@function
_ZN7rocprim17ROCPRIM_400000_NS6detail17trampoline_kernelINS0_14default_configENS1_27scan_by_key_config_selectorIiiEEZZNS1_16scan_by_key_implILNS1_25lookback_scan_determinismE0ELb0ES3_N6thrust23THRUST_200600_302600_NS16reverse_iteratorIPKiEESD_NSA_IPiEEiN6hipcub16HIPCUB_304000_NS3MaxENSH_8EqualityEiEE10hipError_tPvRmT2_T3_T4_T5_mT6_T7_P12ihipStream_tbENKUlT_T0_E_clISt17integral_constantIbLb0EESZ_IbLb1EEEEDaSV_SW_EUlSV_E_NS1_11comp_targetILNS1_3genE5ELNS1_11target_archE942ELNS1_3gpuE9ELNS1_3repE0EEENS1_30default_config_static_selectorELNS0_4arch9wavefront6targetE0EEEvT1_: ; @_ZN7rocprim17ROCPRIM_400000_NS6detail17trampoline_kernelINS0_14default_configENS1_27scan_by_key_config_selectorIiiEEZZNS1_16scan_by_key_implILNS1_25lookback_scan_determinismE0ELb0ES3_N6thrust23THRUST_200600_302600_NS16reverse_iteratorIPKiEESD_NSA_IPiEEiN6hipcub16HIPCUB_304000_NS3MaxENSH_8EqualityEiEE10hipError_tPvRmT2_T3_T4_T5_mT6_T7_P12ihipStream_tbENKUlT_T0_E_clISt17integral_constantIbLb0EESZ_IbLb1EEEEDaSV_SW_EUlSV_E_NS1_11comp_targetILNS1_3genE5ELNS1_11target_archE942ELNS1_3gpuE9ELNS1_3repE0EEENS1_30default_config_static_selectorELNS0_4arch9wavefront6targetE0EEEvT1_
; %bb.0:
	.section	.rodata,"a",@progbits
	.p2align	6, 0x0
	.amdhsa_kernel _ZN7rocprim17ROCPRIM_400000_NS6detail17trampoline_kernelINS0_14default_configENS1_27scan_by_key_config_selectorIiiEEZZNS1_16scan_by_key_implILNS1_25lookback_scan_determinismE0ELb0ES3_N6thrust23THRUST_200600_302600_NS16reverse_iteratorIPKiEESD_NSA_IPiEEiN6hipcub16HIPCUB_304000_NS3MaxENSH_8EqualityEiEE10hipError_tPvRmT2_T3_T4_T5_mT6_T7_P12ihipStream_tbENKUlT_T0_E_clISt17integral_constantIbLb0EESZ_IbLb1EEEEDaSV_SW_EUlSV_E_NS1_11comp_targetILNS1_3genE5ELNS1_11target_archE942ELNS1_3gpuE9ELNS1_3repE0EEENS1_30default_config_static_selectorELNS0_4arch9wavefront6targetE0EEEvT1_
		.amdhsa_group_segment_fixed_size 0
		.amdhsa_private_segment_fixed_size 0
		.amdhsa_kernarg_size 112
		.amdhsa_user_sgpr_count 2
		.amdhsa_user_sgpr_dispatch_ptr 0
		.amdhsa_user_sgpr_queue_ptr 0
		.amdhsa_user_sgpr_kernarg_segment_ptr 1
		.amdhsa_user_sgpr_dispatch_id 0
		.amdhsa_user_sgpr_kernarg_preload_length 0
		.amdhsa_user_sgpr_kernarg_preload_offset 0
		.amdhsa_user_sgpr_private_segment_size 0
		.amdhsa_wavefront_size32 1
		.amdhsa_uses_dynamic_stack 0
		.amdhsa_enable_private_segment 0
		.amdhsa_system_sgpr_workgroup_id_x 1
		.amdhsa_system_sgpr_workgroup_id_y 0
		.amdhsa_system_sgpr_workgroup_id_z 0
		.amdhsa_system_sgpr_workgroup_info 0
		.amdhsa_system_vgpr_workitem_id 0
		.amdhsa_next_free_vgpr 1
		.amdhsa_next_free_sgpr 1
		.amdhsa_named_barrier_count 0
		.amdhsa_reserve_vcc 0
		.amdhsa_float_round_mode_32 0
		.amdhsa_float_round_mode_16_64 0
		.amdhsa_float_denorm_mode_32 3
		.amdhsa_float_denorm_mode_16_64 3
		.amdhsa_fp16_overflow 0
		.amdhsa_memory_ordered 1
		.amdhsa_forward_progress 1
		.amdhsa_inst_pref_size 0
		.amdhsa_round_robin_scheduling 0
		.amdhsa_exception_fp_ieee_invalid_op 0
		.amdhsa_exception_fp_denorm_src 0
		.amdhsa_exception_fp_ieee_div_zero 0
		.amdhsa_exception_fp_ieee_overflow 0
		.amdhsa_exception_fp_ieee_underflow 0
		.amdhsa_exception_fp_ieee_inexact 0
		.amdhsa_exception_int_div_zero 0
	.end_amdhsa_kernel
	.section	.text._ZN7rocprim17ROCPRIM_400000_NS6detail17trampoline_kernelINS0_14default_configENS1_27scan_by_key_config_selectorIiiEEZZNS1_16scan_by_key_implILNS1_25lookback_scan_determinismE0ELb0ES3_N6thrust23THRUST_200600_302600_NS16reverse_iteratorIPKiEESD_NSA_IPiEEiN6hipcub16HIPCUB_304000_NS3MaxENSH_8EqualityEiEE10hipError_tPvRmT2_T3_T4_T5_mT6_T7_P12ihipStream_tbENKUlT_T0_E_clISt17integral_constantIbLb0EESZ_IbLb1EEEEDaSV_SW_EUlSV_E_NS1_11comp_targetILNS1_3genE5ELNS1_11target_archE942ELNS1_3gpuE9ELNS1_3repE0EEENS1_30default_config_static_selectorELNS0_4arch9wavefront6targetE0EEEvT1_,"axG",@progbits,_ZN7rocprim17ROCPRIM_400000_NS6detail17trampoline_kernelINS0_14default_configENS1_27scan_by_key_config_selectorIiiEEZZNS1_16scan_by_key_implILNS1_25lookback_scan_determinismE0ELb0ES3_N6thrust23THRUST_200600_302600_NS16reverse_iteratorIPKiEESD_NSA_IPiEEiN6hipcub16HIPCUB_304000_NS3MaxENSH_8EqualityEiEE10hipError_tPvRmT2_T3_T4_T5_mT6_T7_P12ihipStream_tbENKUlT_T0_E_clISt17integral_constantIbLb0EESZ_IbLb1EEEEDaSV_SW_EUlSV_E_NS1_11comp_targetILNS1_3genE5ELNS1_11target_archE942ELNS1_3gpuE9ELNS1_3repE0EEENS1_30default_config_static_selectorELNS0_4arch9wavefront6targetE0EEEvT1_,comdat
.Lfunc_end85:
	.size	_ZN7rocprim17ROCPRIM_400000_NS6detail17trampoline_kernelINS0_14default_configENS1_27scan_by_key_config_selectorIiiEEZZNS1_16scan_by_key_implILNS1_25lookback_scan_determinismE0ELb0ES3_N6thrust23THRUST_200600_302600_NS16reverse_iteratorIPKiEESD_NSA_IPiEEiN6hipcub16HIPCUB_304000_NS3MaxENSH_8EqualityEiEE10hipError_tPvRmT2_T3_T4_T5_mT6_T7_P12ihipStream_tbENKUlT_T0_E_clISt17integral_constantIbLb0EESZ_IbLb1EEEEDaSV_SW_EUlSV_E_NS1_11comp_targetILNS1_3genE5ELNS1_11target_archE942ELNS1_3gpuE9ELNS1_3repE0EEENS1_30default_config_static_selectorELNS0_4arch9wavefront6targetE0EEEvT1_, .Lfunc_end85-_ZN7rocprim17ROCPRIM_400000_NS6detail17trampoline_kernelINS0_14default_configENS1_27scan_by_key_config_selectorIiiEEZZNS1_16scan_by_key_implILNS1_25lookback_scan_determinismE0ELb0ES3_N6thrust23THRUST_200600_302600_NS16reverse_iteratorIPKiEESD_NSA_IPiEEiN6hipcub16HIPCUB_304000_NS3MaxENSH_8EqualityEiEE10hipError_tPvRmT2_T3_T4_T5_mT6_T7_P12ihipStream_tbENKUlT_T0_E_clISt17integral_constantIbLb0EESZ_IbLb1EEEEDaSV_SW_EUlSV_E_NS1_11comp_targetILNS1_3genE5ELNS1_11target_archE942ELNS1_3gpuE9ELNS1_3repE0EEENS1_30default_config_static_selectorELNS0_4arch9wavefront6targetE0EEEvT1_
                                        ; -- End function
	.set _ZN7rocprim17ROCPRIM_400000_NS6detail17trampoline_kernelINS0_14default_configENS1_27scan_by_key_config_selectorIiiEEZZNS1_16scan_by_key_implILNS1_25lookback_scan_determinismE0ELb0ES3_N6thrust23THRUST_200600_302600_NS16reverse_iteratorIPKiEESD_NSA_IPiEEiN6hipcub16HIPCUB_304000_NS3MaxENSH_8EqualityEiEE10hipError_tPvRmT2_T3_T4_T5_mT6_T7_P12ihipStream_tbENKUlT_T0_E_clISt17integral_constantIbLb0EESZ_IbLb1EEEEDaSV_SW_EUlSV_E_NS1_11comp_targetILNS1_3genE5ELNS1_11target_archE942ELNS1_3gpuE9ELNS1_3repE0EEENS1_30default_config_static_selectorELNS0_4arch9wavefront6targetE0EEEvT1_.num_vgpr, 0
	.set _ZN7rocprim17ROCPRIM_400000_NS6detail17trampoline_kernelINS0_14default_configENS1_27scan_by_key_config_selectorIiiEEZZNS1_16scan_by_key_implILNS1_25lookback_scan_determinismE0ELb0ES3_N6thrust23THRUST_200600_302600_NS16reverse_iteratorIPKiEESD_NSA_IPiEEiN6hipcub16HIPCUB_304000_NS3MaxENSH_8EqualityEiEE10hipError_tPvRmT2_T3_T4_T5_mT6_T7_P12ihipStream_tbENKUlT_T0_E_clISt17integral_constantIbLb0EESZ_IbLb1EEEEDaSV_SW_EUlSV_E_NS1_11comp_targetILNS1_3genE5ELNS1_11target_archE942ELNS1_3gpuE9ELNS1_3repE0EEENS1_30default_config_static_selectorELNS0_4arch9wavefront6targetE0EEEvT1_.num_agpr, 0
	.set _ZN7rocprim17ROCPRIM_400000_NS6detail17trampoline_kernelINS0_14default_configENS1_27scan_by_key_config_selectorIiiEEZZNS1_16scan_by_key_implILNS1_25lookback_scan_determinismE0ELb0ES3_N6thrust23THRUST_200600_302600_NS16reverse_iteratorIPKiEESD_NSA_IPiEEiN6hipcub16HIPCUB_304000_NS3MaxENSH_8EqualityEiEE10hipError_tPvRmT2_T3_T4_T5_mT6_T7_P12ihipStream_tbENKUlT_T0_E_clISt17integral_constantIbLb0EESZ_IbLb1EEEEDaSV_SW_EUlSV_E_NS1_11comp_targetILNS1_3genE5ELNS1_11target_archE942ELNS1_3gpuE9ELNS1_3repE0EEENS1_30default_config_static_selectorELNS0_4arch9wavefront6targetE0EEEvT1_.numbered_sgpr, 0
	.set _ZN7rocprim17ROCPRIM_400000_NS6detail17trampoline_kernelINS0_14default_configENS1_27scan_by_key_config_selectorIiiEEZZNS1_16scan_by_key_implILNS1_25lookback_scan_determinismE0ELb0ES3_N6thrust23THRUST_200600_302600_NS16reverse_iteratorIPKiEESD_NSA_IPiEEiN6hipcub16HIPCUB_304000_NS3MaxENSH_8EqualityEiEE10hipError_tPvRmT2_T3_T4_T5_mT6_T7_P12ihipStream_tbENKUlT_T0_E_clISt17integral_constantIbLb0EESZ_IbLb1EEEEDaSV_SW_EUlSV_E_NS1_11comp_targetILNS1_3genE5ELNS1_11target_archE942ELNS1_3gpuE9ELNS1_3repE0EEENS1_30default_config_static_selectorELNS0_4arch9wavefront6targetE0EEEvT1_.num_named_barrier, 0
	.set _ZN7rocprim17ROCPRIM_400000_NS6detail17trampoline_kernelINS0_14default_configENS1_27scan_by_key_config_selectorIiiEEZZNS1_16scan_by_key_implILNS1_25lookback_scan_determinismE0ELb0ES3_N6thrust23THRUST_200600_302600_NS16reverse_iteratorIPKiEESD_NSA_IPiEEiN6hipcub16HIPCUB_304000_NS3MaxENSH_8EqualityEiEE10hipError_tPvRmT2_T3_T4_T5_mT6_T7_P12ihipStream_tbENKUlT_T0_E_clISt17integral_constantIbLb0EESZ_IbLb1EEEEDaSV_SW_EUlSV_E_NS1_11comp_targetILNS1_3genE5ELNS1_11target_archE942ELNS1_3gpuE9ELNS1_3repE0EEENS1_30default_config_static_selectorELNS0_4arch9wavefront6targetE0EEEvT1_.private_seg_size, 0
	.set _ZN7rocprim17ROCPRIM_400000_NS6detail17trampoline_kernelINS0_14default_configENS1_27scan_by_key_config_selectorIiiEEZZNS1_16scan_by_key_implILNS1_25lookback_scan_determinismE0ELb0ES3_N6thrust23THRUST_200600_302600_NS16reverse_iteratorIPKiEESD_NSA_IPiEEiN6hipcub16HIPCUB_304000_NS3MaxENSH_8EqualityEiEE10hipError_tPvRmT2_T3_T4_T5_mT6_T7_P12ihipStream_tbENKUlT_T0_E_clISt17integral_constantIbLb0EESZ_IbLb1EEEEDaSV_SW_EUlSV_E_NS1_11comp_targetILNS1_3genE5ELNS1_11target_archE942ELNS1_3gpuE9ELNS1_3repE0EEENS1_30default_config_static_selectorELNS0_4arch9wavefront6targetE0EEEvT1_.uses_vcc, 0
	.set _ZN7rocprim17ROCPRIM_400000_NS6detail17trampoline_kernelINS0_14default_configENS1_27scan_by_key_config_selectorIiiEEZZNS1_16scan_by_key_implILNS1_25lookback_scan_determinismE0ELb0ES3_N6thrust23THRUST_200600_302600_NS16reverse_iteratorIPKiEESD_NSA_IPiEEiN6hipcub16HIPCUB_304000_NS3MaxENSH_8EqualityEiEE10hipError_tPvRmT2_T3_T4_T5_mT6_T7_P12ihipStream_tbENKUlT_T0_E_clISt17integral_constantIbLb0EESZ_IbLb1EEEEDaSV_SW_EUlSV_E_NS1_11comp_targetILNS1_3genE5ELNS1_11target_archE942ELNS1_3gpuE9ELNS1_3repE0EEENS1_30default_config_static_selectorELNS0_4arch9wavefront6targetE0EEEvT1_.uses_flat_scratch, 0
	.set _ZN7rocprim17ROCPRIM_400000_NS6detail17trampoline_kernelINS0_14default_configENS1_27scan_by_key_config_selectorIiiEEZZNS1_16scan_by_key_implILNS1_25lookback_scan_determinismE0ELb0ES3_N6thrust23THRUST_200600_302600_NS16reverse_iteratorIPKiEESD_NSA_IPiEEiN6hipcub16HIPCUB_304000_NS3MaxENSH_8EqualityEiEE10hipError_tPvRmT2_T3_T4_T5_mT6_T7_P12ihipStream_tbENKUlT_T0_E_clISt17integral_constantIbLb0EESZ_IbLb1EEEEDaSV_SW_EUlSV_E_NS1_11comp_targetILNS1_3genE5ELNS1_11target_archE942ELNS1_3gpuE9ELNS1_3repE0EEENS1_30default_config_static_selectorELNS0_4arch9wavefront6targetE0EEEvT1_.has_dyn_sized_stack, 0
	.set _ZN7rocprim17ROCPRIM_400000_NS6detail17trampoline_kernelINS0_14default_configENS1_27scan_by_key_config_selectorIiiEEZZNS1_16scan_by_key_implILNS1_25lookback_scan_determinismE0ELb0ES3_N6thrust23THRUST_200600_302600_NS16reverse_iteratorIPKiEESD_NSA_IPiEEiN6hipcub16HIPCUB_304000_NS3MaxENSH_8EqualityEiEE10hipError_tPvRmT2_T3_T4_T5_mT6_T7_P12ihipStream_tbENKUlT_T0_E_clISt17integral_constantIbLb0EESZ_IbLb1EEEEDaSV_SW_EUlSV_E_NS1_11comp_targetILNS1_3genE5ELNS1_11target_archE942ELNS1_3gpuE9ELNS1_3repE0EEENS1_30default_config_static_selectorELNS0_4arch9wavefront6targetE0EEEvT1_.has_recursion, 0
	.set _ZN7rocprim17ROCPRIM_400000_NS6detail17trampoline_kernelINS0_14default_configENS1_27scan_by_key_config_selectorIiiEEZZNS1_16scan_by_key_implILNS1_25lookback_scan_determinismE0ELb0ES3_N6thrust23THRUST_200600_302600_NS16reverse_iteratorIPKiEESD_NSA_IPiEEiN6hipcub16HIPCUB_304000_NS3MaxENSH_8EqualityEiEE10hipError_tPvRmT2_T3_T4_T5_mT6_T7_P12ihipStream_tbENKUlT_T0_E_clISt17integral_constantIbLb0EESZ_IbLb1EEEEDaSV_SW_EUlSV_E_NS1_11comp_targetILNS1_3genE5ELNS1_11target_archE942ELNS1_3gpuE9ELNS1_3repE0EEENS1_30default_config_static_selectorELNS0_4arch9wavefront6targetE0EEEvT1_.has_indirect_call, 0
	.section	.AMDGPU.csdata,"",@progbits
; Kernel info:
; codeLenInByte = 0
; TotalNumSgprs: 0
; NumVgprs: 0
; ScratchSize: 0
; MemoryBound: 0
; FloatMode: 240
; IeeeMode: 1
; LDSByteSize: 0 bytes/workgroup (compile time only)
; SGPRBlocks: 0
; VGPRBlocks: 0
; NumSGPRsForWavesPerEU: 1
; NumVGPRsForWavesPerEU: 1
; NamedBarCnt: 0
; Occupancy: 16
; WaveLimiterHint : 0
; COMPUTE_PGM_RSRC2:SCRATCH_EN: 0
; COMPUTE_PGM_RSRC2:USER_SGPR: 2
; COMPUTE_PGM_RSRC2:TRAP_HANDLER: 0
; COMPUTE_PGM_RSRC2:TGID_X_EN: 1
; COMPUTE_PGM_RSRC2:TGID_Y_EN: 0
; COMPUTE_PGM_RSRC2:TGID_Z_EN: 0
; COMPUTE_PGM_RSRC2:TIDIG_COMP_CNT: 0
	.section	.text._ZN7rocprim17ROCPRIM_400000_NS6detail17trampoline_kernelINS0_14default_configENS1_27scan_by_key_config_selectorIiiEEZZNS1_16scan_by_key_implILNS1_25lookback_scan_determinismE0ELb0ES3_N6thrust23THRUST_200600_302600_NS16reverse_iteratorIPKiEESD_NSA_IPiEEiN6hipcub16HIPCUB_304000_NS3MaxENSH_8EqualityEiEE10hipError_tPvRmT2_T3_T4_T5_mT6_T7_P12ihipStream_tbENKUlT_T0_E_clISt17integral_constantIbLb0EESZ_IbLb1EEEEDaSV_SW_EUlSV_E_NS1_11comp_targetILNS1_3genE4ELNS1_11target_archE910ELNS1_3gpuE8ELNS1_3repE0EEENS1_30default_config_static_selectorELNS0_4arch9wavefront6targetE0EEEvT1_,"axG",@progbits,_ZN7rocprim17ROCPRIM_400000_NS6detail17trampoline_kernelINS0_14default_configENS1_27scan_by_key_config_selectorIiiEEZZNS1_16scan_by_key_implILNS1_25lookback_scan_determinismE0ELb0ES3_N6thrust23THRUST_200600_302600_NS16reverse_iteratorIPKiEESD_NSA_IPiEEiN6hipcub16HIPCUB_304000_NS3MaxENSH_8EqualityEiEE10hipError_tPvRmT2_T3_T4_T5_mT6_T7_P12ihipStream_tbENKUlT_T0_E_clISt17integral_constantIbLb0EESZ_IbLb1EEEEDaSV_SW_EUlSV_E_NS1_11comp_targetILNS1_3genE4ELNS1_11target_archE910ELNS1_3gpuE8ELNS1_3repE0EEENS1_30default_config_static_selectorELNS0_4arch9wavefront6targetE0EEEvT1_,comdat
	.protected	_ZN7rocprim17ROCPRIM_400000_NS6detail17trampoline_kernelINS0_14default_configENS1_27scan_by_key_config_selectorIiiEEZZNS1_16scan_by_key_implILNS1_25lookback_scan_determinismE0ELb0ES3_N6thrust23THRUST_200600_302600_NS16reverse_iteratorIPKiEESD_NSA_IPiEEiN6hipcub16HIPCUB_304000_NS3MaxENSH_8EqualityEiEE10hipError_tPvRmT2_T3_T4_T5_mT6_T7_P12ihipStream_tbENKUlT_T0_E_clISt17integral_constantIbLb0EESZ_IbLb1EEEEDaSV_SW_EUlSV_E_NS1_11comp_targetILNS1_3genE4ELNS1_11target_archE910ELNS1_3gpuE8ELNS1_3repE0EEENS1_30default_config_static_selectorELNS0_4arch9wavefront6targetE0EEEvT1_ ; -- Begin function _ZN7rocprim17ROCPRIM_400000_NS6detail17trampoline_kernelINS0_14default_configENS1_27scan_by_key_config_selectorIiiEEZZNS1_16scan_by_key_implILNS1_25lookback_scan_determinismE0ELb0ES3_N6thrust23THRUST_200600_302600_NS16reverse_iteratorIPKiEESD_NSA_IPiEEiN6hipcub16HIPCUB_304000_NS3MaxENSH_8EqualityEiEE10hipError_tPvRmT2_T3_T4_T5_mT6_T7_P12ihipStream_tbENKUlT_T0_E_clISt17integral_constantIbLb0EESZ_IbLb1EEEEDaSV_SW_EUlSV_E_NS1_11comp_targetILNS1_3genE4ELNS1_11target_archE910ELNS1_3gpuE8ELNS1_3repE0EEENS1_30default_config_static_selectorELNS0_4arch9wavefront6targetE0EEEvT1_
	.globl	_ZN7rocprim17ROCPRIM_400000_NS6detail17trampoline_kernelINS0_14default_configENS1_27scan_by_key_config_selectorIiiEEZZNS1_16scan_by_key_implILNS1_25lookback_scan_determinismE0ELb0ES3_N6thrust23THRUST_200600_302600_NS16reverse_iteratorIPKiEESD_NSA_IPiEEiN6hipcub16HIPCUB_304000_NS3MaxENSH_8EqualityEiEE10hipError_tPvRmT2_T3_T4_T5_mT6_T7_P12ihipStream_tbENKUlT_T0_E_clISt17integral_constantIbLb0EESZ_IbLb1EEEEDaSV_SW_EUlSV_E_NS1_11comp_targetILNS1_3genE4ELNS1_11target_archE910ELNS1_3gpuE8ELNS1_3repE0EEENS1_30default_config_static_selectorELNS0_4arch9wavefront6targetE0EEEvT1_
	.p2align	8
	.type	_ZN7rocprim17ROCPRIM_400000_NS6detail17trampoline_kernelINS0_14default_configENS1_27scan_by_key_config_selectorIiiEEZZNS1_16scan_by_key_implILNS1_25lookback_scan_determinismE0ELb0ES3_N6thrust23THRUST_200600_302600_NS16reverse_iteratorIPKiEESD_NSA_IPiEEiN6hipcub16HIPCUB_304000_NS3MaxENSH_8EqualityEiEE10hipError_tPvRmT2_T3_T4_T5_mT6_T7_P12ihipStream_tbENKUlT_T0_E_clISt17integral_constantIbLb0EESZ_IbLb1EEEEDaSV_SW_EUlSV_E_NS1_11comp_targetILNS1_3genE4ELNS1_11target_archE910ELNS1_3gpuE8ELNS1_3repE0EEENS1_30default_config_static_selectorELNS0_4arch9wavefront6targetE0EEEvT1_,@function
_ZN7rocprim17ROCPRIM_400000_NS6detail17trampoline_kernelINS0_14default_configENS1_27scan_by_key_config_selectorIiiEEZZNS1_16scan_by_key_implILNS1_25lookback_scan_determinismE0ELb0ES3_N6thrust23THRUST_200600_302600_NS16reverse_iteratorIPKiEESD_NSA_IPiEEiN6hipcub16HIPCUB_304000_NS3MaxENSH_8EqualityEiEE10hipError_tPvRmT2_T3_T4_T5_mT6_T7_P12ihipStream_tbENKUlT_T0_E_clISt17integral_constantIbLb0EESZ_IbLb1EEEEDaSV_SW_EUlSV_E_NS1_11comp_targetILNS1_3genE4ELNS1_11target_archE910ELNS1_3gpuE8ELNS1_3repE0EEENS1_30default_config_static_selectorELNS0_4arch9wavefront6targetE0EEEvT1_: ; @_ZN7rocprim17ROCPRIM_400000_NS6detail17trampoline_kernelINS0_14default_configENS1_27scan_by_key_config_selectorIiiEEZZNS1_16scan_by_key_implILNS1_25lookback_scan_determinismE0ELb0ES3_N6thrust23THRUST_200600_302600_NS16reverse_iteratorIPKiEESD_NSA_IPiEEiN6hipcub16HIPCUB_304000_NS3MaxENSH_8EqualityEiEE10hipError_tPvRmT2_T3_T4_T5_mT6_T7_P12ihipStream_tbENKUlT_T0_E_clISt17integral_constantIbLb0EESZ_IbLb1EEEEDaSV_SW_EUlSV_E_NS1_11comp_targetILNS1_3genE4ELNS1_11target_archE910ELNS1_3gpuE8ELNS1_3repE0EEENS1_30default_config_static_selectorELNS0_4arch9wavefront6targetE0EEEvT1_
; %bb.0:
	.section	.rodata,"a",@progbits
	.p2align	6, 0x0
	.amdhsa_kernel _ZN7rocprim17ROCPRIM_400000_NS6detail17trampoline_kernelINS0_14default_configENS1_27scan_by_key_config_selectorIiiEEZZNS1_16scan_by_key_implILNS1_25lookback_scan_determinismE0ELb0ES3_N6thrust23THRUST_200600_302600_NS16reverse_iteratorIPKiEESD_NSA_IPiEEiN6hipcub16HIPCUB_304000_NS3MaxENSH_8EqualityEiEE10hipError_tPvRmT2_T3_T4_T5_mT6_T7_P12ihipStream_tbENKUlT_T0_E_clISt17integral_constantIbLb0EESZ_IbLb1EEEEDaSV_SW_EUlSV_E_NS1_11comp_targetILNS1_3genE4ELNS1_11target_archE910ELNS1_3gpuE8ELNS1_3repE0EEENS1_30default_config_static_selectorELNS0_4arch9wavefront6targetE0EEEvT1_
		.amdhsa_group_segment_fixed_size 0
		.amdhsa_private_segment_fixed_size 0
		.amdhsa_kernarg_size 112
		.amdhsa_user_sgpr_count 2
		.amdhsa_user_sgpr_dispatch_ptr 0
		.amdhsa_user_sgpr_queue_ptr 0
		.amdhsa_user_sgpr_kernarg_segment_ptr 1
		.amdhsa_user_sgpr_dispatch_id 0
		.amdhsa_user_sgpr_kernarg_preload_length 0
		.amdhsa_user_sgpr_kernarg_preload_offset 0
		.amdhsa_user_sgpr_private_segment_size 0
		.amdhsa_wavefront_size32 1
		.amdhsa_uses_dynamic_stack 0
		.amdhsa_enable_private_segment 0
		.amdhsa_system_sgpr_workgroup_id_x 1
		.amdhsa_system_sgpr_workgroup_id_y 0
		.amdhsa_system_sgpr_workgroup_id_z 0
		.amdhsa_system_sgpr_workgroup_info 0
		.amdhsa_system_vgpr_workitem_id 0
		.amdhsa_next_free_vgpr 1
		.amdhsa_next_free_sgpr 1
		.amdhsa_named_barrier_count 0
		.amdhsa_reserve_vcc 0
		.amdhsa_float_round_mode_32 0
		.amdhsa_float_round_mode_16_64 0
		.amdhsa_float_denorm_mode_32 3
		.amdhsa_float_denorm_mode_16_64 3
		.amdhsa_fp16_overflow 0
		.amdhsa_memory_ordered 1
		.amdhsa_forward_progress 1
		.amdhsa_inst_pref_size 0
		.amdhsa_round_robin_scheduling 0
		.amdhsa_exception_fp_ieee_invalid_op 0
		.amdhsa_exception_fp_denorm_src 0
		.amdhsa_exception_fp_ieee_div_zero 0
		.amdhsa_exception_fp_ieee_overflow 0
		.amdhsa_exception_fp_ieee_underflow 0
		.amdhsa_exception_fp_ieee_inexact 0
		.amdhsa_exception_int_div_zero 0
	.end_amdhsa_kernel
	.section	.text._ZN7rocprim17ROCPRIM_400000_NS6detail17trampoline_kernelINS0_14default_configENS1_27scan_by_key_config_selectorIiiEEZZNS1_16scan_by_key_implILNS1_25lookback_scan_determinismE0ELb0ES3_N6thrust23THRUST_200600_302600_NS16reverse_iteratorIPKiEESD_NSA_IPiEEiN6hipcub16HIPCUB_304000_NS3MaxENSH_8EqualityEiEE10hipError_tPvRmT2_T3_T4_T5_mT6_T7_P12ihipStream_tbENKUlT_T0_E_clISt17integral_constantIbLb0EESZ_IbLb1EEEEDaSV_SW_EUlSV_E_NS1_11comp_targetILNS1_3genE4ELNS1_11target_archE910ELNS1_3gpuE8ELNS1_3repE0EEENS1_30default_config_static_selectorELNS0_4arch9wavefront6targetE0EEEvT1_,"axG",@progbits,_ZN7rocprim17ROCPRIM_400000_NS6detail17trampoline_kernelINS0_14default_configENS1_27scan_by_key_config_selectorIiiEEZZNS1_16scan_by_key_implILNS1_25lookback_scan_determinismE0ELb0ES3_N6thrust23THRUST_200600_302600_NS16reverse_iteratorIPKiEESD_NSA_IPiEEiN6hipcub16HIPCUB_304000_NS3MaxENSH_8EqualityEiEE10hipError_tPvRmT2_T3_T4_T5_mT6_T7_P12ihipStream_tbENKUlT_T0_E_clISt17integral_constantIbLb0EESZ_IbLb1EEEEDaSV_SW_EUlSV_E_NS1_11comp_targetILNS1_3genE4ELNS1_11target_archE910ELNS1_3gpuE8ELNS1_3repE0EEENS1_30default_config_static_selectorELNS0_4arch9wavefront6targetE0EEEvT1_,comdat
.Lfunc_end86:
	.size	_ZN7rocprim17ROCPRIM_400000_NS6detail17trampoline_kernelINS0_14default_configENS1_27scan_by_key_config_selectorIiiEEZZNS1_16scan_by_key_implILNS1_25lookback_scan_determinismE0ELb0ES3_N6thrust23THRUST_200600_302600_NS16reverse_iteratorIPKiEESD_NSA_IPiEEiN6hipcub16HIPCUB_304000_NS3MaxENSH_8EqualityEiEE10hipError_tPvRmT2_T3_T4_T5_mT6_T7_P12ihipStream_tbENKUlT_T0_E_clISt17integral_constantIbLb0EESZ_IbLb1EEEEDaSV_SW_EUlSV_E_NS1_11comp_targetILNS1_3genE4ELNS1_11target_archE910ELNS1_3gpuE8ELNS1_3repE0EEENS1_30default_config_static_selectorELNS0_4arch9wavefront6targetE0EEEvT1_, .Lfunc_end86-_ZN7rocprim17ROCPRIM_400000_NS6detail17trampoline_kernelINS0_14default_configENS1_27scan_by_key_config_selectorIiiEEZZNS1_16scan_by_key_implILNS1_25lookback_scan_determinismE0ELb0ES3_N6thrust23THRUST_200600_302600_NS16reverse_iteratorIPKiEESD_NSA_IPiEEiN6hipcub16HIPCUB_304000_NS3MaxENSH_8EqualityEiEE10hipError_tPvRmT2_T3_T4_T5_mT6_T7_P12ihipStream_tbENKUlT_T0_E_clISt17integral_constantIbLb0EESZ_IbLb1EEEEDaSV_SW_EUlSV_E_NS1_11comp_targetILNS1_3genE4ELNS1_11target_archE910ELNS1_3gpuE8ELNS1_3repE0EEENS1_30default_config_static_selectorELNS0_4arch9wavefront6targetE0EEEvT1_
                                        ; -- End function
	.set _ZN7rocprim17ROCPRIM_400000_NS6detail17trampoline_kernelINS0_14default_configENS1_27scan_by_key_config_selectorIiiEEZZNS1_16scan_by_key_implILNS1_25lookback_scan_determinismE0ELb0ES3_N6thrust23THRUST_200600_302600_NS16reverse_iteratorIPKiEESD_NSA_IPiEEiN6hipcub16HIPCUB_304000_NS3MaxENSH_8EqualityEiEE10hipError_tPvRmT2_T3_T4_T5_mT6_T7_P12ihipStream_tbENKUlT_T0_E_clISt17integral_constantIbLb0EESZ_IbLb1EEEEDaSV_SW_EUlSV_E_NS1_11comp_targetILNS1_3genE4ELNS1_11target_archE910ELNS1_3gpuE8ELNS1_3repE0EEENS1_30default_config_static_selectorELNS0_4arch9wavefront6targetE0EEEvT1_.num_vgpr, 0
	.set _ZN7rocprim17ROCPRIM_400000_NS6detail17trampoline_kernelINS0_14default_configENS1_27scan_by_key_config_selectorIiiEEZZNS1_16scan_by_key_implILNS1_25lookback_scan_determinismE0ELb0ES3_N6thrust23THRUST_200600_302600_NS16reverse_iteratorIPKiEESD_NSA_IPiEEiN6hipcub16HIPCUB_304000_NS3MaxENSH_8EqualityEiEE10hipError_tPvRmT2_T3_T4_T5_mT6_T7_P12ihipStream_tbENKUlT_T0_E_clISt17integral_constantIbLb0EESZ_IbLb1EEEEDaSV_SW_EUlSV_E_NS1_11comp_targetILNS1_3genE4ELNS1_11target_archE910ELNS1_3gpuE8ELNS1_3repE0EEENS1_30default_config_static_selectorELNS0_4arch9wavefront6targetE0EEEvT1_.num_agpr, 0
	.set _ZN7rocprim17ROCPRIM_400000_NS6detail17trampoline_kernelINS0_14default_configENS1_27scan_by_key_config_selectorIiiEEZZNS1_16scan_by_key_implILNS1_25lookback_scan_determinismE0ELb0ES3_N6thrust23THRUST_200600_302600_NS16reverse_iteratorIPKiEESD_NSA_IPiEEiN6hipcub16HIPCUB_304000_NS3MaxENSH_8EqualityEiEE10hipError_tPvRmT2_T3_T4_T5_mT6_T7_P12ihipStream_tbENKUlT_T0_E_clISt17integral_constantIbLb0EESZ_IbLb1EEEEDaSV_SW_EUlSV_E_NS1_11comp_targetILNS1_3genE4ELNS1_11target_archE910ELNS1_3gpuE8ELNS1_3repE0EEENS1_30default_config_static_selectorELNS0_4arch9wavefront6targetE0EEEvT1_.numbered_sgpr, 0
	.set _ZN7rocprim17ROCPRIM_400000_NS6detail17trampoline_kernelINS0_14default_configENS1_27scan_by_key_config_selectorIiiEEZZNS1_16scan_by_key_implILNS1_25lookback_scan_determinismE0ELb0ES3_N6thrust23THRUST_200600_302600_NS16reverse_iteratorIPKiEESD_NSA_IPiEEiN6hipcub16HIPCUB_304000_NS3MaxENSH_8EqualityEiEE10hipError_tPvRmT2_T3_T4_T5_mT6_T7_P12ihipStream_tbENKUlT_T0_E_clISt17integral_constantIbLb0EESZ_IbLb1EEEEDaSV_SW_EUlSV_E_NS1_11comp_targetILNS1_3genE4ELNS1_11target_archE910ELNS1_3gpuE8ELNS1_3repE0EEENS1_30default_config_static_selectorELNS0_4arch9wavefront6targetE0EEEvT1_.num_named_barrier, 0
	.set _ZN7rocprim17ROCPRIM_400000_NS6detail17trampoline_kernelINS0_14default_configENS1_27scan_by_key_config_selectorIiiEEZZNS1_16scan_by_key_implILNS1_25lookback_scan_determinismE0ELb0ES3_N6thrust23THRUST_200600_302600_NS16reverse_iteratorIPKiEESD_NSA_IPiEEiN6hipcub16HIPCUB_304000_NS3MaxENSH_8EqualityEiEE10hipError_tPvRmT2_T3_T4_T5_mT6_T7_P12ihipStream_tbENKUlT_T0_E_clISt17integral_constantIbLb0EESZ_IbLb1EEEEDaSV_SW_EUlSV_E_NS1_11comp_targetILNS1_3genE4ELNS1_11target_archE910ELNS1_3gpuE8ELNS1_3repE0EEENS1_30default_config_static_selectorELNS0_4arch9wavefront6targetE0EEEvT1_.private_seg_size, 0
	.set _ZN7rocprim17ROCPRIM_400000_NS6detail17trampoline_kernelINS0_14default_configENS1_27scan_by_key_config_selectorIiiEEZZNS1_16scan_by_key_implILNS1_25lookback_scan_determinismE0ELb0ES3_N6thrust23THRUST_200600_302600_NS16reverse_iteratorIPKiEESD_NSA_IPiEEiN6hipcub16HIPCUB_304000_NS3MaxENSH_8EqualityEiEE10hipError_tPvRmT2_T3_T4_T5_mT6_T7_P12ihipStream_tbENKUlT_T0_E_clISt17integral_constantIbLb0EESZ_IbLb1EEEEDaSV_SW_EUlSV_E_NS1_11comp_targetILNS1_3genE4ELNS1_11target_archE910ELNS1_3gpuE8ELNS1_3repE0EEENS1_30default_config_static_selectorELNS0_4arch9wavefront6targetE0EEEvT1_.uses_vcc, 0
	.set _ZN7rocprim17ROCPRIM_400000_NS6detail17trampoline_kernelINS0_14default_configENS1_27scan_by_key_config_selectorIiiEEZZNS1_16scan_by_key_implILNS1_25lookback_scan_determinismE0ELb0ES3_N6thrust23THRUST_200600_302600_NS16reverse_iteratorIPKiEESD_NSA_IPiEEiN6hipcub16HIPCUB_304000_NS3MaxENSH_8EqualityEiEE10hipError_tPvRmT2_T3_T4_T5_mT6_T7_P12ihipStream_tbENKUlT_T0_E_clISt17integral_constantIbLb0EESZ_IbLb1EEEEDaSV_SW_EUlSV_E_NS1_11comp_targetILNS1_3genE4ELNS1_11target_archE910ELNS1_3gpuE8ELNS1_3repE0EEENS1_30default_config_static_selectorELNS0_4arch9wavefront6targetE0EEEvT1_.uses_flat_scratch, 0
	.set _ZN7rocprim17ROCPRIM_400000_NS6detail17trampoline_kernelINS0_14default_configENS1_27scan_by_key_config_selectorIiiEEZZNS1_16scan_by_key_implILNS1_25lookback_scan_determinismE0ELb0ES3_N6thrust23THRUST_200600_302600_NS16reverse_iteratorIPKiEESD_NSA_IPiEEiN6hipcub16HIPCUB_304000_NS3MaxENSH_8EqualityEiEE10hipError_tPvRmT2_T3_T4_T5_mT6_T7_P12ihipStream_tbENKUlT_T0_E_clISt17integral_constantIbLb0EESZ_IbLb1EEEEDaSV_SW_EUlSV_E_NS1_11comp_targetILNS1_3genE4ELNS1_11target_archE910ELNS1_3gpuE8ELNS1_3repE0EEENS1_30default_config_static_selectorELNS0_4arch9wavefront6targetE0EEEvT1_.has_dyn_sized_stack, 0
	.set _ZN7rocprim17ROCPRIM_400000_NS6detail17trampoline_kernelINS0_14default_configENS1_27scan_by_key_config_selectorIiiEEZZNS1_16scan_by_key_implILNS1_25lookback_scan_determinismE0ELb0ES3_N6thrust23THRUST_200600_302600_NS16reverse_iteratorIPKiEESD_NSA_IPiEEiN6hipcub16HIPCUB_304000_NS3MaxENSH_8EqualityEiEE10hipError_tPvRmT2_T3_T4_T5_mT6_T7_P12ihipStream_tbENKUlT_T0_E_clISt17integral_constantIbLb0EESZ_IbLb1EEEEDaSV_SW_EUlSV_E_NS1_11comp_targetILNS1_3genE4ELNS1_11target_archE910ELNS1_3gpuE8ELNS1_3repE0EEENS1_30default_config_static_selectorELNS0_4arch9wavefront6targetE0EEEvT1_.has_recursion, 0
	.set _ZN7rocprim17ROCPRIM_400000_NS6detail17trampoline_kernelINS0_14default_configENS1_27scan_by_key_config_selectorIiiEEZZNS1_16scan_by_key_implILNS1_25lookback_scan_determinismE0ELb0ES3_N6thrust23THRUST_200600_302600_NS16reverse_iteratorIPKiEESD_NSA_IPiEEiN6hipcub16HIPCUB_304000_NS3MaxENSH_8EqualityEiEE10hipError_tPvRmT2_T3_T4_T5_mT6_T7_P12ihipStream_tbENKUlT_T0_E_clISt17integral_constantIbLb0EESZ_IbLb1EEEEDaSV_SW_EUlSV_E_NS1_11comp_targetILNS1_3genE4ELNS1_11target_archE910ELNS1_3gpuE8ELNS1_3repE0EEENS1_30default_config_static_selectorELNS0_4arch9wavefront6targetE0EEEvT1_.has_indirect_call, 0
	.section	.AMDGPU.csdata,"",@progbits
; Kernel info:
; codeLenInByte = 0
; TotalNumSgprs: 0
; NumVgprs: 0
; ScratchSize: 0
; MemoryBound: 0
; FloatMode: 240
; IeeeMode: 1
; LDSByteSize: 0 bytes/workgroup (compile time only)
; SGPRBlocks: 0
; VGPRBlocks: 0
; NumSGPRsForWavesPerEU: 1
; NumVGPRsForWavesPerEU: 1
; NamedBarCnt: 0
; Occupancy: 16
; WaveLimiterHint : 0
; COMPUTE_PGM_RSRC2:SCRATCH_EN: 0
; COMPUTE_PGM_RSRC2:USER_SGPR: 2
; COMPUTE_PGM_RSRC2:TRAP_HANDLER: 0
; COMPUTE_PGM_RSRC2:TGID_X_EN: 1
; COMPUTE_PGM_RSRC2:TGID_Y_EN: 0
; COMPUTE_PGM_RSRC2:TGID_Z_EN: 0
; COMPUTE_PGM_RSRC2:TIDIG_COMP_CNT: 0
	.section	.text._ZN7rocprim17ROCPRIM_400000_NS6detail17trampoline_kernelINS0_14default_configENS1_27scan_by_key_config_selectorIiiEEZZNS1_16scan_by_key_implILNS1_25lookback_scan_determinismE0ELb0ES3_N6thrust23THRUST_200600_302600_NS16reverse_iteratorIPKiEESD_NSA_IPiEEiN6hipcub16HIPCUB_304000_NS3MaxENSH_8EqualityEiEE10hipError_tPvRmT2_T3_T4_T5_mT6_T7_P12ihipStream_tbENKUlT_T0_E_clISt17integral_constantIbLb0EESZ_IbLb1EEEEDaSV_SW_EUlSV_E_NS1_11comp_targetILNS1_3genE3ELNS1_11target_archE908ELNS1_3gpuE7ELNS1_3repE0EEENS1_30default_config_static_selectorELNS0_4arch9wavefront6targetE0EEEvT1_,"axG",@progbits,_ZN7rocprim17ROCPRIM_400000_NS6detail17trampoline_kernelINS0_14default_configENS1_27scan_by_key_config_selectorIiiEEZZNS1_16scan_by_key_implILNS1_25lookback_scan_determinismE0ELb0ES3_N6thrust23THRUST_200600_302600_NS16reverse_iteratorIPKiEESD_NSA_IPiEEiN6hipcub16HIPCUB_304000_NS3MaxENSH_8EqualityEiEE10hipError_tPvRmT2_T3_T4_T5_mT6_T7_P12ihipStream_tbENKUlT_T0_E_clISt17integral_constantIbLb0EESZ_IbLb1EEEEDaSV_SW_EUlSV_E_NS1_11comp_targetILNS1_3genE3ELNS1_11target_archE908ELNS1_3gpuE7ELNS1_3repE0EEENS1_30default_config_static_selectorELNS0_4arch9wavefront6targetE0EEEvT1_,comdat
	.protected	_ZN7rocprim17ROCPRIM_400000_NS6detail17trampoline_kernelINS0_14default_configENS1_27scan_by_key_config_selectorIiiEEZZNS1_16scan_by_key_implILNS1_25lookback_scan_determinismE0ELb0ES3_N6thrust23THRUST_200600_302600_NS16reverse_iteratorIPKiEESD_NSA_IPiEEiN6hipcub16HIPCUB_304000_NS3MaxENSH_8EqualityEiEE10hipError_tPvRmT2_T3_T4_T5_mT6_T7_P12ihipStream_tbENKUlT_T0_E_clISt17integral_constantIbLb0EESZ_IbLb1EEEEDaSV_SW_EUlSV_E_NS1_11comp_targetILNS1_3genE3ELNS1_11target_archE908ELNS1_3gpuE7ELNS1_3repE0EEENS1_30default_config_static_selectorELNS0_4arch9wavefront6targetE0EEEvT1_ ; -- Begin function _ZN7rocprim17ROCPRIM_400000_NS6detail17trampoline_kernelINS0_14default_configENS1_27scan_by_key_config_selectorIiiEEZZNS1_16scan_by_key_implILNS1_25lookback_scan_determinismE0ELb0ES3_N6thrust23THRUST_200600_302600_NS16reverse_iteratorIPKiEESD_NSA_IPiEEiN6hipcub16HIPCUB_304000_NS3MaxENSH_8EqualityEiEE10hipError_tPvRmT2_T3_T4_T5_mT6_T7_P12ihipStream_tbENKUlT_T0_E_clISt17integral_constantIbLb0EESZ_IbLb1EEEEDaSV_SW_EUlSV_E_NS1_11comp_targetILNS1_3genE3ELNS1_11target_archE908ELNS1_3gpuE7ELNS1_3repE0EEENS1_30default_config_static_selectorELNS0_4arch9wavefront6targetE0EEEvT1_
	.globl	_ZN7rocprim17ROCPRIM_400000_NS6detail17trampoline_kernelINS0_14default_configENS1_27scan_by_key_config_selectorIiiEEZZNS1_16scan_by_key_implILNS1_25lookback_scan_determinismE0ELb0ES3_N6thrust23THRUST_200600_302600_NS16reverse_iteratorIPKiEESD_NSA_IPiEEiN6hipcub16HIPCUB_304000_NS3MaxENSH_8EqualityEiEE10hipError_tPvRmT2_T3_T4_T5_mT6_T7_P12ihipStream_tbENKUlT_T0_E_clISt17integral_constantIbLb0EESZ_IbLb1EEEEDaSV_SW_EUlSV_E_NS1_11comp_targetILNS1_3genE3ELNS1_11target_archE908ELNS1_3gpuE7ELNS1_3repE0EEENS1_30default_config_static_selectorELNS0_4arch9wavefront6targetE0EEEvT1_
	.p2align	8
	.type	_ZN7rocprim17ROCPRIM_400000_NS6detail17trampoline_kernelINS0_14default_configENS1_27scan_by_key_config_selectorIiiEEZZNS1_16scan_by_key_implILNS1_25lookback_scan_determinismE0ELb0ES3_N6thrust23THRUST_200600_302600_NS16reverse_iteratorIPKiEESD_NSA_IPiEEiN6hipcub16HIPCUB_304000_NS3MaxENSH_8EqualityEiEE10hipError_tPvRmT2_T3_T4_T5_mT6_T7_P12ihipStream_tbENKUlT_T0_E_clISt17integral_constantIbLb0EESZ_IbLb1EEEEDaSV_SW_EUlSV_E_NS1_11comp_targetILNS1_3genE3ELNS1_11target_archE908ELNS1_3gpuE7ELNS1_3repE0EEENS1_30default_config_static_selectorELNS0_4arch9wavefront6targetE0EEEvT1_,@function
_ZN7rocprim17ROCPRIM_400000_NS6detail17trampoline_kernelINS0_14default_configENS1_27scan_by_key_config_selectorIiiEEZZNS1_16scan_by_key_implILNS1_25lookback_scan_determinismE0ELb0ES3_N6thrust23THRUST_200600_302600_NS16reverse_iteratorIPKiEESD_NSA_IPiEEiN6hipcub16HIPCUB_304000_NS3MaxENSH_8EqualityEiEE10hipError_tPvRmT2_T3_T4_T5_mT6_T7_P12ihipStream_tbENKUlT_T0_E_clISt17integral_constantIbLb0EESZ_IbLb1EEEEDaSV_SW_EUlSV_E_NS1_11comp_targetILNS1_3genE3ELNS1_11target_archE908ELNS1_3gpuE7ELNS1_3repE0EEENS1_30default_config_static_selectorELNS0_4arch9wavefront6targetE0EEEvT1_: ; @_ZN7rocprim17ROCPRIM_400000_NS6detail17trampoline_kernelINS0_14default_configENS1_27scan_by_key_config_selectorIiiEEZZNS1_16scan_by_key_implILNS1_25lookback_scan_determinismE0ELb0ES3_N6thrust23THRUST_200600_302600_NS16reverse_iteratorIPKiEESD_NSA_IPiEEiN6hipcub16HIPCUB_304000_NS3MaxENSH_8EqualityEiEE10hipError_tPvRmT2_T3_T4_T5_mT6_T7_P12ihipStream_tbENKUlT_T0_E_clISt17integral_constantIbLb0EESZ_IbLb1EEEEDaSV_SW_EUlSV_E_NS1_11comp_targetILNS1_3genE3ELNS1_11target_archE908ELNS1_3gpuE7ELNS1_3repE0EEENS1_30default_config_static_selectorELNS0_4arch9wavefront6targetE0EEEvT1_
; %bb.0:
	.section	.rodata,"a",@progbits
	.p2align	6, 0x0
	.amdhsa_kernel _ZN7rocprim17ROCPRIM_400000_NS6detail17trampoline_kernelINS0_14default_configENS1_27scan_by_key_config_selectorIiiEEZZNS1_16scan_by_key_implILNS1_25lookback_scan_determinismE0ELb0ES3_N6thrust23THRUST_200600_302600_NS16reverse_iteratorIPKiEESD_NSA_IPiEEiN6hipcub16HIPCUB_304000_NS3MaxENSH_8EqualityEiEE10hipError_tPvRmT2_T3_T4_T5_mT6_T7_P12ihipStream_tbENKUlT_T0_E_clISt17integral_constantIbLb0EESZ_IbLb1EEEEDaSV_SW_EUlSV_E_NS1_11comp_targetILNS1_3genE3ELNS1_11target_archE908ELNS1_3gpuE7ELNS1_3repE0EEENS1_30default_config_static_selectorELNS0_4arch9wavefront6targetE0EEEvT1_
		.amdhsa_group_segment_fixed_size 0
		.amdhsa_private_segment_fixed_size 0
		.amdhsa_kernarg_size 112
		.amdhsa_user_sgpr_count 2
		.amdhsa_user_sgpr_dispatch_ptr 0
		.amdhsa_user_sgpr_queue_ptr 0
		.amdhsa_user_sgpr_kernarg_segment_ptr 1
		.amdhsa_user_sgpr_dispatch_id 0
		.amdhsa_user_sgpr_kernarg_preload_length 0
		.amdhsa_user_sgpr_kernarg_preload_offset 0
		.amdhsa_user_sgpr_private_segment_size 0
		.amdhsa_wavefront_size32 1
		.amdhsa_uses_dynamic_stack 0
		.amdhsa_enable_private_segment 0
		.amdhsa_system_sgpr_workgroup_id_x 1
		.amdhsa_system_sgpr_workgroup_id_y 0
		.amdhsa_system_sgpr_workgroup_id_z 0
		.amdhsa_system_sgpr_workgroup_info 0
		.amdhsa_system_vgpr_workitem_id 0
		.amdhsa_next_free_vgpr 1
		.amdhsa_next_free_sgpr 1
		.amdhsa_named_barrier_count 0
		.amdhsa_reserve_vcc 0
		.amdhsa_float_round_mode_32 0
		.amdhsa_float_round_mode_16_64 0
		.amdhsa_float_denorm_mode_32 3
		.amdhsa_float_denorm_mode_16_64 3
		.amdhsa_fp16_overflow 0
		.amdhsa_memory_ordered 1
		.amdhsa_forward_progress 1
		.amdhsa_inst_pref_size 0
		.amdhsa_round_robin_scheduling 0
		.amdhsa_exception_fp_ieee_invalid_op 0
		.amdhsa_exception_fp_denorm_src 0
		.amdhsa_exception_fp_ieee_div_zero 0
		.amdhsa_exception_fp_ieee_overflow 0
		.amdhsa_exception_fp_ieee_underflow 0
		.amdhsa_exception_fp_ieee_inexact 0
		.amdhsa_exception_int_div_zero 0
	.end_amdhsa_kernel
	.section	.text._ZN7rocprim17ROCPRIM_400000_NS6detail17trampoline_kernelINS0_14default_configENS1_27scan_by_key_config_selectorIiiEEZZNS1_16scan_by_key_implILNS1_25lookback_scan_determinismE0ELb0ES3_N6thrust23THRUST_200600_302600_NS16reverse_iteratorIPKiEESD_NSA_IPiEEiN6hipcub16HIPCUB_304000_NS3MaxENSH_8EqualityEiEE10hipError_tPvRmT2_T3_T4_T5_mT6_T7_P12ihipStream_tbENKUlT_T0_E_clISt17integral_constantIbLb0EESZ_IbLb1EEEEDaSV_SW_EUlSV_E_NS1_11comp_targetILNS1_3genE3ELNS1_11target_archE908ELNS1_3gpuE7ELNS1_3repE0EEENS1_30default_config_static_selectorELNS0_4arch9wavefront6targetE0EEEvT1_,"axG",@progbits,_ZN7rocprim17ROCPRIM_400000_NS6detail17trampoline_kernelINS0_14default_configENS1_27scan_by_key_config_selectorIiiEEZZNS1_16scan_by_key_implILNS1_25lookback_scan_determinismE0ELb0ES3_N6thrust23THRUST_200600_302600_NS16reverse_iteratorIPKiEESD_NSA_IPiEEiN6hipcub16HIPCUB_304000_NS3MaxENSH_8EqualityEiEE10hipError_tPvRmT2_T3_T4_T5_mT6_T7_P12ihipStream_tbENKUlT_T0_E_clISt17integral_constantIbLb0EESZ_IbLb1EEEEDaSV_SW_EUlSV_E_NS1_11comp_targetILNS1_3genE3ELNS1_11target_archE908ELNS1_3gpuE7ELNS1_3repE0EEENS1_30default_config_static_selectorELNS0_4arch9wavefront6targetE0EEEvT1_,comdat
.Lfunc_end87:
	.size	_ZN7rocprim17ROCPRIM_400000_NS6detail17trampoline_kernelINS0_14default_configENS1_27scan_by_key_config_selectorIiiEEZZNS1_16scan_by_key_implILNS1_25lookback_scan_determinismE0ELb0ES3_N6thrust23THRUST_200600_302600_NS16reverse_iteratorIPKiEESD_NSA_IPiEEiN6hipcub16HIPCUB_304000_NS3MaxENSH_8EqualityEiEE10hipError_tPvRmT2_T3_T4_T5_mT6_T7_P12ihipStream_tbENKUlT_T0_E_clISt17integral_constantIbLb0EESZ_IbLb1EEEEDaSV_SW_EUlSV_E_NS1_11comp_targetILNS1_3genE3ELNS1_11target_archE908ELNS1_3gpuE7ELNS1_3repE0EEENS1_30default_config_static_selectorELNS0_4arch9wavefront6targetE0EEEvT1_, .Lfunc_end87-_ZN7rocprim17ROCPRIM_400000_NS6detail17trampoline_kernelINS0_14default_configENS1_27scan_by_key_config_selectorIiiEEZZNS1_16scan_by_key_implILNS1_25lookback_scan_determinismE0ELb0ES3_N6thrust23THRUST_200600_302600_NS16reverse_iteratorIPKiEESD_NSA_IPiEEiN6hipcub16HIPCUB_304000_NS3MaxENSH_8EqualityEiEE10hipError_tPvRmT2_T3_T4_T5_mT6_T7_P12ihipStream_tbENKUlT_T0_E_clISt17integral_constantIbLb0EESZ_IbLb1EEEEDaSV_SW_EUlSV_E_NS1_11comp_targetILNS1_3genE3ELNS1_11target_archE908ELNS1_3gpuE7ELNS1_3repE0EEENS1_30default_config_static_selectorELNS0_4arch9wavefront6targetE0EEEvT1_
                                        ; -- End function
	.set _ZN7rocprim17ROCPRIM_400000_NS6detail17trampoline_kernelINS0_14default_configENS1_27scan_by_key_config_selectorIiiEEZZNS1_16scan_by_key_implILNS1_25lookback_scan_determinismE0ELb0ES3_N6thrust23THRUST_200600_302600_NS16reverse_iteratorIPKiEESD_NSA_IPiEEiN6hipcub16HIPCUB_304000_NS3MaxENSH_8EqualityEiEE10hipError_tPvRmT2_T3_T4_T5_mT6_T7_P12ihipStream_tbENKUlT_T0_E_clISt17integral_constantIbLb0EESZ_IbLb1EEEEDaSV_SW_EUlSV_E_NS1_11comp_targetILNS1_3genE3ELNS1_11target_archE908ELNS1_3gpuE7ELNS1_3repE0EEENS1_30default_config_static_selectorELNS0_4arch9wavefront6targetE0EEEvT1_.num_vgpr, 0
	.set _ZN7rocprim17ROCPRIM_400000_NS6detail17trampoline_kernelINS0_14default_configENS1_27scan_by_key_config_selectorIiiEEZZNS1_16scan_by_key_implILNS1_25lookback_scan_determinismE0ELb0ES3_N6thrust23THRUST_200600_302600_NS16reverse_iteratorIPKiEESD_NSA_IPiEEiN6hipcub16HIPCUB_304000_NS3MaxENSH_8EqualityEiEE10hipError_tPvRmT2_T3_T4_T5_mT6_T7_P12ihipStream_tbENKUlT_T0_E_clISt17integral_constantIbLb0EESZ_IbLb1EEEEDaSV_SW_EUlSV_E_NS1_11comp_targetILNS1_3genE3ELNS1_11target_archE908ELNS1_3gpuE7ELNS1_3repE0EEENS1_30default_config_static_selectorELNS0_4arch9wavefront6targetE0EEEvT1_.num_agpr, 0
	.set _ZN7rocprim17ROCPRIM_400000_NS6detail17trampoline_kernelINS0_14default_configENS1_27scan_by_key_config_selectorIiiEEZZNS1_16scan_by_key_implILNS1_25lookback_scan_determinismE0ELb0ES3_N6thrust23THRUST_200600_302600_NS16reverse_iteratorIPKiEESD_NSA_IPiEEiN6hipcub16HIPCUB_304000_NS3MaxENSH_8EqualityEiEE10hipError_tPvRmT2_T3_T4_T5_mT6_T7_P12ihipStream_tbENKUlT_T0_E_clISt17integral_constantIbLb0EESZ_IbLb1EEEEDaSV_SW_EUlSV_E_NS1_11comp_targetILNS1_3genE3ELNS1_11target_archE908ELNS1_3gpuE7ELNS1_3repE0EEENS1_30default_config_static_selectorELNS0_4arch9wavefront6targetE0EEEvT1_.numbered_sgpr, 0
	.set _ZN7rocprim17ROCPRIM_400000_NS6detail17trampoline_kernelINS0_14default_configENS1_27scan_by_key_config_selectorIiiEEZZNS1_16scan_by_key_implILNS1_25lookback_scan_determinismE0ELb0ES3_N6thrust23THRUST_200600_302600_NS16reverse_iteratorIPKiEESD_NSA_IPiEEiN6hipcub16HIPCUB_304000_NS3MaxENSH_8EqualityEiEE10hipError_tPvRmT2_T3_T4_T5_mT6_T7_P12ihipStream_tbENKUlT_T0_E_clISt17integral_constantIbLb0EESZ_IbLb1EEEEDaSV_SW_EUlSV_E_NS1_11comp_targetILNS1_3genE3ELNS1_11target_archE908ELNS1_3gpuE7ELNS1_3repE0EEENS1_30default_config_static_selectorELNS0_4arch9wavefront6targetE0EEEvT1_.num_named_barrier, 0
	.set _ZN7rocprim17ROCPRIM_400000_NS6detail17trampoline_kernelINS0_14default_configENS1_27scan_by_key_config_selectorIiiEEZZNS1_16scan_by_key_implILNS1_25lookback_scan_determinismE0ELb0ES3_N6thrust23THRUST_200600_302600_NS16reverse_iteratorIPKiEESD_NSA_IPiEEiN6hipcub16HIPCUB_304000_NS3MaxENSH_8EqualityEiEE10hipError_tPvRmT2_T3_T4_T5_mT6_T7_P12ihipStream_tbENKUlT_T0_E_clISt17integral_constantIbLb0EESZ_IbLb1EEEEDaSV_SW_EUlSV_E_NS1_11comp_targetILNS1_3genE3ELNS1_11target_archE908ELNS1_3gpuE7ELNS1_3repE0EEENS1_30default_config_static_selectorELNS0_4arch9wavefront6targetE0EEEvT1_.private_seg_size, 0
	.set _ZN7rocprim17ROCPRIM_400000_NS6detail17trampoline_kernelINS0_14default_configENS1_27scan_by_key_config_selectorIiiEEZZNS1_16scan_by_key_implILNS1_25lookback_scan_determinismE0ELb0ES3_N6thrust23THRUST_200600_302600_NS16reverse_iteratorIPKiEESD_NSA_IPiEEiN6hipcub16HIPCUB_304000_NS3MaxENSH_8EqualityEiEE10hipError_tPvRmT2_T3_T4_T5_mT6_T7_P12ihipStream_tbENKUlT_T0_E_clISt17integral_constantIbLb0EESZ_IbLb1EEEEDaSV_SW_EUlSV_E_NS1_11comp_targetILNS1_3genE3ELNS1_11target_archE908ELNS1_3gpuE7ELNS1_3repE0EEENS1_30default_config_static_selectorELNS0_4arch9wavefront6targetE0EEEvT1_.uses_vcc, 0
	.set _ZN7rocprim17ROCPRIM_400000_NS6detail17trampoline_kernelINS0_14default_configENS1_27scan_by_key_config_selectorIiiEEZZNS1_16scan_by_key_implILNS1_25lookback_scan_determinismE0ELb0ES3_N6thrust23THRUST_200600_302600_NS16reverse_iteratorIPKiEESD_NSA_IPiEEiN6hipcub16HIPCUB_304000_NS3MaxENSH_8EqualityEiEE10hipError_tPvRmT2_T3_T4_T5_mT6_T7_P12ihipStream_tbENKUlT_T0_E_clISt17integral_constantIbLb0EESZ_IbLb1EEEEDaSV_SW_EUlSV_E_NS1_11comp_targetILNS1_3genE3ELNS1_11target_archE908ELNS1_3gpuE7ELNS1_3repE0EEENS1_30default_config_static_selectorELNS0_4arch9wavefront6targetE0EEEvT1_.uses_flat_scratch, 0
	.set _ZN7rocprim17ROCPRIM_400000_NS6detail17trampoline_kernelINS0_14default_configENS1_27scan_by_key_config_selectorIiiEEZZNS1_16scan_by_key_implILNS1_25lookback_scan_determinismE0ELb0ES3_N6thrust23THRUST_200600_302600_NS16reverse_iteratorIPKiEESD_NSA_IPiEEiN6hipcub16HIPCUB_304000_NS3MaxENSH_8EqualityEiEE10hipError_tPvRmT2_T3_T4_T5_mT6_T7_P12ihipStream_tbENKUlT_T0_E_clISt17integral_constantIbLb0EESZ_IbLb1EEEEDaSV_SW_EUlSV_E_NS1_11comp_targetILNS1_3genE3ELNS1_11target_archE908ELNS1_3gpuE7ELNS1_3repE0EEENS1_30default_config_static_selectorELNS0_4arch9wavefront6targetE0EEEvT1_.has_dyn_sized_stack, 0
	.set _ZN7rocprim17ROCPRIM_400000_NS6detail17trampoline_kernelINS0_14default_configENS1_27scan_by_key_config_selectorIiiEEZZNS1_16scan_by_key_implILNS1_25lookback_scan_determinismE0ELb0ES3_N6thrust23THRUST_200600_302600_NS16reverse_iteratorIPKiEESD_NSA_IPiEEiN6hipcub16HIPCUB_304000_NS3MaxENSH_8EqualityEiEE10hipError_tPvRmT2_T3_T4_T5_mT6_T7_P12ihipStream_tbENKUlT_T0_E_clISt17integral_constantIbLb0EESZ_IbLb1EEEEDaSV_SW_EUlSV_E_NS1_11comp_targetILNS1_3genE3ELNS1_11target_archE908ELNS1_3gpuE7ELNS1_3repE0EEENS1_30default_config_static_selectorELNS0_4arch9wavefront6targetE0EEEvT1_.has_recursion, 0
	.set _ZN7rocprim17ROCPRIM_400000_NS6detail17trampoline_kernelINS0_14default_configENS1_27scan_by_key_config_selectorIiiEEZZNS1_16scan_by_key_implILNS1_25lookback_scan_determinismE0ELb0ES3_N6thrust23THRUST_200600_302600_NS16reverse_iteratorIPKiEESD_NSA_IPiEEiN6hipcub16HIPCUB_304000_NS3MaxENSH_8EqualityEiEE10hipError_tPvRmT2_T3_T4_T5_mT6_T7_P12ihipStream_tbENKUlT_T0_E_clISt17integral_constantIbLb0EESZ_IbLb1EEEEDaSV_SW_EUlSV_E_NS1_11comp_targetILNS1_3genE3ELNS1_11target_archE908ELNS1_3gpuE7ELNS1_3repE0EEENS1_30default_config_static_selectorELNS0_4arch9wavefront6targetE0EEEvT1_.has_indirect_call, 0
	.section	.AMDGPU.csdata,"",@progbits
; Kernel info:
; codeLenInByte = 0
; TotalNumSgprs: 0
; NumVgprs: 0
; ScratchSize: 0
; MemoryBound: 0
; FloatMode: 240
; IeeeMode: 1
; LDSByteSize: 0 bytes/workgroup (compile time only)
; SGPRBlocks: 0
; VGPRBlocks: 0
; NumSGPRsForWavesPerEU: 1
; NumVGPRsForWavesPerEU: 1
; NamedBarCnt: 0
; Occupancy: 16
; WaveLimiterHint : 0
; COMPUTE_PGM_RSRC2:SCRATCH_EN: 0
; COMPUTE_PGM_RSRC2:USER_SGPR: 2
; COMPUTE_PGM_RSRC2:TRAP_HANDLER: 0
; COMPUTE_PGM_RSRC2:TGID_X_EN: 1
; COMPUTE_PGM_RSRC2:TGID_Y_EN: 0
; COMPUTE_PGM_RSRC2:TGID_Z_EN: 0
; COMPUTE_PGM_RSRC2:TIDIG_COMP_CNT: 0
	.section	.text._ZN7rocprim17ROCPRIM_400000_NS6detail17trampoline_kernelINS0_14default_configENS1_27scan_by_key_config_selectorIiiEEZZNS1_16scan_by_key_implILNS1_25lookback_scan_determinismE0ELb0ES3_N6thrust23THRUST_200600_302600_NS16reverse_iteratorIPKiEESD_NSA_IPiEEiN6hipcub16HIPCUB_304000_NS3MaxENSH_8EqualityEiEE10hipError_tPvRmT2_T3_T4_T5_mT6_T7_P12ihipStream_tbENKUlT_T0_E_clISt17integral_constantIbLb0EESZ_IbLb1EEEEDaSV_SW_EUlSV_E_NS1_11comp_targetILNS1_3genE2ELNS1_11target_archE906ELNS1_3gpuE6ELNS1_3repE0EEENS1_30default_config_static_selectorELNS0_4arch9wavefront6targetE0EEEvT1_,"axG",@progbits,_ZN7rocprim17ROCPRIM_400000_NS6detail17trampoline_kernelINS0_14default_configENS1_27scan_by_key_config_selectorIiiEEZZNS1_16scan_by_key_implILNS1_25lookback_scan_determinismE0ELb0ES3_N6thrust23THRUST_200600_302600_NS16reverse_iteratorIPKiEESD_NSA_IPiEEiN6hipcub16HIPCUB_304000_NS3MaxENSH_8EqualityEiEE10hipError_tPvRmT2_T3_T4_T5_mT6_T7_P12ihipStream_tbENKUlT_T0_E_clISt17integral_constantIbLb0EESZ_IbLb1EEEEDaSV_SW_EUlSV_E_NS1_11comp_targetILNS1_3genE2ELNS1_11target_archE906ELNS1_3gpuE6ELNS1_3repE0EEENS1_30default_config_static_selectorELNS0_4arch9wavefront6targetE0EEEvT1_,comdat
	.protected	_ZN7rocprim17ROCPRIM_400000_NS6detail17trampoline_kernelINS0_14default_configENS1_27scan_by_key_config_selectorIiiEEZZNS1_16scan_by_key_implILNS1_25lookback_scan_determinismE0ELb0ES3_N6thrust23THRUST_200600_302600_NS16reverse_iteratorIPKiEESD_NSA_IPiEEiN6hipcub16HIPCUB_304000_NS3MaxENSH_8EqualityEiEE10hipError_tPvRmT2_T3_T4_T5_mT6_T7_P12ihipStream_tbENKUlT_T0_E_clISt17integral_constantIbLb0EESZ_IbLb1EEEEDaSV_SW_EUlSV_E_NS1_11comp_targetILNS1_3genE2ELNS1_11target_archE906ELNS1_3gpuE6ELNS1_3repE0EEENS1_30default_config_static_selectorELNS0_4arch9wavefront6targetE0EEEvT1_ ; -- Begin function _ZN7rocprim17ROCPRIM_400000_NS6detail17trampoline_kernelINS0_14default_configENS1_27scan_by_key_config_selectorIiiEEZZNS1_16scan_by_key_implILNS1_25lookback_scan_determinismE0ELb0ES3_N6thrust23THRUST_200600_302600_NS16reverse_iteratorIPKiEESD_NSA_IPiEEiN6hipcub16HIPCUB_304000_NS3MaxENSH_8EqualityEiEE10hipError_tPvRmT2_T3_T4_T5_mT6_T7_P12ihipStream_tbENKUlT_T0_E_clISt17integral_constantIbLb0EESZ_IbLb1EEEEDaSV_SW_EUlSV_E_NS1_11comp_targetILNS1_3genE2ELNS1_11target_archE906ELNS1_3gpuE6ELNS1_3repE0EEENS1_30default_config_static_selectorELNS0_4arch9wavefront6targetE0EEEvT1_
	.globl	_ZN7rocprim17ROCPRIM_400000_NS6detail17trampoline_kernelINS0_14default_configENS1_27scan_by_key_config_selectorIiiEEZZNS1_16scan_by_key_implILNS1_25lookback_scan_determinismE0ELb0ES3_N6thrust23THRUST_200600_302600_NS16reverse_iteratorIPKiEESD_NSA_IPiEEiN6hipcub16HIPCUB_304000_NS3MaxENSH_8EqualityEiEE10hipError_tPvRmT2_T3_T4_T5_mT6_T7_P12ihipStream_tbENKUlT_T0_E_clISt17integral_constantIbLb0EESZ_IbLb1EEEEDaSV_SW_EUlSV_E_NS1_11comp_targetILNS1_3genE2ELNS1_11target_archE906ELNS1_3gpuE6ELNS1_3repE0EEENS1_30default_config_static_selectorELNS0_4arch9wavefront6targetE0EEEvT1_
	.p2align	8
	.type	_ZN7rocprim17ROCPRIM_400000_NS6detail17trampoline_kernelINS0_14default_configENS1_27scan_by_key_config_selectorIiiEEZZNS1_16scan_by_key_implILNS1_25lookback_scan_determinismE0ELb0ES3_N6thrust23THRUST_200600_302600_NS16reverse_iteratorIPKiEESD_NSA_IPiEEiN6hipcub16HIPCUB_304000_NS3MaxENSH_8EqualityEiEE10hipError_tPvRmT2_T3_T4_T5_mT6_T7_P12ihipStream_tbENKUlT_T0_E_clISt17integral_constantIbLb0EESZ_IbLb1EEEEDaSV_SW_EUlSV_E_NS1_11comp_targetILNS1_3genE2ELNS1_11target_archE906ELNS1_3gpuE6ELNS1_3repE0EEENS1_30default_config_static_selectorELNS0_4arch9wavefront6targetE0EEEvT1_,@function
_ZN7rocprim17ROCPRIM_400000_NS6detail17trampoline_kernelINS0_14default_configENS1_27scan_by_key_config_selectorIiiEEZZNS1_16scan_by_key_implILNS1_25lookback_scan_determinismE0ELb0ES3_N6thrust23THRUST_200600_302600_NS16reverse_iteratorIPKiEESD_NSA_IPiEEiN6hipcub16HIPCUB_304000_NS3MaxENSH_8EqualityEiEE10hipError_tPvRmT2_T3_T4_T5_mT6_T7_P12ihipStream_tbENKUlT_T0_E_clISt17integral_constantIbLb0EESZ_IbLb1EEEEDaSV_SW_EUlSV_E_NS1_11comp_targetILNS1_3genE2ELNS1_11target_archE906ELNS1_3gpuE6ELNS1_3repE0EEENS1_30default_config_static_selectorELNS0_4arch9wavefront6targetE0EEEvT1_: ; @_ZN7rocprim17ROCPRIM_400000_NS6detail17trampoline_kernelINS0_14default_configENS1_27scan_by_key_config_selectorIiiEEZZNS1_16scan_by_key_implILNS1_25lookback_scan_determinismE0ELb0ES3_N6thrust23THRUST_200600_302600_NS16reverse_iteratorIPKiEESD_NSA_IPiEEiN6hipcub16HIPCUB_304000_NS3MaxENSH_8EqualityEiEE10hipError_tPvRmT2_T3_T4_T5_mT6_T7_P12ihipStream_tbENKUlT_T0_E_clISt17integral_constantIbLb0EESZ_IbLb1EEEEDaSV_SW_EUlSV_E_NS1_11comp_targetILNS1_3genE2ELNS1_11target_archE906ELNS1_3gpuE6ELNS1_3repE0EEENS1_30default_config_static_selectorELNS0_4arch9wavefront6targetE0EEEvT1_
; %bb.0:
	.section	.rodata,"a",@progbits
	.p2align	6, 0x0
	.amdhsa_kernel _ZN7rocprim17ROCPRIM_400000_NS6detail17trampoline_kernelINS0_14default_configENS1_27scan_by_key_config_selectorIiiEEZZNS1_16scan_by_key_implILNS1_25lookback_scan_determinismE0ELb0ES3_N6thrust23THRUST_200600_302600_NS16reverse_iteratorIPKiEESD_NSA_IPiEEiN6hipcub16HIPCUB_304000_NS3MaxENSH_8EqualityEiEE10hipError_tPvRmT2_T3_T4_T5_mT6_T7_P12ihipStream_tbENKUlT_T0_E_clISt17integral_constantIbLb0EESZ_IbLb1EEEEDaSV_SW_EUlSV_E_NS1_11comp_targetILNS1_3genE2ELNS1_11target_archE906ELNS1_3gpuE6ELNS1_3repE0EEENS1_30default_config_static_selectorELNS0_4arch9wavefront6targetE0EEEvT1_
		.amdhsa_group_segment_fixed_size 0
		.amdhsa_private_segment_fixed_size 0
		.amdhsa_kernarg_size 112
		.amdhsa_user_sgpr_count 2
		.amdhsa_user_sgpr_dispatch_ptr 0
		.amdhsa_user_sgpr_queue_ptr 0
		.amdhsa_user_sgpr_kernarg_segment_ptr 1
		.amdhsa_user_sgpr_dispatch_id 0
		.amdhsa_user_sgpr_kernarg_preload_length 0
		.amdhsa_user_sgpr_kernarg_preload_offset 0
		.amdhsa_user_sgpr_private_segment_size 0
		.amdhsa_wavefront_size32 1
		.amdhsa_uses_dynamic_stack 0
		.amdhsa_enable_private_segment 0
		.amdhsa_system_sgpr_workgroup_id_x 1
		.amdhsa_system_sgpr_workgroup_id_y 0
		.amdhsa_system_sgpr_workgroup_id_z 0
		.amdhsa_system_sgpr_workgroup_info 0
		.amdhsa_system_vgpr_workitem_id 0
		.amdhsa_next_free_vgpr 1
		.amdhsa_next_free_sgpr 1
		.amdhsa_named_barrier_count 0
		.amdhsa_reserve_vcc 0
		.amdhsa_float_round_mode_32 0
		.amdhsa_float_round_mode_16_64 0
		.amdhsa_float_denorm_mode_32 3
		.amdhsa_float_denorm_mode_16_64 3
		.amdhsa_fp16_overflow 0
		.amdhsa_memory_ordered 1
		.amdhsa_forward_progress 1
		.amdhsa_inst_pref_size 0
		.amdhsa_round_robin_scheduling 0
		.amdhsa_exception_fp_ieee_invalid_op 0
		.amdhsa_exception_fp_denorm_src 0
		.amdhsa_exception_fp_ieee_div_zero 0
		.amdhsa_exception_fp_ieee_overflow 0
		.amdhsa_exception_fp_ieee_underflow 0
		.amdhsa_exception_fp_ieee_inexact 0
		.amdhsa_exception_int_div_zero 0
	.end_amdhsa_kernel
	.section	.text._ZN7rocprim17ROCPRIM_400000_NS6detail17trampoline_kernelINS0_14default_configENS1_27scan_by_key_config_selectorIiiEEZZNS1_16scan_by_key_implILNS1_25lookback_scan_determinismE0ELb0ES3_N6thrust23THRUST_200600_302600_NS16reverse_iteratorIPKiEESD_NSA_IPiEEiN6hipcub16HIPCUB_304000_NS3MaxENSH_8EqualityEiEE10hipError_tPvRmT2_T3_T4_T5_mT6_T7_P12ihipStream_tbENKUlT_T0_E_clISt17integral_constantIbLb0EESZ_IbLb1EEEEDaSV_SW_EUlSV_E_NS1_11comp_targetILNS1_3genE2ELNS1_11target_archE906ELNS1_3gpuE6ELNS1_3repE0EEENS1_30default_config_static_selectorELNS0_4arch9wavefront6targetE0EEEvT1_,"axG",@progbits,_ZN7rocprim17ROCPRIM_400000_NS6detail17trampoline_kernelINS0_14default_configENS1_27scan_by_key_config_selectorIiiEEZZNS1_16scan_by_key_implILNS1_25lookback_scan_determinismE0ELb0ES3_N6thrust23THRUST_200600_302600_NS16reverse_iteratorIPKiEESD_NSA_IPiEEiN6hipcub16HIPCUB_304000_NS3MaxENSH_8EqualityEiEE10hipError_tPvRmT2_T3_T4_T5_mT6_T7_P12ihipStream_tbENKUlT_T0_E_clISt17integral_constantIbLb0EESZ_IbLb1EEEEDaSV_SW_EUlSV_E_NS1_11comp_targetILNS1_3genE2ELNS1_11target_archE906ELNS1_3gpuE6ELNS1_3repE0EEENS1_30default_config_static_selectorELNS0_4arch9wavefront6targetE0EEEvT1_,comdat
.Lfunc_end88:
	.size	_ZN7rocprim17ROCPRIM_400000_NS6detail17trampoline_kernelINS0_14default_configENS1_27scan_by_key_config_selectorIiiEEZZNS1_16scan_by_key_implILNS1_25lookback_scan_determinismE0ELb0ES3_N6thrust23THRUST_200600_302600_NS16reverse_iteratorIPKiEESD_NSA_IPiEEiN6hipcub16HIPCUB_304000_NS3MaxENSH_8EqualityEiEE10hipError_tPvRmT2_T3_T4_T5_mT6_T7_P12ihipStream_tbENKUlT_T0_E_clISt17integral_constantIbLb0EESZ_IbLb1EEEEDaSV_SW_EUlSV_E_NS1_11comp_targetILNS1_3genE2ELNS1_11target_archE906ELNS1_3gpuE6ELNS1_3repE0EEENS1_30default_config_static_selectorELNS0_4arch9wavefront6targetE0EEEvT1_, .Lfunc_end88-_ZN7rocprim17ROCPRIM_400000_NS6detail17trampoline_kernelINS0_14default_configENS1_27scan_by_key_config_selectorIiiEEZZNS1_16scan_by_key_implILNS1_25lookback_scan_determinismE0ELb0ES3_N6thrust23THRUST_200600_302600_NS16reverse_iteratorIPKiEESD_NSA_IPiEEiN6hipcub16HIPCUB_304000_NS3MaxENSH_8EqualityEiEE10hipError_tPvRmT2_T3_T4_T5_mT6_T7_P12ihipStream_tbENKUlT_T0_E_clISt17integral_constantIbLb0EESZ_IbLb1EEEEDaSV_SW_EUlSV_E_NS1_11comp_targetILNS1_3genE2ELNS1_11target_archE906ELNS1_3gpuE6ELNS1_3repE0EEENS1_30default_config_static_selectorELNS0_4arch9wavefront6targetE0EEEvT1_
                                        ; -- End function
	.set _ZN7rocprim17ROCPRIM_400000_NS6detail17trampoline_kernelINS0_14default_configENS1_27scan_by_key_config_selectorIiiEEZZNS1_16scan_by_key_implILNS1_25lookback_scan_determinismE0ELb0ES3_N6thrust23THRUST_200600_302600_NS16reverse_iteratorIPKiEESD_NSA_IPiEEiN6hipcub16HIPCUB_304000_NS3MaxENSH_8EqualityEiEE10hipError_tPvRmT2_T3_T4_T5_mT6_T7_P12ihipStream_tbENKUlT_T0_E_clISt17integral_constantIbLb0EESZ_IbLb1EEEEDaSV_SW_EUlSV_E_NS1_11comp_targetILNS1_3genE2ELNS1_11target_archE906ELNS1_3gpuE6ELNS1_3repE0EEENS1_30default_config_static_selectorELNS0_4arch9wavefront6targetE0EEEvT1_.num_vgpr, 0
	.set _ZN7rocprim17ROCPRIM_400000_NS6detail17trampoline_kernelINS0_14default_configENS1_27scan_by_key_config_selectorIiiEEZZNS1_16scan_by_key_implILNS1_25lookback_scan_determinismE0ELb0ES3_N6thrust23THRUST_200600_302600_NS16reverse_iteratorIPKiEESD_NSA_IPiEEiN6hipcub16HIPCUB_304000_NS3MaxENSH_8EqualityEiEE10hipError_tPvRmT2_T3_T4_T5_mT6_T7_P12ihipStream_tbENKUlT_T0_E_clISt17integral_constantIbLb0EESZ_IbLb1EEEEDaSV_SW_EUlSV_E_NS1_11comp_targetILNS1_3genE2ELNS1_11target_archE906ELNS1_3gpuE6ELNS1_3repE0EEENS1_30default_config_static_selectorELNS0_4arch9wavefront6targetE0EEEvT1_.num_agpr, 0
	.set _ZN7rocprim17ROCPRIM_400000_NS6detail17trampoline_kernelINS0_14default_configENS1_27scan_by_key_config_selectorIiiEEZZNS1_16scan_by_key_implILNS1_25lookback_scan_determinismE0ELb0ES3_N6thrust23THRUST_200600_302600_NS16reverse_iteratorIPKiEESD_NSA_IPiEEiN6hipcub16HIPCUB_304000_NS3MaxENSH_8EqualityEiEE10hipError_tPvRmT2_T3_T4_T5_mT6_T7_P12ihipStream_tbENKUlT_T0_E_clISt17integral_constantIbLb0EESZ_IbLb1EEEEDaSV_SW_EUlSV_E_NS1_11comp_targetILNS1_3genE2ELNS1_11target_archE906ELNS1_3gpuE6ELNS1_3repE0EEENS1_30default_config_static_selectorELNS0_4arch9wavefront6targetE0EEEvT1_.numbered_sgpr, 0
	.set _ZN7rocprim17ROCPRIM_400000_NS6detail17trampoline_kernelINS0_14default_configENS1_27scan_by_key_config_selectorIiiEEZZNS1_16scan_by_key_implILNS1_25lookback_scan_determinismE0ELb0ES3_N6thrust23THRUST_200600_302600_NS16reverse_iteratorIPKiEESD_NSA_IPiEEiN6hipcub16HIPCUB_304000_NS3MaxENSH_8EqualityEiEE10hipError_tPvRmT2_T3_T4_T5_mT6_T7_P12ihipStream_tbENKUlT_T0_E_clISt17integral_constantIbLb0EESZ_IbLb1EEEEDaSV_SW_EUlSV_E_NS1_11comp_targetILNS1_3genE2ELNS1_11target_archE906ELNS1_3gpuE6ELNS1_3repE0EEENS1_30default_config_static_selectorELNS0_4arch9wavefront6targetE0EEEvT1_.num_named_barrier, 0
	.set _ZN7rocprim17ROCPRIM_400000_NS6detail17trampoline_kernelINS0_14default_configENS1_27scan_by_key_config_selectorIiiEEZZNS1_16scan_by_key_implILNS1_25lookback_scan_determinismE0ELb0ES3_N6thrust23THRUST_200600_302600_NS16reverse_iteratorIPKiEESD_NSA_IPiEEiN6hipcub16HIPCUB_304000_NS3MaxENSH_8EqualityEiEE10hipError_tPvRmT2_T3_T4_T5_mT6_T7_P12ihipStream_tbENKUlT_T0_E_clISt17integral_constantIbLb0EESZ_IbLb1EEEEDaSV_SW_EUlSV_E_NS1_11comp_targetILNS1_3genE2ELNS1_11target_archE906ELNS1_3gpuE6ELNS1_3repE0EEENS1_30default_config_static_selectorELNS0_4arch9wavefront6targetE0EEEvT1_.private_seg_size, 0
	.set _ZN7rocprim17ROCPRIM_400000_NS6detail17trampoline_kernelINS0_14default_configENS1_27scan_by_key_config_selectorIiiEEZZNS1_16scan_by_key_implILNS1_25lookback_scan_determinismE0ELb0ES3_N6thrust23THRUST_200600_302600_NS16reverse_iteratorIPKiEESD_NSA_IPiEEiN6hipcub16HIPCUB_304000_NS3MaxENSH_8EqualityEiEE10hipError_tPvRmT2_T3_T4_T5_mT6_T7_P12ihipStream_tbENKUlT_T0_E_clISt17integral_constantIbLb0EESZ_IbLb1EEEEDaSV_SW_EUlSV_E_NS1_11comp_targetILNS1_3genE2ELNS1_11target_archE906ELNS1_3gpuE6ELNS1_3repE0EEENS1_30default_config_static_selectorELNS0_4arch9wavefront6targetE0EEEvT1_.uses_vcc, 0
	.set _ZN7rocprim17ROCPRIM_400000_NS6detail17trampoline_kernelINS0_14default_configENS1_27scan_by_key_config_selectorIiiEEZZNS1_16scan_by_key_implILNS1_25lookback_scan_determinismE0ELb0ES3_N6thrust23THRUST_200600_302600_NS16reverse_iteratorIPKiEESD_NSA_IPiEEiN6hipcub16HIPCUB_304000_NS3MaxENSH_8EqualityEiEE10hipError_tPvRmT2_T3_T4_T5_mT6_T7_P12ihipStream_tbENKUlT_T0_E_clISt17integral_constantIbLb0EESZ_IbLb1EEEEDaSV_SW_EUlSV_E_NS1_11comp_targetILNS1_3genE2ELNS1_11target_archE906ELNS1_3gpuE6ELNS1_3repE0EEENS1_30default_config_static_selectorELNS0_4arch9wavefront6targetE0EEEvT1_.uses_flat_scratch, 0
	.set _ZN7rocprim17ROCPRIM_400000_NS6detail17trampoline_kernelINS0_14default_configENS1_27scan_by_key_config_selectorIiiEEZZNS1_16scan_by_key_implILNS1_25lookback_scan_determinismE0ELb0ES3_N6thrust23THRUST_200600_302600_NS16reverse_iteratorIPKiEESD_NSA_IPiEEiN6hipcub16HIPCUB_304000_NS3MaxENSH_8EqualityEiEE10hipError_tPvRmT2_T3_T4_T5_mT6_T7_P12ihipStream_tbENKUlT_T0_E_clISt17integral_constantIbLb0EESZ_IbLb1EEEEDaSV_SW_EUlSV_E_NS1_11comp_targetILNS1_3genE2ELNS1_11target_archE906ELNS1_3gpuE6ELNS1_3repE0EEENS1_30default_config_static_selectorELNS0_4arch9wavefront6targetE0EEEvT1_.has_dyn_sized_stack, 0
	.set _ZN7rocprim17ROCPRIM_400000_NS6detail17trampoline_kernelINS0_14default_configENS1_27scan_by_key_config_selectorIiiEEZZNS1_16scan_by_key_implILNS1_25lookback_scan_determinismE0ELb0ES3_N6thrust23THRUST_200600_302600_NS16reverse_iteratorIPKiEESD_NSA_IPiEEiN6hipcub16HIPCUB_304000_NS3MaxENSH_8EqualityEiEE10hipError_tPvRmT2_T3_T4_T5_mT6_T7_P12ihipStream_tbENKUlT_T0_E_clISt17integral_constantIbLb0EESZ_IbLb1EEEEDaSV_SW_EUlSV_E_NS1_11comp_targetILNS1_3genE2ELNS1_11target_archE906ELNS1_3gpuE6ELNS1_3repE0EEENS1_30default_config_static_selectorELNS0_4arch9wavefront6targetE0EEEvT1_.has_recursion, 0
	.set _ZN7rocprim17ROCPRIM_400000_NS6detail17trampoline_kernelINS0_14default_configENS1_27scan_by_key_config_selectorIiiEEZZNS1_16scan_by_key_implILNS1_25lookback_scan_determinismE0ELb0ES3_N6thrust23THRUST_200600_302600_NS16reverse_iteratorIPKiEESD_NSA_IPiEEiN6hipcub16HIPCUB_304000_NS3MaxENSH_8EqualityEiEE10hipError_tPvRmT2_T3_T4_T5_mT6_T7_P12ihipStream_tbENKUlT_T0_E_clISt17integral_constantIbLb0EESZ_IbLb1EEEEDaSV_SW_EUlSV_E_NS1_11comp_targetILNS1_3genE2ELNS1_11target_archE906ELNS1_3gpuE6ELNS1_3repE0EEENS1_30default_config_static_selectorELNS0_4arch9wavefront6targetE0EEEvT1_.has_indirect_call, 0
	.section	.AMDGPU.csdata,"",@progbits
; Kernel info:
; codeLenInByte = 0
; TotalNumSgprs: 0
; NumVgprs: 0
; ScratchSize: 0
; MemoryBound: 0
; FloatMode: 240
; IeeeMode: 1
; LDSByteSize: 0 bytes/workgroup (compile time only)
; SGPRBlocks: 0
; VGPRBlocks: 0
; NumSGPRsForWavesPerEU: 1
; NumVGPRsForWavesPerEU: 1
; NamedBarCnt: 0
; Occupancy: 16
; WaveLimiterHint : 0
; COMPUTE_PGM_RSRC2:SCRATCH_EN: 0
; COMPUTE_PGM_RSRC2:USER_SGPR: 2
; COMPUTE_PGM_RSRC2:TRAP_HANDLER: 0
; COMPUTE_PGM_RSRC2:TGID_X_EN: 1
; COMPUTE_PGM_RSRC2:TGID_Y_EN: 0
; COMPUTE_PGM_RSRC2:TGID_Z_EN: 0
; COMPUTE_PGM_RSRC2:TIDIG_COMP_CNT: 0
	.section	.text._ZN7rocprim17ROCPRIM_400000_NS6detail17trampoline_kernelINS0_14default_configENS1_27scan_by_key_config_selectorIiiEEZZNS1_16scan_by_key_implILNS1_25lookback_scan_determinismE0ELb0ES3_N6thrust23THRUST_200600_302600_NS16reverse_iteratorIPKiEESD_NSA_IPiEEiN6hipcub16HIPCUB_304000_NS3MaxENSH_8EqualityEiEE10hipError_tPvRmT2_T3_T4_T5_mT6_T7_P12ihipStream_tbENKUlT_T0_E_clISt17integral_constantIbLb0EESZ_IbLb1EEEEDaSV_SW_EUlSV_E_NS1_11comp_targetILNS1_3genE10ELNS1_11target_archE1200ELNS1_3gpuE4ELNS1_3repE0EEENS1_30default_config_static_selectorELNS0_4arch9wavefront6targetE0EEEvT1_,"axG",@progbits,_ZN7rocprim17ROCPRIM_400000_NS6detail17trampoline_kernelINS0_14default_configENS1_27scan_by_key_config_selectorIiiEEZZNS1_16scan_by_key_implILNS1_25lookback_scan_determinismE0ELb0ES3_N6thrust23THRUST_200600_302600_NS16reverse_iteratorIPKiEESD_NSA_IPiEEiN6hipcub16HIPCUB_304000_NS3MaxENSH_8EqualityEiEE10hipError_tPvRmT2_T3_T4_T5_mT6_T7_P12ihipStream_tbENKUlT_T0_E_clISt17integral_constantIbLb0EESZ_IbLb1EEEEDaSV_SW_EUlSV_E_NS1_11comp_targetILNS1_3genE10ELNS1_11target_archE1200ELNS1_3gpuE4ELNS1_3repE0EEENS1_30default_config_static_selectorELNS0_4arch9wavefront6targetE0EEEvT1_,comdat
	.protected	_ZN7rocprim17ROCPRIM_400000_NS6detail17trampoline_kernelINS0_14default_configENS1_27scan_by_key_config_selectorIiiEEZZNS1_16scan_by_key_implILNS1_25lookback_scan_determinismE0ELb0ES3_N6thrust23THRUST_200600_302600_NS16reverse_iteratorIPKiEESD_NSA_IPiEEiN6hipcub16HIPCUB_304000_NS3MaxENSH_8EqualityEiEE10hipError_tPvRmT2_T3_T4_T5_mT6_T7_P12ihipStream_tbENKUlT_T0_E_clISt17integral_constantIbLb0EESZ_IbLb1EEEEDaSV_SW_EUlSV_E_NS1_11comp_targetILNS1_3genE10ELNS1_11target_archE1200ELNS1_3gpuE4ELNS1_3repE0EEENS1_30default_config_static_selectorELNS0_4arch9wavefront6targetE0EEEvT1_ ; -- Begin function _ZN7rocprim17ROCPRIM_400000_NS6detail17trampoline_kernelINS0_14default_configENS1_27scan_by_key_config_selectorIiiEEZZNS1_16scan_by_key_implILNS1_25lookback_scan_determinismE0ELb0ES3_N6thrust23THRUST_200600_302600_NS16reverse_iteratorIPKiEESD_NSA_IPiEEiN6hipcub16HIPCUB_304000_NS3MaxENSH_8EqualityEiEE10hipError_tPvRmT2_T3_T4_T5_mT6_T7_P12ihipStream_tbENKUlT_T0_E_clISt17integral_constantIbLb0EESZ_IbLb1EEEEDaSV_SW_EUlSV_E_NS1_11comp_targetILNS1_3genE10ELNS1_11target_archE1200ELNS1_3gpuE4ELNS1_3repE0EEENS1_30default_config_static_selectorELNS0_4arch9wavefront6targetE0EEEvT1_
	.globl	_ZN7rocprim17ROCPRIM_400000_NS6detail17trampoline_kernelINS0_14default_configENS1_27scan_by_key_config_selectorIiiEEZZNS1_16scan_by_key_implILNS1_25lookback_scan_determinismE0ELb0ES3_N6thrust23THRUST_200600_302600_NS16reverse_iteratorIPKiEESD_NSA_IPiEEiN6hipcub16HIPCUB_304000_NS3MaxENSH_8EqualityEiEE10hipError_tPvRmT2_T3_T4_T5_mT6_T7_P12ihipStream_tbENKUlT_T0_E_clISt17integral_constantIbLb0EESZ_IbLb1EEEEDaSV_SW_EUlSV_E_NS1_11comp_targetILNS1_3genE10ELNS1_11target_archE1200ELNS1_3gpuE4ELNS1_3repE0EEENS1_30default_config_static_selectorELNS0_4arch9wavefront6targetE0EEEvT1_
	.p2align	8
	.type	_ZN7rocprim17ROCPRIM_400000_NS6detail17trampoline_kernelINS0_14default_configENS1_27scan_by_key_config_selectorIiiEEZZNS1_16scan_by_key_implILNS1_25lookback_scan_determinismE0ELb0ES3_N6thrust23THRUST_200600_302600_NS16reverse_iteratorIPKiEESD_NSA_IPiEEiN6hipcub16HIPCUB_304000_NS3MaxENSH_8EqualityEiEE10hipError_tPvRmT2_T3_T4_T5_mT6_T7_P12ihipStream_tbENKUlT_T0_E_clISt17integral_constantIbLb0EESZ_IbLb1EEEEDaSV_SW_EUlSV_E_NS1_11comp_targetILNS1_3genE10ELNS1_11target_archE1200ELNS1_3gpuE4ELNS1_3repE0EEENS1_30default_config_static_selectorELNS0_4arch9wavefront6targetE0EEEvT1_,@function
_ZN7rocprim17ROCPRIM_400000_NS6detail17trampoline_kernelINS0_14default_configENS1_27scan_by_key_config_selectorIiiEEZZNS1_16scan_by_key_implILNS1_25lookback_scan_determinismE0ELb0ES3_N6thrust23THRUST_200600_302600_NS16reverse_iteratorIPKiEESD_NSA_IPiEEiN6hipcub16HIPCUB_304000_NS3MaxENSH_8EqualityEiEE10hipError_tPvRmT2_T3_T4_T5_mT6_T7_P12ihipStream_tbENKUlT_T0_E_clISt17integral_constantIbLb0EESZ_IbLb1EEEEDaSV_SW_EUlSV_E_NS1_11comp_targetILNS1_3genE10ELNS1_11target_archE1200ELNS1_3gpuE4ELNS1_3repE0EEENS1_30default_config_static_selectorELNS0_4arch9wavefront6targetE0EEEvT1_: ; @_ZN7rocprim17ROCPRIM_400000_NS6detail17trampoline_kernelINS0_14default_configENS1_27scan_by_key_config_selectorIiiEEZZNS1_16scan_by_key_implILNS1_25lookback_scan_determinismE0ELb0ES3_N6thrust23THRUST_200600_302600_NS16reverse_iteratorIPKiEESD_NSA_IPiEEiN6hipcub16HIPCUB_304000_NS3MaxENSH_8EqualityEiEE10hipError_tPvRmT2_T3_T4_T5_mT6_T7_P12ihipStream_tbENKUlT_T0_E_clISt17integral_constantIbLb0EESZ_IbLb1EEEEDaSV_SW_EUlSV_E_NS1_11comp_targetILNS1_3genE10ELNS1_11target_archE1200ELNS1_3gpuE4ELNS1_3repE0EEENS1_30default_config_static_selectorELNS0_4arch9wavefront6targetE0EEEvT1_
; %bb.0:
	.section	.rodata,"a",@progbits
	.p2align	6, 0x0
	.amdhsa_kernel _ZN7rocprim17ROCPRIM_400000_NS6detail17trampoline_kernelINS0_14default_configENS1_27scan_by_key_config_selectorIiiEEZZNS1_16scan_by_key_implILNS1_25lookback_scan_determinismE0ELb0ES3_N6thrust23THRUST_200600_302600_NS16reverse_iteratorIPKiEESD_NSA_IPiEEiN6hipcub16HIPCUB_304000_NS3MaxENSH_8EqualityEiEE10hipError_tPvRmT2_T3_T4_T5_mT6_T7_P12ihipStream_tbENKUlT_T0_E_clISt17integral_constantIbLb0EESZ_IbLb1EEEEDaSV_SW_EUlSV_E_NS1_11comp_targetILNS1_3genE10ELNS1_11target_archE1200ELNS1_3gpuE4ELNS1_3repE0EEENS1_30default_config_static_selectorELNS0_4arch9wavefront6targetE0EEEvT1_
		.amdhsa_group_segment_fixed_size 0
		.amdhsa_private_segment_fixed_size 0
		.amdhsa_kernarg_size 112
		.amdhsa_user_sgpr_count 2
		.amdhsa_user_sgpr_dispatch_ptr 0
		.amdhsa_user_sgpr_queue_ptr 0
		.amdhsa_user_sgpr_kernarg_segment_ptr 1
		.amdhsa_user_sgpr_dispatch_id 0
		.amdhsa_user_sgpr_kernarg_preload_length 0
		.amdhsa_user_sgpr_kernarg_preload_offset 0
		.amdhsa_user_sgpr_private_segment_size 0
		.amdhsa_wavefront_size32 1
		.amdhsa_uses_dynamic_stack 0
		.amdhsa_enable_private_segment 0
		.amdhsa_system_sgpr_workgroup_id_x 1
		.amdhsa_system_sgpr_workgroup_id_y 0
		.amdhsa_system_sgpr_workgroup_id_z 0
		.amdhsa_system_sgpr_workgroup_info 0
		.amdhsa_system_vgpr_workitem_id 0
		.amdhsa_next_free_vgpr 1
		.amdhsa_next_free_sgpr 1
		.amdhsa_named_barrier_count 0
		.amdhsa_reserve_vcc 0
		.amdhsa_float_round_mode_32 0
		.amdhsa_float_round_mode_16_64 0
		.amdhsa_float_denorm_mode_32 3
		.amdhsa_float_denorm_mode_16_64 3
		.amdhsa_fp16_overflow 0
		.amdhsa_memory_ordered 1
		.amdhsa_forward_progress 1
		.amdhsa_inst_pref_size 0
		.amdhsa_round_robin_scheduling 0
		.amdhsa_exception_fp_ieee_invalid_op 0
		.amdhsa_exception_fp_denorm_src 0
		.amdhsa_exception_fp_ieee_div_zero 0
		.amdhsa_exception_fp_ieee_overflow 0
		.amdhsa_exception_fp_ieee_underflow 0
		.amdhsa_exception_fp_ieee_inexact 0
		.amdhsa_exception_int_div_zero 0
	.end_amdhsa_kernel
	.section	.text._ZN7rocprim17ROCPRIM_400000_NS6detail17trampoline_kernelINS0_14default_configENS1_27scan_by_key_config_selectorIiiEEZZNS1_16scan_by_key_implILNS1_25lookback_scan_determinismE0ELb0ES3_N6thrust23THRUST_200600_302600_NS16reverse_iteratorIPKiEESD_NSA_IPiEEiN6hipcub16HIPCUB_304000_NS3MaxENSH_8EqualityEiEE10hipError_tPvRmT2_T3_T4_T5_mT6_T7_P12ihipStream_tbENKUlT_T0_E_clISt17integral_constantIbLb0EESZ_IbLb1EEEEDaSV_SW_EUlSV_E_NS1_11comp_targetILNS1_3genE10ELNS1_11target_archE1200ELNS1_3gpuE4ELNS1_3repE0EEENS1_30default_config_static_selectorELNS0_4arch9wavefront6targetE0EEEvT1_,"axG",@progbits,_ZN7rocprim17ROCPRIM_400000_NS6detail17trampoline_kernelINS0_14default_configENS1_27scan_by_key_config_selectorIiiEEZZNS1_16scan_by_key_implILNS1_25lookback_scan_determinismE0ELb0ES3_N6thrust23THRUST_200600_302600_NS16reverse_iteratorIPKiEESD_NSA_IPiEEiN6hipcub16HIPCUB_304000_NS3MaxENSH_8EqualityEiEE10hipError_tPvRmT2_T3_T4_T5_mT6_T7_P12ihipStream_tbENKUlT_T0_E_clISt17integral_constantIbLb0EESZ_IbLb1EEEEDaSV_SW_EUlSV_E_NS1_11comp_targetILNS1_3genE10ELNS1_11target_archE1200ELNS1_3gpuE4ELNS1_3repE0EEENS1_30default_config_static_selectorELNS0_4arch9wavefront6targetE0EEEvT1_,comdat
.Lfunc_end89:
	.size	_ZN7rocprim17ROCPRIM_400000_NS6detail17trampoline_kernelINS0_14default_configENS1_27scan_by_key_config_selectorIiiEEZZNS1_16scan_by_key_implILNS1_25lookback_scan_determinismE0ELb0ES3_N6thrust23THRUST_200600_302600_NS16reverse_iteratorIPKiEESD_NSA_IPiEEiN6hipcub16HIPCUB_304000_NS3MaxENSH_8EqualityEiEE10hipError_tPvRmT2_T3_T4_T5_mT6_T7_P12ihipStream_tbENKUlT_T0_E_clISt17integral_constantIbLb0EESZ_IbLb1EEEEDaSV_SW_EUlSV_E_NS1_11comp_targetILNS1_3genE10ELNS1_11target_archE1200ELNS1_3gpuE4ELNS1_3repE0EEENS1_30default_config_static_selectorELNS0_4arch9wavefront6targetE0EEEvT1_, .Lfunc_end89-_ZN7rocprim17ROCPRIM_400000_NS6detail17trampoline_kernelINS0_14default_configENS1_27scan_by_key_config_selectorIiiEEZZNS1_16scan_by_key_implILNS1_25lookback_scan_determinismE0ELb0ES3_N6thrust23THRUST_200600_302600_NS16reverse_iteratorIPKiEESD_NSA_IPiEEiN6hipcub16HIPCUB_304000_NS3MaxENSH_8EqualityEiEE10hipError_tPvRmT2_T3_T4_T5_mT6_T7_P12ihipStream_tbENKUlT_T0_E_clISt17integral_constantIbLb0EESZ_IbLb1EEEEDaSV_SW_EUlSV_E_NS1_11comp_targetILNS1_3genE10ELNS1_11target_archE1200ELNS1_3gpuE4ELNS1_3repE0EEENS1_30default_config_static_selectorELNS0_4arch9wavefront6targetE0EEEvT1_
                                        ; -- End function
	.set _ZN7rocprim17ROCPRIM_400000_NS6detail17trampoline_kernelINS0_14default_configENS1_27scan_by_key_config_selectorIiiEEZZNS1_16scan_by_key_implILNS1_25lookback_scan_determinismE0ELb0ES3_N6thrust23THRUST_200600_302600_NS16reverse_iteratorIPKiEESD_NSA_IPiEEiN6hipcub16HIPCUB_304000_NS3MaxENSH_8EqualityEiEE10hipError_tPvRmT2_T3_T4_T5_mT6_T7_P12ihipStream_tbENKUlT_T0_E_clISt17integral_constantIbLb0EESZ_IbLb1EEEEDaSV_SW_EUlSV_E_NS1_11comp_targetILNS1_3genE10ELNS1_11target_archE1200ELNS1_3gpuE4ELNS1_3repE0EEENS1_30default_config_static_selectorELNS0_4arch9wavefront6targetE0EEEvT1_.num_vgpr, 0
	.set _ZN7rocprim17ROCPRIM_400000_NS6detail17trampoline_kernelINS0_14default_configENS1_27scan_by_key_config_selectorIiiEEZZNS1_16scan_by_key_implILNS1_25lookback_scan_determinismE0ELb0ES3_N6thrust23THRUST_200600_302600_NS16reverse_iteratorIPKiEESD_NSA_IPiEEiN6hipcub16HIPCUB_304000_NS3MaxENSH_8EqualityEiEE10hipError_tPvRmT2_T3_T4_T5_mT6_T7_P12ihipStream_tbENKUlT_T0_E_clISt17integral_constantIbLb0EESZ_IbLb1EEEEDaSV_SW_EUlSV_E_NS1_11comp_targetILNS1_3genE10ELNS1_11target_archE1200ELNS1_3gpuE4ELNS1_3repE0EEENS1_30default_config_static_selectorELNS0_4arch9wavefront6targetE0EEEvT1_.num_agpr, 0
	.set _ZN7rocprim17ROCPRIM_400000_NS6detail17trampoline_kernelINS0_14default_configENS1_27scan_by_key_config_selectorIiiEEZZNS1_16scan_by_key_implILNS1_25lookback_scan_determinismE0ELb0ES3_N6thrust23THRUST_200600_302600_NS16reverse_iteratorIPKiEESD_NSA_IPiEEiN6hipcub16HIPCUB_304000_NS3MaxENSH_8EqualityEiEE10hipError_tPvRmT2_T3_T4_T5_mT6_T7_P12ihipStream_tbENKUlT_T0_E_clISt17integral_constantIbLb0EESZ_IbLb1EEEEDaSV_SW_EUlSV_E_NS1_11comp_targetILNS1_3genE10ELNS1_11target_archE1200ELNS1_3gpuE4ELNS1_3repE0EEENS1_30default_config_static_selectorELNS0_4arch9wavefront6targetE0EEEvT1_.numbered_sgpr, 0
	.set _ZN7rocprim17ROCPRIM_400000_NS6detail17trampoline_kernelINS0_14default_configENS1_27scan_by_key_config_selectorIiiEEZZNS1_16scan_by_key_implILNS1_25lookback_scan_determinismE0ELb0ES3_N6thrust23THRUST_200600_302600_NS16reverse_iteratorIPKiEESD_NSA_IPiEEiN6hipcub16HIPCUB_304000_NS3MaxENSH_8EqualityEiEE10hipError_tPvRmT2_T3_T4_T5_mT6_T7_P12ihipStream_tbENKUlT_T0_E_clISt17integral_constantIbLb0EESZ_IbLb1EEEEDaSV_SW_EUlSV_E_NS1_11comp_targetILNS1_3genE10ELNS1_11target_archE1200ELNS1_3gpuE4ELNS1_3repE0EEENS1_30default_config_static_selectorELNS0_4arch9wavefront6targetE0EEEvT1_.num_named_barrier, 0
	.set _ZN7rocprim17ROCPRIM_400000_NS6detail17trampoline_kernelINS0_14default_configENS1_27scan_by_key_config_selectorIiiEEZZNS1_16scan_by_key_implILNS1_25lookback_scan_determinismE0ELb0ES3_N6thrust23THRUST_200600_302600_NS16reverse_iteratorIPKiEESD_NSA_IPiEEiN6hipcub16HIPCUB_304000_NS3MaxENSH_8EqualityEiEE10hipError_tPvRmT2_T3_T4_T5_mT6_T7_P12ihipStream_tbENKUlT_T0_E_clISt17integral_constantIbLb0EESZ_IbLb1EEEEDaSV_SW_EUlSV_E_NS1_11comp_targetILNS1_3genE10ELNS1_11target_archE1200ELNS1_3gpuE4ELNS1_3repE0EEENS1_30default_config_static_selectorELNS0_4arch9wavefront6targetE0EEEvT1_.private_seg_size, 0
	.set _ZN7rocprim17ROCPRIM_400000_NS6detail17trampoline_kernelINS0_14default_configENS1_27scan_by_key_config_selectorIiiEEZZNS1_16scan_by_key_implILNS1_25lookback_scan_determinismE0ELb0ES3_N6thrust23THRUST_200600_302600_NS16reverse_iteratorIPKiEESD_NSA_IPiEEiN6hipcub16HIPCUB_304000_NS3MaxENSH_8EqualityEiEE10hipError_tPvRmT2_T3_T4_T5_mT6_T7_P12ihipStream_tbENKUlT_T0_E_clISt17integral_constantIbLb0EESZ_IbLb1EEEEDaSV_SW_EUlSV_E_NS1_11comp_targetILNS1_3genE10ELNS1_11target_archE1200ELNS1_3gpuE4ELNS1_3repE0EEENS1_30default_config_static_selectorELNS0_4arch9wavefront6targetE0EEEvT1_.uses_vcc, 0
	.set _ZN7rocprim17ROCPRIM_400000_NS6detail17trampoline_kernelINS0_14default_configENS1_27scan_by_key_config_selectorIiiEEZZNS1_16scan_by_key_implILNS1_25lookback_scan_determinismE0ELb0ES3_N6thrust23THRUST_200600_302600_NS16reverse_iteratorIPKiEESD_NSA_IPiEEiN6hipcub16HIPCUB_304000_NS3MaxENSH_8EqualityEiEE10hipError_tPvRmT2_T3_T4_T5_mT6_T7_P12ihipStream_tbENKUlT_T0_E_clISt17integral_constantIbLb0EESZ_IbLb1EEEEDaSV_SW_EUlSV_E_NS1_11comp_targetILNS1_3genE10ELNS1_11target_archE1200ELNS1_3gpuE4ELNS1_3repE0EEENS1_30default_config_static_selectorELNS0_4arch9wavefront6targetE0EEEvT1_.uses_flat_scratch, 0
	.set _ZN7rocprim17ROCPRIM_400000_NS6detail17trampoline_kernelINS0_14default_configENS1_27scan_by_key_config_selectorIiiEEZZNS1_16scan_by_key_implILNS1_25lookback_scan_determinismE0ELb0ES3_N6thrust23THRUST_200600_302600_NS16reverse_iteratorIPKiEESD_NSA_IPiEEiN6hipcub16HIPCUB_304000_NS3MaxENSH_8EqualityEiEE10hipError_tPvRmT2_T3_T4_T5_mT6_T7_P12ihipStream_tbENKUlT_T0_E_clISt17integral_constantIbLb0EESZ_IbLb1EEEEDaSV_SW_EUlSV_E_NS1_11comp_targetILNS1_3genE10ELNS1_11target_archE1200ELNS1_3gpuE4ELNS1_3repE0EEENS1_30default_config_static_selectorELNS0_4arch9wavefront6targetE0EEEvT1_.has_dyn_sized_stack, 0
	.set _ZN7rocprim17ROCPRIM_400000_NS6detail17trampoline_kernelINS0_14default_configENS1_27scan_by_key_config_selectorIiiEEZZNS1_16scan_by_key_implILNS1_25lookback_scan_determinismE0ELb0ES3_N6thrust23THRUST_200600_302600_NS16reverse_iteratorIPKiEESD_NSA_IPiEEiN6hipcub16HIPCUB_304000_NS3MaxENSH_8EqualityEiEE10hipError_tPvRmT2_T3_T4_T5_mT6_T7_P12ihipStream_tbENKUlT_T0_E_clISt17integral_constantIbLb0EESZ_IbLb1EEEEDaSV_SW_EUlSV_E_NS1_11comp_targetILNS1_3genE10ELNS1_11target_archE1200ELNS1_3gpuE4ELNS1_3repE0EEENS1_30default_config_static_selectorELNS0_4arch9wavefront6targetE0EEEvT1_.has_recursion, 0
	.set _ZN7rocprim17ROCPRIM_400000_NS6detail17trampoline_kernelINS0_14default_configENS1_27scan_by_key_config_selectorIiiEEZZNS1_16scan_by_key_implILNS1_25lookback_scan_determinismE0ELb0ES3_N6thrust23THRUST_200600_302600_NS16reverse_iteratorIPKiEESD_NSA_IPiEEiN6hipcub16HIPCUB_304000_NS3MaxENSH_8EqualityEiEE10hipError_tPvRmT2_T3_T4_T5_mT6_T7_P12ihipStream_tbENKUlT_T0_E_clISt17integral_constantIbLb0EESZ_IbLb1EEEEDaSV_SW_EUlSV_E_NS1_11comp_targetILNS1_3genE10ELNS1_11target_archE1200ELNS1_3gpuE4ELNS1_3repE0EEENS1_30default_config_static_selectorELNS0_4arch9wavefront6targetE0EEEvT1_.has_indirect_call, 0
	.section	.AMDGPU.csdata,"",@progbits
; Kernel info:
; codeLenInByte = 0
; TotalNumSgprs: 0
; NumVgprs: 0
; ScratchSize: 0
; MemoryBound: 0
; FloatMode: 240
; IeeeMode: 1
; LDSByteSize: 0 bytes/workgroup (compile time only)
; SGPRBlocks: 0
; VGPRBlocks: 0
; NumSGPRsForWavesPerEU: 1
; NumVGPRsForWavesPerEU: 1
; NamedBarCnt: 0
; Occupancy: 16
; WaveLimiterHint : 0
; COMPUTE_PGM_RSRC2:SCRATCH_EN: 0
; COMPUTE_PGM_RSRC2:USER_SGPR: 2
; COMPUTE_PGM_RSRC2:TRAP_HANDLER: 0
; COMPUTE_PGM_RSRC2:TGID_X_EN: 1
; COMPUTE_PGM_RSRC2:TGID_Y_EN: 0
; COMPUTE_PGM_RSRC2:TGID_Z_EN: 0
; COMPUTE_PGM_RSRC2:TIDIG_COMP_CNT: 0
	.section	.text._ZN7rocprim17ROCPRIM_400000_NS6detail17trampoline_kernelINS0_14default_configENS1_27scan_by_key_config_selectorIiiEEZZNS1_16scan_by_key_implILNS1_25lookback_scan_determinismE0ELb0ES3_N6thrust23THRUST_200600_302600_NS16reverse_iteratorIPKiEESD_NSA_IPiEEiN6hipcub16HIPCUB_304000_NS3MaxENSH_8EqualityEiEE10hipError_tPvRmT2_T3_T4_T5_mT6_T7_P12ihipStream_tbENKUlT_T0_E_clISt17integral_constantIbLb0EESZ_IbLb1EEEEDaSV_SW_EUlSV_E_NS1_11comp_targetILNS1_3genE9ELNS1_11target_archE1100ELNS1_3gpuE3ELNS1_3repE0EEENS1_30default_config_static_selectorELNS0_4arch9wavefront6targetE0EEEvT1_,"axG",@progbits,_ZN7rocprim17ROCPRIM_400000_NS6detail17trampoline_kernelINS0_14default_configENS1_27scan_by_key_config_selectorIiiEEZZNS1_16scan_by_key_implILNS1_25lookback_scan_determinismE0ELb0ES3_N6thrust23THRUST_200600_302600_NS16reverse_iteratorIPKiEESD_NSA_IPiEEiN6hipcub16HIPCUB_304000_NS3MaxENSH_8EqualityEiEE10hipError_tPvRmT2_T3_T4_T5_mT6_T7_P12ihipStream_tbENKUlT_T0_E_clISt17integral_constantIbLb0EESZ_IbLb1EEEEDaSV_SW_EUlSV_E_NS1_11comp_targetILNS1_3genE9ELNS1_11target_archE1100ELNS1_3gpuE3ELNS1_3repE0EEENS1_30default_config_static_selectorELNS0_4arch9wavefront6targetE0EEEvT1_,comdat
	.protected	_ZN7rocprim17ROCPRIM_400000_NS6detail17trampoline_kernelINS0_14default_configENS1_27scan_by_key_config_selectorIiiEEZZNS1_16scan_by_key_implILNS1_25lookback_scan_determinismE0ELb0ES3_N6thrust23THRUST_200600_302600_NS16reverse_iteratorIPKiEESD_NSA_IPiEEiN6hipcub16HIPCUB_304000_NS3MaxENSH_8EqualityEiEE10hipError_tPvRmT2_T3_T4_T5_mT6_T7_P12ihipStream_tbENKUlT_T0_E_clISt17integral_constantIbLb0EESZ_IbLb1EEEEDaSV_SW_EUlSV_E_NS1_11comp_targetILNS1_3genE9ELNS1_11target_archE1100ELNS1_3gpuE3ELNS1_3repE0EEENS1_30default_config_static_selectorELNS0_4arch9wavefront6targetE0EEEvT1_ ; -- Begin function _ZN7rocprim17ROCPRIM_400000_NS6detail17trampoline_kernelINS0_14default_configENS1_27scan_by_key_config_selectorIiiEEZZNS1_16scan_by_key_implILNS1_25lookback_scan_determinismE0ELb0ES3_N6thrust23THRUST_200600_302600_NS16reverse_iteratorIPKiEESD_NSA_IPiEEiN6hipcub16HIPCUB_304000_NS3MaxENSH_8EqualityEiEE10hipError_tPvRmT2_T3_T4_T5_mT6_T7_P12ihipStream_tbENKUlT_T0_E_clISt17integral_constantIbLb0EESZ_IbLb1EEEEDaSV_SW_EUlSV_E_NS1_11comp_targetILNS1_3genE9ELNS1_11target_archE1100ELNS1_3gpuE3ELNS1_3repE0EEENS1_30default_config_static_selectorELNS0_4arch9wavefront6targetE0EEEvT1_
	.globl	_ZN7rocprim17ROCPRIM_400000_NS6detail17trampoline_kernelINS0_14default_configENS1_27scan_by_key_config_selectorIiiEEZZNS1_16scan_by_key_implILNS1_25lookback_scan_determinismE0ELb0ES3_N6thrust23THRUST_200600_302600_NS16reverse_iteratorIPKiEESD_NSA_IPiEEiN6hipcub16HIPCUB_304000_NS3MaxENSH_8EqualityEiEE10hipError_tPvRmT2_T3_T4_T5_mT6_T7_P12ihipStream_tbENKUlT_T0_E_clISt17integral_constantIbLb0EESZ_IbLb1EEEEDaSV_SW_EUlSV_E_NS1_11comp_targetILNS1_3genE9ELNS1_11target_archE1100ELNS1_3gpuE3ELNS1_3repE0EEENS1_30default_config_static_selectorELNS0_4arch9wavefront6targetE0EEEvT1_
	.p2align	8
	.type	_ZN7rocprim17ROCPRIM_400000_NS6detail17trampoline_kernelINS0_14default_configENS1_27scan_by_key_config_selectorIiiEEZZNS1_16scan_by_key_implILNS1_25lookback_scan_determinismE0ELb0ES3_N6thrust23THRUST_200600_302600_NS16reverse_iteratorIPKiEESD_NSA_IPiEEiN6hipcub16HIPCUB_304000_NS3MaxENSH_8EqualityEiEE10hipError_tPvRmT2_T3_T4_T5_mT6_T7_P12ihipStream_tbENKUlT_T0_E_clISt17integral_constantIbLb0EESZ_IbLb1EEEEDaSV_SW_EUlSV_E_NS1_11comp_targetILNS1_3genE9ELNS1_11target_archE1100ELNS1_3gpuE3ELNS1_3repE0EEENS1_30default_config_static_selectorELNS0_4arch9wavefront6targetE0EEEvT1_,@function
_ZN7rocprim17ROCPRIM_400000_NS6detail17trampoline_kernelINS0_14default_configENS1_27scan_by_key_config_selectorIiiEEZZNS1_16scan_by_key_implILNS1_25lookback_scan_determinismE0ELb0ES3_N6thrust23THRUST_200600_302600_NS16reverse_iteratorIPKiEESD_NSA_IPiEEiN6hipcub16HIPCUB_304000_NS3MaxENSH_8EqualityEiEE10hipError_tPvRmT2_T3_T4_T5_mT6_T7_P12ihipStream_tbENKUlT_T0_E_clISt17integral_constantIbLb0EESZ_IbLb1EEEEDaSV_SW_EUlSV_E_NS1_11comp_targetILNS1_3genE9ELNS1_11target_archE1100ELNS1_3gpuE3ELNS1_3repE0EEENS1_30default_config_static_selectorELNS0_4arch9wavefront6targetE0EEEvT1_: ; @_ZN7rocprim17ROCPRIM_400000_NS6detail17trampoline_kernelINS0_14default_configENS1_27scan_by_key_config_selectorIiiEEZZNS1_16scan_by_key_implILNS1_25lookback_scan_determinismE0ELb0ES3_N6thrust23THRUST_200600_302600_NS16reverse_iteratorIPKiEESD_NSA_IPiEEiN6hipcub16HIPCUB_304000_NS3MaxENSH_8EqualityEiEE10hipError_tPvRmT2_T3_T4_T5_mT6_T7_P12ihipStream_tbENKUlT_T0_E_clISt17integral_constantIbLb0EESZ_IbLb1EEEEDaSV_SW_EUlSV_E_NS1_11comp_targetILNS1_3genE9ELNS1_11target_archE1100ELNS1_3gpuE3ELNS1_3repE0EEENS1_30default_config_static_selectorELNS0_4arch9wavefront6targetE0EEEvT1_
; %bb.0:
	.section	.rodata,"a",@progbits
	.p2align	6, 0x0
	.amdhsa_kernel _ZN7rocprim17ROCPRIM_400000_NS6detail17trampoline_kernelINS0_14default_configENS1_27scan_by_key_config_selectorIiiEEZZNS1_16scan_by_key_implILNS1_25lookback_scan_determinismE0ELb0ES3_N6thrust23THRUST_200600_302600_NS16reverse_iteratorIPKiEESD_NSA_IPiEEiN6hipcub16HIPCUB_304000_NS3MaxENSH_8EqualityEiEE10hipError_tPvRmT2_T3_T4_T5_mT6_T7_P12ihipStream_tbENKUlT_T0_E_clISt17integral_constantIbLb0EESZ_IbLb1EEEEDaSV_SW_EUlSV_E_NS1_11comp_targetILNS1_3genE9ELNS1_11target_archE1100ELNS1_3gpuE3ELNS1_3repE0EEENS1_30default_config_static_selectorELNS0_4arch9wavefront6targetE0EEEvT1_
		.amdhsa_group_segment_fixed_size 0
		.amdhsa_private_segment_fixed_size 0
		.amdhsa_kernarg_size 112
		.amdhsa_user_sgpr_count 2
		.amdhsa_user_sgpr_dispatch_ptr 0
		.amdhsa_user_sgpr_queue_ptr 0
		.amdhsa_user_sgpr_kernarg_segment_ptr 1
		.amdhsa_user_sgpr_dispatch_id 0
		.amdhsa_user_sgpr_kernarg_preload_length 0
		.amdhsa_user_sgpr_kernarg_preload_offset 0
		.amdhsa_user_sgpr_private_segment_size 0
		.amdhsa_wavefront_size32 1
		.amdhsa_uses_dynamic_stack 0
		.amdhsa_enable_private_segment 0
		.amdhsa_system_sgpr_workgroup_id_x 1
		.amdhsa_system_sgpr_workgroup_id_y 0
		.amdhsa_system_sgpr_workgroup_id_z 0
		.amdhsa_system_sgpr_workgroup_info 0
		.amdhsa_system_vgpr_workitem_id 0
		.amdhsa_next_free_vgpr 1
		.amdhsa_next_free_sgpr 1
		.amdhsa_named_barrier_count 0
		.amdhsa_reserve_vcc 0
		.amdhsa_float_round_mode_32 0
		.amdhsa_float_round_mode_16_64 0
		.amdhsa_float_denorm_mode_32 3
		.amdhsa_float_denorm_mode_16_64 3
		.amdhsa_fp16_overflow 0
		.amdhsa_memory_ordered 1
		.amdhsa_forward_progress 1
		.amdhsa_inst_pref_size 0
		.amdhsa_round_robin_scheduling 0
		.amdhsa_exception_fp_ieee_invalid_op 0
		.amdhsa_exception_fp_denorm_src 0
		.amdhsa_exception_fp_ieee_div_zero 0
		.amdhsa_exception_fp_ieee_overflow 0
		.amdhsa_exception_fp_ieee_underflow 0
		.amdhsa_exception_fp_ieee_inexact 0
		.amdhsa_exception_int_div_zero 0
	.end_amdhsa_kernel
	.section	.text._ZN7rocprim17ROCPRIM_400000_NS6detail17trampoline_kernelINS0_14default_configENS1_27scan_by_key_config_selectorIiiEEZZNS1_16scan_by_key_implILNS1_25lookback_scan_determinismE0ELb0ES3_N6thrust23THRUST_200600_302600_NS16reverse_iteratorIPKiEESD_NSA_IPiEEiN6hipcub16HIPCUB_304000_NS3MaxENSH_8EqualityEiEE10hipError_tPvRmT2_T3_T4_T5_mT6_T7_P12ihipStream_tbENKUlT_T0_E_clISt17integral_constantIbLb0EESZ_IbLb1EEEEDaSV_SW_EUlSV_E_NS1_11comp_targetILNS1_3genE9ELNS1_11target_archE1100ELNS1_3gpuE3ELNS1_3repE0EEENS1_30default_config_static_selectorELNS0_4arch9wavefront6targetE0EEEvT1_,"axG",@progbits,_ZN7rocprim17ROCPRIM_400000_NS6detail17trampoline_kernelINS0_14default_configENS1_27scan_by_key_config_selectorIiiEEZZNS1_16scan_by_key_implILNS1_25lookback_scan_determinismE0ELb0ES3_N6thrust23THRUST_200600_302600_NS16reverse_iteratorIPKiEESD_NSA_IPiEEiN6hipcub16HIPCUB_304000_NS3MaxENSH_8EqualityEiEE10hipError_tPvRmT2_T3_T4_T5_mT6_T7_P12ihipStream_tbENKUlT_T0_E_clISt17integral_constantIbLb0EESZ_IbLb1EEEEDaSV_SW_EUlSV_E_NS1_11comp_targetILNS1_3genE9ELNS1_11target_archE1100ELNS1_3gpuE3ELNS1_3repE0EEENS1_30default_config_static_selectorELNS0_4arch9wavefront6targetE0EEEvT1_,comdat
.Lfunc_end90:
	.size	_ZN7rocprim17ROCPRIM_400000_NS6detail17trampoline_kernelINS0_14default_configENS1_27scan_by_key_config_selectorIiiEEZZNS1_16scan_by_key_implILNS1_25lookback_scan_determinismE0ELb0ES3_N6thrust23THRUST_200600_302600_NS16reverse_iteratorIPKiEESD_NSA_IPiEEiN6hipcub16HIPCUB_304000_NS3MaxENSH_8EqualityEiEE10hipError_tPvRmT2_T3_T4_T5_mT6_T7_P12ihipStream_tbENKUlT_T0_E_clISt17integral_constantIbLb0EESZ_IbLb1EEEEDaSV_SW_EUlSV_E_NS1_11comp_targetILNS1_3genE9ELNS1_11target_archE1100ELNS1_3gpuE3ELNS1_3repE0EEENS1_30default_config_static_selectorELNS0_4arch9wavefront6targetE0EEEvT1_, .Lfunc_end90-_ZN7rocprim17ROCPRIM_400000_NS6detail17trampoline_kernelINS0_14default_configENS1_27scan_by_key_config_selectorIiiEEZZNS1_16scan_by_key_implILNS1_25lookback_scan_determinismE0ELb0ES3_N6thrust23THRUST_200600_302600_NS16reverse_iteratorIPKiEESD_NSA_IPiEEiN6hipcub16HIPCUB_304000_NS3MaxENSH_8EqualityEiEE10hipError_tPvRmT2_T3_T4_T5_mT6_T7_P12ihipStream_tbENKUlT_T0_E_clISt17integral_constantIbLb0EESZ_IbLb1EEEEDaSV_SW_EUlSV_E_NS1_11comp_targetILNS1_3genE9ELNS1_11target_archE1100ELNS1_3gpuE3ELNS1_3repE0EEENS1_30default_config_static_selectorELNS0_4arch9wavefront6targetE0EEEvT1_
                                        ; -- End function
	.set _ZN7rocprim17ROCPRIM_400000_NS6detail17trampoline_kernelINS0_14default_configENS1_27scan_by_key_config_selectorIiiEEZZNS1_16scan_by_key_implILNS1_25lookback_scan_determinismE0ELb0ES3_N6thrust23THRUST_200600_302600_NS16reverse_iteratorIPKiEESD_NSA_IPiEEiN6hipcub16HIPCUB_304000_NS3MaxENSH_8EqualityEiEE10hipError_tPvRmT2_T3_T4_T5_mT6_T7_P12ihipStream_tbENKUlT_T0_E_clISt17integral_constantIbLb0EESZ_IbLb1EEEEDaSV_SW_EUlSV_E_NS1_11comp_targetILNS1_3genE9ELNS1_11target_archE1100ELNS1_3gpuE3ELNS1_3repE0EEENS1_30default_config_static_selectorELNS0_4arch9wavefront6targetE0EEEvT1_.num_vgpr, 0
	.set _ZN7rocprim17ROCPRIM_400000_NS6detail17trampoline_kernelINS0_14default_configENS1_27scan_by_key_config_selectorIiiEEZZNS1_16scan_by_key_implILNS1_25lookback_scan_determinismE0ELb0ES3_N6thrust23THRUST_200600_302600_NS16reverse_iteratorIPKiEESD_NSA_IPiEEiN6hipcub16HIPCUB_304000_NS3MaxENSH_8EqualityEiEE10hipError_tPvRmT2_T3_T4_T5_mT6_T7_P12ihipStream_tbENKUlT_T0_E_clISt17integral_constantIbLb0EESZ_IbLb1EEEEDaSV_SW_EUlSV_E_NS1_11comp_targetILNS1_3genE9ELNS1_11target_archE1100ELNS1_3gpuE3ELNS1_3repE0EEENS1_30default_config_static_selectorELNS0_4arch9wavefront6targetE0EEEvT1_.num_agpr, 0
	.set _ZN7rocprim17ROCPRIM_400000_NS6detail17trampoline_kernelINS0_14default_configENS1_27scan_by_key_config_selectorIiiEEZZNS1_16scan_by_key_implILNS1_25lookback_scan_determinismE0ELb0ES3_N6thrust23THRUST_200600_302600_NS16reverse_iteratorIPKiEESD_NSA_IPiEEiN6hipcub16HIPCUB_304000_NS3MaxENSH_8EqualityEiEE10hipError_tPvRmT2_T3_T4_T5_mT6_T7_P12ihipStream_tbENKUlT_T0_E_clISt17integral_constantIbLb0EESZ_IbLb1EEEEDaSV_SW_EUlSV_E_NS1_11comp_targetILNS1_3genE9ELNS1_11target_archE1100ELNS1_3gpuE3ELNS1_3repE0EEENS1_30default_config_static_selectorELNS0_4arch9wavefront6targetE0EEEvT1_.numbered_sgpr, 0
	.set _ZN7rocprim17ROCPRIM_400000_NS6detail17trampoline_kernelINS0_14default_configENS1_27scan_by_key_config_selectorIiiEEZZNS1_16scan_by_key_implILNS1_25lookback_scan_determinismE0ELb0ES3_N6thrust23THRUST_200600_302600_NS16reverse_iteratorIPKiEESD_NSA_IPiEEiN6hipcub16HIPCUB_304000_NS3MaxENSH_8EqualityEiEE10hipError_tPvRmT2_T3_T4_T5_mT6_T7_P12ihipStream_tbENKUlT_T0_E_clISt17integral_constantIbLb0EESZ_IbLb1EEEEDaSV_SW_EUlSV_E_NS1_11comp_targetILNS1_3genE9ELNS1_11target_archE1100ELNS1_3gpuE3ELNS1_3repE0EEENS1_30default_config_static_selectorELNS0_4arch9wavefront6targetE0EEEvT1_.num_named_barrier, 0
	.set _ZN7rocprim17ROCPRIM_400000_NS6detail17trampoline_kernelINS0_14default_configENS1_27scan_by_key_config_selectorIiiEEZZNS1_16scan_by_key_implILNS1_25lookback_scan_determinismE0ELb0ES3_N6thrust23THRUST_200600_302600_NS16reverse_iteratorIPKiEESD_NSA_IPiEEiN6hipcub16HIPCUB_304000_NS3MaxENSH_8EqualityEiEE10hipError_tPvRmT2_T3_T4_T5_mT6_T7_P12ihipStream_tbENKUlT_T0_E_clISt17integral_constantIbLb0EESZ_IbLb1EEEEDaSV_SW_EUlSV_E_NS1_11comp_targetILNS1_3genE9ELNS1_11target_archE1100ELNS1_3gpuE3ELNS1_3repE0EEENS1_30default_config_static_selectorELNS0_4arch9wavefront6targetE0EEEvT1_.private_seg_size, 0
	.set _ZN7rocprim17ROCPRIM_400000_NS6detail17trampoline_kernelINS0_14default_configENS1_27scan_by_key_config_selectorIiiEEZZNS1_16scan_by_key_implILNS1_25lookback_scan_determinismE0ELb0ES3_N6thrust23THRUST_200600_302600_NS16reverse_iteratorIPKiEESD_NSA_IPiEEiN6hipcub16HIPCUB_304000_NS3MaxENSH_8EqualityEiEE10hipError_tPvRmT2_T3_T4_T5_mT6_T7_P12ihipStream_tbENKUlT_T0_E_clISt17integral_constantIbLb0EESZ_IbLb1EEEEDaSV_SW_EUlSV_E_NS1_11comp_targetILNS1_3genE9ELNS1_11target_archE1100ELNS1_3gpuE3ELNS1_3repE0EEENS1_30default_config_static_selectorELNS0_4arch9wavefront6targetE0EEEvT1_.uses_vcc, 0
	.set _ZN7rocprim17ROCPRIM_400000_NS6detail17trampoline_kernelINS0_14default_configENS1_27scan_by_key_config_selectorIiiEEZZNS1_16scan_by_key_implILNS1_25lookback_scan_determinismE0ELb0ES3_N6thrust23THRUST_200600_302600_NS16reverse_iteratorIPKiEESD_NSA_IPiEEiN6hipcub16HIPCUB_304000_NS3MaxENSH_8EqualityEiEE10hipError_tPvRmT2_T3_T4_T5_mT6_T7_P12ihipStream_tbENKUlT_T0_E_clISt17integral_constantIbLb0EESZ_IbLb1EEEEDaSV_SW_EUlSV_E_NS1_11comp_targetILNS1_3genE9ELNS1_11target_archE1100ELNS1_3gpuE3ELNS1_3repE0EEENS1_30default_config_static_selectorELNS0_4arch9wavefront6targetE0EEEvT1_.uses_flat_scratch, 0
	.set _ZN7rocprim17ROCPRIM_400000_NS6detail17trampoline_kernelINS0_14default_configENS1_27scan_by_key_config_selectorIiiEEZZNS1_16scan_by_key_implILNS1_25lookback_scan_determinismE0ELb0ES3_N6thrust23THRUST_200600_302600_NS16reverse_iteratorIPKiEESD_NSA_IPiEEiN6hipcub16HIPCUB_304000_NS3MaxENSH_8EqualityEiEE10hipError_tPvRmT2_T3_T4_T5_mT6_T7_P12ihipStream_tbENKUlT_T0_E_clISt17integral_constantIbLb0EESZ_IbLb1EEEEDaSV_SW_EUlSV_E_NS1_11comp_targetILNS1_3genE9ELNS1_11target_archE1100ELNS1_3gpuE3ELNS1_3repE0EEENS1_30default_config_static_selectorELNS0_4arch9wavefront6targetE0EEEvT1_.has_dyn_sized_stack, 0
	.set _ZN7rocprim17ROCPRIM_400000_NS6detail17trampoline_kernelINS0_14default_configENS1_27scan_by_key_config_selectorIiiEEZZNS1_16scan_by_key_implILNS1_25lookback_scan_determinismE0ELb0ES3_N6thrust23THRUST_200600_302600_NS16reverse_iteratorIPKiEESD_NSA_IPiEEiN6hipcub16HIPCUB_304000_NS3MaxENSH_8EqualityEiEE10hipError_tPvRmT2_T3_T4_T5_mT6_T7_P12ihipStream_tbENKUlT_T0_E_clISt17integral_constantIbLb0EESZ_IbLb1EEEEDaSV_SW_EUlSV_E_NS1_11comp_targetILNS1_3genE9ELNS1_11target_archE1100ELNS1_3gpuE3ELNS1_3repE0EEENS1_30default_config_static_selectorELNS0_4arch9wavefront6targetE0EEEvT1_.has_recursion, 0
	.set _ZN7rocprim17ROCPRIM_400000_NS6detail17trampoline_kernelINS0_14default_configENS1_27scan_by_key_config_selectorIiiEEZZNS1_16scan_by_key_implILNS1_25lookback_scan_determinismE0ELb0ES3_N6thrust23THRUST_200600_302600_NS16reverse_iteratorIPKiEESD_NSA_IPiEEiN6hipcub16HIPCUB_304000_NS3MaxENSH_8EqualityEiEE10hipError_tPvRmT2_T3_T4_T5_mT6_T7_P12ihipStream_tbENKUlT_T0_E_clISt17integral_constantIbLb0EESZ_IbLb1EEEEDaSV_SW_EUlSV_E_NS1_11comp_targetILNS1_3genE9ELNS1_11target_archE1100ELNS1_3gpuE3ELNS1_3repE0EEENS1_30default_config_static_selectorELNS0_4arch9wavefront6targetE0EEEvT1_.has_indirect_call, 0
	.section	.AMDGPU.csdata,"",@progbits
; Kernel info:
; codeLenInByte = 0
; TotalNumSgprs: 0
; NumVgprs: 0
; ScratchSize: 0
; MemoryBound: 0
; FloatMode: 240
; IeeeMode: 1
; LDSByteSize: 0 bytes/workgroup (compile time only)
; SGPRBlocks: 0
; VGPRBlocks: 0
; NumSGPRsForWavesPerEU: 1
; NumVGPRsForWavesPerEU: 1
; NamedBarCnt: 0
; Occupancy: 16
; WaveLimiterHint : 0
; COMPUTE_PGM_RSRC2:SCRATCH_EN: 0
; COMPUTE_PGM_RSRC2:USER_SGPR: 2
; COMPUTE_PGM_RSRC2:TRAP_HANDLER: 0
; COMPUTE_PGM_RSRC2:TGID_X_EN: 1
; COMPUTE_PGM_RSRC2:TGID_Y_EN: 0
; COMPUTE_PGM_RSRC2:TGID_Z_EN: 0
; COMPUTE_PGM_RSRC2:TIDIG_COMP_CNT: 0
	.section	.text._ZN7rocprim17ROCPRIM_400000_NS6detail17trampoline_kernelINS0_14default_configENS1_27scan_by_key_config_selectorIiiEEZZNS1_16scan_by_key_implILNS1_25lookback_scan_determinismE0ELb0ES3_N6thrust23THRUST_200600_302600_NS16reverse_iteratorIPKiEESD_NSA_IPiEEiN6hipcub16HIPCUB_304000_NS3MaxENSH_8EqualityEiEE10hipError_tPvRmT2_T3_T4_T5_mT6_T7_P12ihipStream_tbENKUlT_T0_E_clISt17integral_constantIbLb0EESZ_IbLb1EEEEDaSV_SW_EUlSV_E_NS1_11comp_targetILNS1_3genE8ELNS1_11target_archE1030ELNS1_3gpuE2ELNS1_3repE0EEENS1_30default_config_static_selectorELNS0_4arch9wavefront6targetE0EEEvT1_,"axG",@progbits,_ZN7rocprim17ROCPRIM_400000_NS6detail17trampoline_kernelINS0_14default_configENS1_27scan_by_key_config_selectorIiiEEZZNS1_16scan_by_key_implILNS1_25lookback_scan_determinismE0ELb0ES3_N6thrust23THRUST_200600_302600_NS16reverse_iteratorIPKiEESD_NSA_IPiEEiN6hipcub16HIPCUB_304000_NS3MaxENSH_8EqualityEiEE10hipError_tPvRmT2_T3_T4_T5_mT6_T7_P12ihipStream_tbENKUlT_T0_E_clISt17integral_constantIbLb0EESZ_IbLb1EEEEDaSV_SW_EUlSV_E_NS1_11comp_targetILNS1_3genE8ELNS1_11target_archE1030ELNS1_3gpuE2ELNS1_3repE0EEENS1_30default_config_static_selectorELNS0_4arch9wavefront6targetE0EEEvT1_,comdat
	.protected	_ZN7rocprim17ROCPRIM_400000_NS6detail17trampoline_kernelINS0_14default_configENS1_27scan_by_key_config_selectorIiiEEZZNS1_16scan_by_key_implILNS1_25lookback_scan_determinismE0ELb0ES3_N6thrust23THRUST_200600_302600_NS16reverse_iteratorIPKiEESD_NSA_IPiEEiN6hipcub16HIPCUB_304000_NS3MaxENSH_8EqualityEiEE10hipError_tPvRmT2_T3_T4_T5_mT6_T7_P12ihipStream_tbENKUlT_T0_E_clISt17integral_constantIbLb0EESZ_IbLb1EEEEDaSV_SW_EUlSV_E_NS1_11comp_targetILNS1_3genE8ELNS1_11target_archE1030ELNS1_3gpuE2ELNS1_3repE0EEENS1_30default_config_static_selectorELNS0_4arch9wavefront6targetE0EEEvT1_ ; -- Begin function _ZN7rocprim17ROCPRIM_400000_NS6detail17trampoline_kernelINS0_14default_configENS1_27scan_by_key_config_selectorIiiEEZZNS1_16scan_by_key_implILNS1_25lookback_scan_determinismE0ELb0ES3_N6thrust23THRUST_200600_302600_NS16reverse_iteratorIPKiEESD_NSA_IPiEEiN6hipcub16HIPCUB_304000_NS3MaxENSH_8EqualityEiEE10hipError_tPvRmT2_T3_T4_T5_mT6_T7_P12ihipStream_tbENKUlT_T0_E_clISt17integral_constantIbLb0EESZ_IbLb1EEEEDaSV_SW_EUlSV_E_NS1_11comp_targetILNS1_3genE8ELNS1_11target_archE1030ELNS1_3gpuE2ELNS1_3repE0EEENS1_30default_config_static_selectorELNS0_4arch9wavefront6targetE0EEEvT1_
	.globl	_ZN7rocprim17ROCPRIM_400000_NS6detail17trampoline_kernelINS0_14default_configENS1_27scan_by_key_config_selectorIiiEEZZNS1_16scan_by_key_implILNS1_25lookback_scan_determinismE0ELb0ES3_N6thrust23THRUST_200600_302600_NS16reverse_iteratorIPKiEESD_NSA_IPiEEiN6hipcub16HIPCUB_304000_NS3MaxENSH_8EqualityEiEE10hipError_tPvRmT2_T3_T4_T5_mT6_T7_P12ihipStream_tbENKUlT_T0_E_clISt17integral_constantIbLb0EESZ_IbLb1EEEEDaSV_SW_EUlSV_E_NS1_11comp_targetILNS1_3genE8ELNS1_11target_archE1030ELNS1_3gpuE2ELNS1_3repE0EEENS1_30default_config_static_selectorELNS0_4arch9wavefront6targetE0EEEvT1_
	.p2align	8
	.type	_ZN7rocprim17ROCPRIM_400000_NS6detail17trampoline_kernelINS0_14default_configENS1_27scan_by_key_config_selectorIiiEEZZNS1_16scan_by_key_implILNS1_25lookback_scan_determinismE0ELb0ES3_N6thrust23THRUST_200600_302600_NS16reverse_iteratorIPKiEESD_NSA_IPiEEiN6hipcub16HIPCUB_304000_NS3MaxENSH_8EqualityEiEE10hipError_tPvRmT2_T3_T4_T5_mT6_T7_P12ihipStream_tbENKUlT_T0_E_clISt17integral_constantIbLb0EESZ_IbLb1EEEEDaSV_SW_EUlSV_E_NS1_11comp_targetILNS1_3genE8ELNS1_11target_archE1030ELNS1_3gpuE2ELNS1_3repE0EEENS1_30default_config_static_selectorELNS0_4arch9wavefront6targetE0EEEvT1_,@function
_ZN7rocprim17ROCPRIM_400000_NS6detail17trampoline_kernelINS0_14default_configENS1_27scan_by_key_config_selectorIiiEEZZNS1_16scan_by_key_implILNS1_25lookback_scan_determinismE0ELb0ES3_N6thrust23THRUST_200600_302600_NS16reverse_iteratorIPKiEESD_NSA_IPiEEiN6hipcub16HIPCUB_304000_NS3MaxENSH_8EqualityEiEE10hipError_tPvRmT2_T3_T4_T5_mT6_T7_P12ihipStream_tbENKUlT_T0_E_clISt17integral_constantIbLb0EESZ_IbLb1EEEEDaSV_SW_EUlSV_E_NS1_11comp_targetILNS1_3genE8ELNS1_11target_archE1030ELNS1_3gpuE2ELNS1_3repE0EEENS1_30default_config_static_selectorELNS0_4arch9wavefront6targetE0EEEvT1_: ; @_ZN7rocprim17ROCPRIM_400000_NS6detail17trampoline_kernelINS0_14default_configENS1_27scan_by_key_config_selectorIiiEEZZNS1_16scan_by_key_implILNS1_25lookback_scan_determinismE0ELb0ES3_N6thrust23THRUST_200600_302600_NS16reverse_iteratorIPKiEESD_NSA_IPiEEiN6hipcub16HIPCUB_304000_NS3MaxENSH_8EqualityEiEE10hipError_tPvRmT2_T3_T4_T5_mT6_T7_P12ihipStream_tbENKUlT_T0_E_clISt17integral_constantIbLb0EESZ_IbLb1EEEEDaSV_SW_EUlSV_E_NS1_11comp_targetILNS1_3genE8ELNS1_11target_archE1030ELNS1_3gpuE2ELNS1_3repE0EEENS1_30default_config_static_selectorELNS0_4arch9wavefront6targetE0EEEvT1_
; %bb.0:
	.section	.rodata,"a",@progbits
	.p2align	6, 0x0
	.amdhsa_kernel _ZN7rocprim17ROCPRIM_400000_NS6detail17trampoline_kernelINS0_14default_configENS1_27scan_by_key_config_selectorIiiEEZZNS1_16scan_by_key_implILNS1_25lookback_scan_determinismE0ELb0ES3_N6thrust23THRUST_200600_302600_NS16reverse_iteratorIPKiEESD_NSA_IPiEEiN6hipcub16HIPCUB_304000_NS3MaxENSH_8EqualityEiEE10hipError_tPvRmT2_T3_T4_T5_mT6_T7_P12ihipStream_tbENKUlT_T0_E_clISt17integral_constantIbLb0EESZ_IbLb1EEEEDaSV_SW_EUlSV_E_NS1_11comp_targetILNS1_3genE8ELNS1_11target_archE1030ELNS1_3gpuE2ELNS1_3repE0EEENS1_30default_config_static_selectorELNS0_4arch9wavefront6targetE0EEEvT1_
		.amdhsa_group_segment_fixed_size 0
		.amdhsa_private_segment_fixed_size 0
		.amdhsa_kernarg_size 112
		.amdhsa_user_sgpr_count 2
		.amdhsa_user_sgpr_dispatch_ptr 0
		.amdhsa_user_sgpr_queue_ptr 0
		.amdhsa_user_sgpr_kernarg_segment_ptr 1
		.amdhsa_user_sgpr_dispatch_id 0
		.amdhsa_user_sgpr_kernarg_preload_length 0
		.amdhsa_user_sgpr_kernarg_preload_offset 0
		.amdhsa_user_sgpr_private_segment_size 0
		.amdhsa_wavefront_size32 1
		.amdhsa_uses_dynamic_stack 0
		.amdhsa_enable_private_segment 0
		.amdhsa_system_sgpr_workgroup_id_x 1
		.amdhsa_system_sgpr_workgroup_id_y 0
		.amdhsa_system_sgpr_workgroup_id_z 0
		.amdhsa_system_sgpr_workgroup_info 0
		.amdhsa_system_vgpr_workitem_id 0
		.amdhsa_next_free_vgpr 1
		.amdhsa_next_free_sgpr 1
		.amdhsa_named_barrier_count 0
		.amdhsa_reserve_vcc 0
		.amdhsa_float_round_mode_32 0
		.amdhsa_float_round_mode_16_64 0
		.amdhsa_float_denorm_mode_32 3
		.amdhsa_float_denorm_mode_16_64 3
		.amdhsa_fp16_overflow 0
		.amdhsa_memory_ordered 1
		.amdhsa_forward_progress 1
		.amdhsa_inst_pref_size 0
		.amdhsa_round_robin_scheduling 0
		.amdhsa_exception_fp_ieee_invalid_op 0
		.amdhsa_exception_fp_denorm_src 0
		.amdhsa_exception_fp_ieee_div_zero 0
		.amdhsa_exception_fp_ieee_overflow 0
		.amdhsa_exception_fp_ieee_underflow 0
		.amdhsa_exception_fp_ieee_inexact 0
		.amdhsa_exception_int_div_zero 0
	.end_amdhsa_kernel
	.section	.text._ZN7rocprim17ROCPRIM_400000_NS6detail17trampoline_kernelINS0_14default_configENS1_27scan_by_key_config_selectorIiiEEZZNS1_16scan_by_key_implILNS1_25lookback_scan_determinismE0ELb0ES3_N6thrust23THRUST_200600_302600_NS16reverse_iteratorIPKiEESD_NSA_IPiEEiN6hipcub16HIPCUB_304000_NS3MaxENSH_8EqualityEiEE10hipError_tPvRmT2_T3_T4_T5_mT6_T7_P12ihipStream_tbENKUlT_T0_E_clISt17integral_constantIbLb0EESZ_IbLb1EEEEDaSV_SW_EUlSV_E_NS1_11comp_targetILNS1_3genE8ELNS1_11target_archE1030ELNS1_3gpuE2ELNS1_3repE0EEENS1_30default_config_static_selectorELNS0_4arch9wavefront6targetE0EEEvT1_,"axG",@progbits,_ZN7rocprim17ROCPRIM_400000_NS6detail17trampoline_kernelINS0_14default_configENS1_27scan_by_key_config_selectorIiiEEZZNS1_16scan_by_key_implILNS1_25lookback_scan_determinismE0ELb0ES3_N6thrust23THRUST_200600_302600_NS16reverse_iteratorIPKiEESD_NSA_IPiEEiN6hipcub16HIPCUB_304000_NS3MaxENSH_8EqualityEiEE10hipError_tPvRmT2_T3_T4_T5_mT6_T7_P12ihipStream_tbENKUlT_T0_E_clISt17integral_constantIbLb0EESZ_IbLb1EEEEDaSV_SW_EUlSV_E_NS1_11comp_targetILNS1_3genE8ELNS1_11target_archE1030ELNS1_3gpuE2ELNS1_3repE0EEENS1_30default_config_static_selectorELNS0_4arch9wavefront6targetE0EEEvT1_,comdat
.Lfunc_end91:
	.size	_ZN7rocprim17ROCPRIM_400000_NS6detail17trampoline_kernelINS0_14default_configENS1_27scan_by_key_config_selectorIiiEEZZNS1_16scan_by_key_implILNS1_25lookback_scan_determinismE0ELb0ES3_N6thrust23THRUST_200600_302600_NS16reverse_iteratorIPKiEESD_NSA_IPiEEiN6hipcub16HIPCUB_304000_NS3MaxENSH_8EqualityEiEE10hipError_tPvRmT2_T3_T4_T5_mT6_T7_P12ihipStream_tbENKUlT_T0_E_clISt17integral_constantIbLb0EESZ_IbLb1EEEEDaSV_SW_EUlSV_E_NS1_11comp_targetILNS1_3genE8ELNS1_11target_archE1030ELNS1_3gpuE2ELNS1_3repE0EEENS1_30default_config_static_selectorELNS0_4arch9wavefront6targetE0EEEvT1_, .Lfunc_end91-_ZN7rocprim17ROCPRIM_400000_NS6detail17trampoline_kernelINS0_14default_configENS1_27scan_by_key_config_selectorIiiEEZZNS1_16scan_by_key_implILNS1_25lookback_scan_determinismE0ELb0ES3_N6thrust23THRUST_200600_302600_NS16reverse_iteratorIPKiEESD_NSA_IPiEEiN6hipcub16HIPCUB_304000_NS3MaxENSH_8EqualityEiEE10hipError_tPvRmT2_T3_T4_T5_mT6_T7_P12ihipStream_tbENKUlT_T0_E_clISt17integral_constantIbLb0EESZ_IbLb1EEEEDaSV_SW_EUlSV_E_NS1_11comp_targetILNS1_3genE8ELNS1_11target_archE1030ELNS1_3gpuE2ELNS1_3repE0EEENS1_30default_config_static_selectorELNS0_4arch9wavefront6targetE0EEEvT1_
                                        ; -- End function
	.set _ZN7rocprim17ROCPRIM_400000_NS6detail17trampoline_kernelINS0_14default_configENS1_27scan_by_key_config_selectorIiiEEZZNS1_16scan_by_key_implILNS1_25lookback_scan_determinismE0ELb0ES3_N6thrust23THRUST_200600_302600_NS16reverse_iteratorIPKiEESD_NSA_IPiEEiN6hipcub16HIPCUB_304000_NS3MaxENSH_8EqualityEiEE10hipError_tPvRmT2_T3_T4_T5_mT6_T7_P12ihipStream_tbENKUlT_T0_E_clISt17integral_constantIbLb0EESZ_IbLb1EEEEDaSV_SW_EUlSV_E_NS1_11comp_targetILNS1_3genE8ELNS1_11target_archE1030ELNS1_3gpuE2ELNS1_3repE0EEENS1_30default_config_static_selectorELNS0_4arch9wavefront6targetE0EEEvT1_.num_vgpr, 0
	.set _ZN7rocprim17ROCPRIM_400000_NS6detail17trampoline_kernelINS0_14default_configENS1_27scan_by_key_config_selectorIiiEEZZNS1_16scan_by_key_implILNS1_25lookback_scan_determinismE0ELb0ES3_N6thrust23THRUST_200600_302600_NS16reverse_iteratorIPKiEESD_NSA_IPiEEiN6hipcub16HIPCUB_304000_NS3MaxENSH_8EqualityEiEE10hipError_tPvRmT2_T3_T4_T5_mT6_T7_P12ihipStream_tbENKUlT_T0_E_clISt17integral_constantIbLb0EESZ_IbLb1EEEEDaSV_SW_EUlSV_E_NS1_11comp_targetILNS1_3genE8ELNS1_11target_archE1030ELNS1_3gpuE2ELNS1_3repE0EEENS1_30default_config_static_selectorELNS0_4arch9wavefront6targetE0EEEvT1_.num_agpr, 0
	.set _ZN7rocprim17ROCPRIM_400000_NS6detail17trampoline_kernelINS0_14default_configENS1_27scan_by_key_config_selectorIiiEEZZNS1_16scan_by_key_implILNS1_25lookback_scan_determinismE0ELb0ES3_N6thrust23THRUST_200600_302600_NS16reverse_iteratorIPKiEESD_NSA_IPiEEiN6hipcub16HIPCUB_304000_NS3MaxENSH_8EqualityEiEE10hipError_tPvRmT2_T3_T4_T5_mT6_T7_P12ihipStream_tbENKUlT_T0_E_clISt17integral_constantIbLb0EESZ_IbLb1EEEEDaSV_SW_EUlSV_E_NS1_11comp_targetILNS1_3genE8ELNS1_11target_archE1030ELNS1_3gpuE2ELNS1_3repE0EEENS1_30default_config_static_selectorELNS0_4arch9wavefront6targetE0EEEvT1_.numbered_sgpr, 0
	.set _ZN7rocprim17ROCPRIM_400000_NS6detail17trampoline_kernelINS0_14default_configENS1_27scan_by_key_config_selectorIiiEEZZNS1_16scan_by_key_implILNS1_25lookback_scan_determinismE0ELb0ES3_N6thrust23THRUST_200600_302600_NS16reverse_iteratorIPKiEESD_NSA_IPiEEiN6hipcub16HIPCUB_304000_NS3MaxENSH_8EqualityEiEE10hipError_tPvRmT2_T3_T4_T5_mT6_T7_P12ihipStream_tbENKUlT_T0_E_clISt17integral_constantIbLb0EESZ_IbLb1EEEEDaSV_SW_EUlSV_E_NS1_11comp_targetILNS1_3genE8ELNS1_11target_archE1030ELNS1_3gpuE2ELNS1_3repE0EEENS1_30default_config_static_selectorELNS0_4arch9wavefront6targetE0EEEvT1_.num_named_barrier, 0
	.set _ZN7rocprim17ROCPRIM_400000_NS6detail17trampoline_kernelINS0_14default_configENS1_27scan_by_key_config_selectorIiiEEZZNS1_16scan_by_key_implILNS1_25lookback_scan_determinismE0ELb0ES3_N6thrust23THRUST_200600_302600_NS16reverse_iteratorIPKiEESD_NSA_IPiEEiN6hipcub16HIPCUB_304000_NS3MaxENSH_8EqualityEiEE10hipError_tPvRmT2_T3_T4_T5_mT6_T7_P12ihipStream_tbENKUlT_T0_E_clISt17integral_constantIbLb0EESZ_IbLb1EEEEDaSV_SW_EUlSV_E_NS1_11comp_targetILNS1_3genE8ELNS1_11target_archE1030ELNS1_3gpuE2ELNS1_3repE0EEENS1_30default_config_static_selectorELNS0_4arch9wavefront6targetE0EEEvT1_.private_seg_size, 0
	.set _ZN7rocprim17ROCPRIM_400000_NS6detail17trampoline_kernelINS0_14default_configENS1_27scan_by_key_config_selectorIiiEEZZNS1_16scan_by_key_implILNS1_25lookback_scan_determinismE0ELb0ES3_N6thrust23THRUST_200600_302600_NS16reverse_iteratorIPKiEESD_NSA_IPiEEiN6hipcub16HIPCUB_304000_NS3MaxENSH_8EqualityEiEE10hipError_tPvRmT2_T3_T4_T5_mT6_T7_P12ihipStream_tbENKUlT_T0_E_clISt17integral_constantIbLb0EESZ_IbLb1EEEEDaSV_SW_EUlSV_E_NS1_11comp_targetILNS1_3genE8ELNS1_11target_archE1030ELNS1_3gpuE2ELNS1_3repE0EEENS1_30default_config_static_selectorELNS0_4arch9wavefront6targetE0EEEvT1_.uses_vcc, 0
	.set _ZN7rocprim17ROCPRIM_400000_NS6detail17trampoline_kernelINS0_14default_configENS1_27scan_by_key_config_selectorIiiEEZZNS1_16scan_by_key_implILNS1_25lookback_scan_determinismE0ELb0ES3_N6thrust23THRUST_200600_302600_NS16reverse_iteratorIPKiEESD_NSA_IPiEEiN6hipcub16HIPCUB_304000_NS3MaxENSH_8EqualityEiEE10hipError_tPvRmT2_T3_T4_T5_mT6_T7_P12ihipStream_tbENKUlT_T0_E_clISt17integral_constantIbLb0EESZ_IbLb1EEEEDaSV_SW_EUlSV_E_NS1_11comp_targetILNS1_3genE8ELNS1_11target_archE1030ELNS1_3gpuE2ELNS1_3repE0EEENS1_30default_config_static_selectorELNS0_4arch9wavefront6targetE0EEEvT1_.uses_flat_scratch, 0
	.set _ZN7rocprim17ROCPRIM_400000_NS6detail17trampoline_kernelINS0_14default_configENS1_27scan_by_key_config_selectorIiiEEZZNS1_16scan_by_key_implILNS1_25lookback_scan_determinismE0ELb0ES3_N6thrust23THRUST_200600_302600_NS16reverse_iteratorIPKiEESD_NSA_IPiEEiN6hipcub16HIPCUB_304000_NS3MaxENSH_8EqualityEiEE10hipError_tPvRmT2_T3_T4_T5_mT6_T7_P12ihipStream_tbENKUlT_T0_E_clISt17integral_constantIbLb0EESZ_IbLb1EEEEDaSV_SW_EUlSV_E_NS1_11comp_targetILNS1_3genE8ELNS1_11target_archE1030ELNS1_3gpuE2ELNS1_3repE0EEENS1_30default_config_static_selectorELNS0_4arch9wavefront6targetE0EEEvT1_.has_dyn_sized_stack, 0
	.set _ZN7rocprim17ROCPRIM_400000_NS6detail17trampoline_kernelINS0_14default_configENS1_27scan_by_key_config_selectorIiiEEZZNS1_16scan_by_key_implILNS1_25lookback_scan_determinismE0ELb0ES3_N6thrust23THRUST_200600_302600_NS16reverse_iteratorIPKiEESD_NSA_IPiEEiN6hipcub16HIPCUB_304000_NS3MaxENSH_8EqualityEiEE10hipError_tPvRmT2_T3_T4_T5_mT6_T7_P12ihipStream_tbENKUlT_T0_E_clISt17integral_constantIbLb0EESZ_IbLb1EEEEDaSV_SW_EUlSV_E_NS1_11comp_targetILNS1_3genE8ELNS1_11target_archE1030ELNS1_3gpuE2ELNS1_3repE0EEENS1_30default_config_static_selectorELNS0_4arch9wavefront6targetE0EEEvT1_.has_recursion, 0
	.set _ZN7rocprim17ROCPRIM_400000_NS6detail17trampoline_kernelINS0_14default_configENS1_27scan_by_key_config_selectorIiiEEZZNS1_16scan_by_key_implILNS1_25lookback_scan_determinismE0ELb0ES3_N6thrust23THRUST_200600_302600_NS16reverse_iteratorIPKiEESD_NSA_IPiEEiN6hipcub16HIPCUB_304000_NS3MaxENSH_8EqualityEiEE10hipError_tPvRmT2_T3_T4_T5_mT6_T7_P12ihipStream_tbENKUlT_T0_E_clISt17integral_constantIbLb0EESZ_IbLb1EEEEDaSV_SW_EUlSV_E_NS1_11comp_targetILNS1_3genE8ELNS1_11target_archE1030ELNS1_3gpuE2ELNS1_3repE0EEENS1_30default_config_static_selectorELNS0_4arch9wavefront6targetE0EEEvT1_.has_indirect_call, 0
	.section	.AMDGPU.csdata,"",@progbits
; Kernel info:
; codeLenInByte = 0
; TotalNumSgprs: 0
; NumVgprs: 0
; ScratchSize: 0
; MemoryBound: 0
; FloatMode: 240
; IeeeMode: 1
; LDSByteSize: 0 bytes/workgroup (compile time only)
; SGPRBlocks: 0
; VGPRBlocks: 0
; NumSGPRsForWavesPerEU: 1
; NumVGPRsForWavesPerEU: 1
; NamedBarCnt: 0
; Occupancy: 16
; WaveLimiterHint : 0
; COMPUTE_PGM_RSRC2:SCRATCH_EN: 0
; COMPUTE_PGM_RSRC2:USER_SGPR: 2
; COMPUTE_PGM_RSRC2:TRAP_HANDLER: 0
; COMPUTE_PGM_RSRC2:TGID_X_EN: 1
; COMPUTE_PGM_RSRC2:TGID_Y_EN: 0
; COMPUTE_PGM_RSRC2:TGID_Z_EN: 0
; COMPUTE_PGM_RSRC2:TIDIG_COMP_CNT: 0
	.section	.text._ZN7rocprim17ROCPRIM_400000_NS6detail30init_device_scan_by_key_kernelINS1_19lookback_scan_stateINS0_5tupleIJlbEEELb0ELb0EEEPKljNS1_16block_id_wrapperIjLb0EEEEEvT_jjPNSB_10value_typeET0_PNSt15iterator_traitsISE_E10value_typeEmT1_T2_,"axG",@progbits,_ZN7rocprim17ROCPRIM_400000_NS6detail30init_device_scan_by_key_kernelINS1_19lookback_scan_stateINS0_5tupleIJlbEEELb0ELb0EEEPKljNS1_16block_id_wrapperIjLb0EEEEEvT_jjPNSB_10value_typeET0_PNSt15iterator_traitsISE_E10value_typeEmT1_T2_,comdat
	.protected	_ZN7rocprim17ROCPRIM_400000_NS6detail30init_device_scan_by_key_kernelINS1_19lookback_scan_stateINS0_5tupleIJlbEEELb0ELb0EEEPKljNS1_16block_id_wrapperIjLb0EEEEEvT_jjPNSB_10value_typeET0_PNSt15iterator_traitsISE_E10value_typeEmT1_T2_ ; -- Begin function _ZN7rocprim17ROCPRIM_400000_NS6detail30init_device_scan_by_key_kernelINS1_19lookback_scan_stateINS0_5tupleIJlbEEELb0ELb0EEEPKljNS1_16block_id_wrapperIjLb0EEEEEvT_jjPNSB_10value_typeET0_PNSt15iterator_traitsISE_E10value_typeEmT1_T2_
	.globl	_ZN7rocprim17ROCPRIM_400000_NS6detail30init_device_scan_by_key_kernelINS1_19lookback_scan_stateINS0_5tupleIJlbEEELb0ELb0EEEPKljNS1_16block_id_wrapperIjLb0EEEEEvT_jjPNSB_10value_typeET0_PNSt15iterator_traitsISE_E10value_typeEmT1_T2_
	.p2align	8
	.type	_ZN7rocprim17ROCPRIM_400000_NS6detail30init_device_scan_by_key_kernelINS1_19lookback_scan_stateINS0_5tupleIJlbEEELb0ELb0EEEPKljNS1_16block_id_wrapperIjLb0EEEEEvT_jjPNSB_10value_typeET0_PNSt15iterator_traitsISE_E10value_typeEmT1_T2_,@function
_ZN7rocprim17ROCPRIM_400000_NS6detail30init_device_scan_by_key_kernelINS1_19lookback_scan_stateINS0_5tupleIJlbEEELb0ELb0EEEPKljNS1_16block_id_wrapperIjLb0EEEEEvT_jjPNSB_10value_typeET0_PNSt15iterator_traitsISE_E10value_typeEmT1_T2_: ; @_ZN7rocprim17ROCPRIM_400000_NS6detail30init_device_scan_by_key_kernelINS1_19lookback_scan_stateINS0_5tupleIJlbEEELb0ELb0EEEPKljNS1_16block_id_wrapperIjLb0EEEEEvT_jjPNSB_10value_typeET0_PNSt15iterator_traitsISE_E10value_typeEmT1_T2_
; %bb.0:
	s_clause 0x2
	s_load_b32 s2, s[0:1], 0x54
	s_load_b32 s18, s[0:1], 0x48
	s_load_b256 s[4:11], s[0:1], 0x10
	s_bfe_u32 s3, ttmp6, 0x4000c
	s_and_b32 s12, ttmp6, 15
	s_add_co_i32 s3, s3, 1
	s_getreg_b32 s13, hwreg(HW_REG_IB_STS2, 6, 4)
	s_mul_i32 s3, ttmp9, s3
	s_delay_alu instid0(SALU_CYCLE_1)
	s_add_co_i32 s12, s12, s3
	s_wait_kmcnt 0x0
	s_and_b32 s19, s2, 0xffff
	s_cmp_eq_u32 s13, 0
	s_cselect_b32 s2, ttmp9, s12
	s_cmp_eq_u64 s[8:9], 0
	v_mad_u32 v0, s2, s19, v0
	s_cbranch_scc1 .LBB92_7
; %bb.1:
	s_cmp_lt_u32 s7, s6
	s_mov_b32 s20, exec_lo
	s_cselect_b32 s2, s7, 0
	s_delay_alu instid0(VALU_DEP_1) | instid1(SALU_CYCLE_1)
	v_cmpx_eq_u32_e64 s2, v0
	s_cbranch_execz .LBB92_6
; %bb.2:
	s_add_co_i32 s2, s7, 32
	s_load_b128 s[12:15], s[0:1], 0x0
	v_mov_b32_e32 v1, s2
	s_mov_b32 s3, 0
	global_load_u8 v1, v1, s[4:5] scope:SCOPE_DEV
	s_wait_loadcnt 0x0
	v_and_b32_e32 v2, 0xffff, v1
	v_readfirstlane_b32 s7, v1
	s_delay_alu instid0(VALU_DEP_2)
	v_cmp_ne_u32_e32 vcc_lo, 0, v2
	s_cbranch_vccnz .LBB92_5
; %bb.3:
	v_mov_b32_e32 v1, 0
	s_add_nc_u64 s[16:17], s[4:5], s[2:3]
.LBB92_4:                               ; =>This Inner Loop Header: Depth=1
	global_load_u8 v2, v1, s[16:17] scope:SCOPE_DEV
	s_wait_loadcnt 0x0
	v_and_b32_e32 v3, 0xffff, v2
	v_readfirstlane_b32 s7, v2
	s_delay_alu instid0(VALU_DEP_2)
	v_cmp_eq_u32_e32 vcc_lo, 0, v3
	s_cbranch_vccnz .LBB92_4
.LBB92_5:
	s_and_b32 s7, 0xffff, s7
	v_mov_b32_e32 v1, 0
	s_cmp_eq_u32 s7, 1
	global_wb scope:SCOPE_DEV
	s_wait_storecnt 0x0
	global_inv scope:SCOPE_DEV
	s_wait_kmcnt 0x0
	s_cselect_b32 s13, s13, s15
	s_cselect_b32 s12, s12, s14
	s_lshl_b64 s[2:3], s[2:3], 4
	s_delay_alu instid0(SALU_CYCLE_1)
	s_add_nc_u64 s[2:3], s[12:13], s[2:3]
	s_clause 0x1
	global_load_b64 v[2:3], v1, s[2:3]
	global_load_u8 v4, v1, s[2:3] offset:8
	s_wait_loadcnt 0x1
	global_store_b64 v1, v[2:3], s[8:9]
	s_wait_loadcnt 0x0
	global_store_b8 v1, v4, s[8:9] offset:8
.LBB92_6:
	s_wait_xcnt 0x0
	s_or_b32 exec_lo, exec_lo, s20
.LBB92_7:
	s_delay_alu instid0(SALU_CYCLE_1) | instskip(NEXT) | instid1(VALU_DEP_1)
	s_mov_b32 s2, exec_lo
	v_cmpx_gt_u32_e64 s6, v0
	s_cbranch_execz .LBB92_9
; %bb.8:
	v_dual_mov_b32 v2, 0 :: v_dual_add_nc_u32 v1, 32, v0
	global_store_b8 v1, v2, s[4:5]
.LBB92_9:
	s_wait_xcnt 0x0
	s_or_b32 exec_lo, exec_lo, s2
	v_mov_b32_e32 v1, 0
	s_mov_b32 s2, exec_lo
	v_cmpx_gt_u32_e32 32, v0
	s_cbranch_execz .LBB92_11
; %bb.10:
	s_delay_alu instid0(VALU_DEP_2)
	v_add_nc_u64_e32 v[2:3], s[4:5], v[0:1]
	v_mov_b32_e32 v4, 0xff
	global_store_b8 v[2:3], v4, off
.LBB92_11:
	s_wait_xcnt 0x0
	s_or_b32 exec_lo, exec_lo, s2
	s_load_b64 s[2:3], s[0:1], 0x38
	s_mov_b32 s4, exec_lo
	s_wait_kmcnt 0x0
	v_cmpx_gt_u64_e64 s[2:3], v[0:1]
	s_cbranch_execz .LBB92_14
; %bb.12:
	s_clause 0x1
	s_load_b32 s4, s[0:1], 0x40
	s_load_b64 s[6:7], s[0:1], 0x30
	s_mov_b32 s5, 0
	s_wait_xcnt 0x0
	s_mul_i32 s0, s18, s19
	s_mov_b32 s9, s5
	s_mov_b32 s1, s5
	s_wait_kmcnt 0x0
	v_mul_u64_e32 v[2:3], s[4:5], v[0:1]
	s_add_co_i32 s8, s4, -1
	v_lshl_add_u64 v[4:5], v[0:1], 3, s[6:7]
	s_lshl_b64 s[8:9], s[8:9], 3
	s_delay_alu instid0(SALU_CYCLE_1) | instskip(SKIP_1) | instid1(SALU_CYCLE_1)
	s_add_nc_u64 s[8:9], s[10:11], s[8:9]
	s_mul_u64 s[10:11], s[4:5], s[0:1]
	s_lshl_b64 s[6:7], s[10:11], 3
	s_delay_alu instid0(VALU_DEP_2)
	v_lshl_add_u64 v[2:3], v[2:3], 3, s[8:9]
	s_lshl_b64 s[8:9], s[0:1], 3
.LBB92_13:                              ; =>This Inner Loop Header: Depth=1
	global_load_b64 v[6:7], v[2:3], off
	v_add_nc_u64_e32 v[0:1], s[0:1], v[0:1]
	s_wait_xcnt 0x0
	v_add_nc_u64_e32 v[2:3], s[6:7], v[2:3]
	s_delay_alu instid0(VALU_DEP_2)
	v_cmp_le_u64_e32 vcc_lo, s[2:3], v[0:1]
	s_or_b32 s5, vcc_lo, s5
	s_wait_loadcnt 0x0
	global_store_b64 v[4:5], v[6:7], off
	s_wait_xcnt 0x0
	v_add_nc_u64_e32 v[4:5], s[8:9], v[4:5]
	s_and_not1_b32 exec_lo, exec_lo, s5
	s_cbranch_execnz .LBB92_13
.LBB92_14:
	s_endpgm
	.section	.rodata,"a",@progbits
	.p2align	6, 0x0
	.amdhsa_kernel _ZN7rocprim17ROCPRIM_400000_NS6detail30init_device_scan_by_key_kernelINS1_19lookback_scan_stateINS0_5tupleIJlbEEELb0ELb0EEEPKljNS1_16block_id_wrapperIjLb0EEEEEvT_jjPNSB_10value_typeET0_PNSt15iterator_traitsISE_E10value_typeEmT1_T2_
		.amdhsa_group_segment_fixed_size 0
		.amdhsa_private_segment_fixed_size 0
		.amdhsa_kernarg_size 328
		.amdhsa_user_sgpr_count 2
		.amdhsa_user_sgpr_dispatch_ptr 0
		.amdhsa_user_sgpr_queue_ptr 0
		.amdhsa_user_sgpr_kernarg_segment_ptr 1
		.amdhsa_user_sgpr_dispatch_id 0
		.amdhsa_user_sgpr_kernarg_preload_length 0
		.amdhsa_user_sgpr_kernarg_preload_offset 0
		.amdhsa_user_sgpr_private_segment_size 0
		.amdhsa_wavefront_size32 1
		.amdhsa_uses_dynamic_stack 0
		.amdhsa_enable_private_segment 0
		.amdhsa_system_sgpr_workgroup_id_x 1
		.amdhsa_system_sgpr_workgroup_id_y 0
		.amdhsa_system_sgpr_workgroup_id_z 0
		.amdhsa_system_sgpr_workgroup_info 0
		.amdhsa_system_vgpr_workitem_id 0
		.amdhsa_next_free_vgpr 8
		.amdhsa_next_free_sgpr 21
		.amdhsa_named_barrier_count 0
		.amdhsa_reserve_vcc 1
		.amdhsa_float_round_mode_32 0
		.amdhsa_float_round_mode_16_64 0
		.amdhsa_float_denorm_mode_32 3
		.amdhsa_float_denorm_mode_16_64 3
		.amdhsa_fp16_overflow 0
		.amdhsa_memory_ordered 1
		.amdhsa_forward_progress 1
		.amdhsa_inst_pref_size 6
		.amdhsa_round_robin_scheduling 0
		.amdhsa_exception_fp_ieee_invalid_op 0
		.amdhsa_exception_fp_denorm_src 0
		.amdhsa_exception_fp_ieee_div_zero 0
		.amdhsa_exception_fp_ieee_overflow 0
		.amdhsa_exception_fp_ieee_underflow 0
		.amdhsa_exception_fp_ieee_inexact 0
		.amdhsa_exception_int_div_zero 0
	.end_amdhsa_kernel
	.section	.text._ZN7rocprim17ROCPRIM_400000_NS6detail30init_device_scan_by_key_kernelINS1_19lookback_scan_stateINS0_5tupleIJlbEEELb0ELb0EEEPKljNS1_16block_id_wrapperIjLb0EEEEEvT_jjPNSB_10value_typeET0_PNSt15iterator_traitsISE_E10value_typeEmT1_T2_,"axG",@progbits,_ZN7rocprim17ROCPRIM_400000_NS6detail30init_device_scan_by_key_kernelINS1_19lookback_scan_stateINS0_5tupleIJlbEEELb0ELb0EEEPKljNS1_16block_id_wrapperIjLb0EEEEEvT_jjPNSB_10value_typeET0_PNSt15iterator_traitsISE_E10value_typeEmT1_T2_,comdat
.Lfunc_end92:
	.size	_ZN7rocprim17ROCPRIM_400000_NS6detail30init_device_scan_by_key_kernelINS1_19lookback_scan_stateINS0_5tupleIJlbEEELb0ELb0EEEPKljNS1_16block_id_wrapperIjLb0EEEEEvT_jjPNSB_10value_typeET0_PNSt15iterator_traitsISE_E10value_typeEmT1_T2_, .Lfunc_end92-_ZN7rocprim17ROCPRIM_400000_NS6detail30init_device_scan_by_key_kernelINS1_19lookback_scan_stateINS0_5tupleIJlbEEELb0ELb0EEEPKljNS1_16block_id_wrapperIjLb0EEEEEvT_jjPNSB_10value_typeET0_PNSt15iterator_traitsISE_E10value_typeEmT1_T2_
                                        ; -- End function
	.set _ZN7rocprim17ROCPRIM_400000_NS6detail30init_device_scan_by_key_kernelINS1_19lookback_scan_stateINS0_5tupleIJlbEEELb0ELb0EEEPKljNS1_16block_id_wrapperIjLb0EEEEEvT_jjPNSB_10value_typeET0_PNSt15iterator_traitsISE_E10value_typeEmT1_T2_.num_vgpr, 8
	.set _ZN7rocprim17ROCPRIM_400000_NS6detail30init_device_scan_by_key_kernelINS1_19lookback_scan_stateINS0_5tupleIJlbEEELb0ELb0EEEPKljNS1_16block_id_wrapperIjLb0EEEEEvT_jjPNSB_10value_typeET0_PNSt15iterator_traitsISE_E10value_typeEmT1_T2_.num_agpr, 0
	.set _ZN7rocprim17ROCPRIM_400000_NS6detail30init_device_scan_by_key_kernelINS1_19lookback_scan_stateINS0_5tupleIJlbEEELb0ELb0EEEPKljNS1_16block_id_wrapperIjLb0EEEEEvT_jjPNSB_10value_typeET0_PNSt15iterator_traitsISE_E10value_typeEmT1_T2_.numbered_sgpr, 21
	.set _ZN7rocprim17ROCPRIM_400000_NS6detail30init_device_scan_by_key_kernelINS1_19lookback_scan_stateINS0_5tupleIJlbEEELb0ELb0EEEPKljNS1_16block_id_wrapperIjLb0EEEEEvT_jjPNSB_10value_typeET0_PNSt15iterator_traitsISE_E10value_typeEmT1_T2_.num_named_barrier, 0
	.set _ZN7rocprim17ROCPRIM_400000_NS6detail30init_device_scan_by_key_kernelINS1_19lookback_scan_stateINS0_5tupleIJlbEEELb0ELb0EEEPKljNS1_16block_id_wrapperIjLb0EEEEEvT_jjPNSB_10value_typeET0_PNSt15iterator_traitsISE_E10value_typeEmT1_T2_.private_seg_size, 0
	.set _ZN7rocprim17ROCPRIM_400000_NS6detail30init_device_scan_by_key_kernelINS1_19lookback_scan_stateINS0_5tupleIJlbEEELb0ELb0EEEPKljNS1_16block_id_wrapperIjLb0EEEEEvT_jjPNSB_10value_typeET0_PNSt15iterator_traitsISE_E10value_typeEmT1_T2_.uses_vcc, 1
	.set _ZN7rocprim17ROCPRIM_400000_NS6detail30init_device_scan_by_key_kernelINS1_19lookback_scan_stateINS0_5tupleIJlbEEELb0ELb0EEEPKljNS1_16block_id_wrapperIjLb0EEEEEvT_jjPNSB_10value_typeET0_PNSt15iterator_traitsISE_E10value_typeEmT1_T2_.uses_flat_scratch, 0
	.set _ZN7rocprim17ROCPRIM_400000_NS6detail30init_device_scan_by_key_kernelINS1_19lookback_scan_stateINS0_5tupleIJlbEEELb0ELb0EEEPKljNS1_16block_id_wrapperIjLb0EEEEEvT_jjPNSB_10value_typeET0_PNSt15iterator_traitsISE_E10value_typeEmT1_T2_.has_dyn_sized_stack, 0
	.set _ZN7rocprim17ROCPRIM_400000_NS6detail30init_device_scan_by_key_kernelINS1_19lookback_scan_stateINS0_5tupleIJlbEEELb0ELb0EEEPKljNS1_16block_id_wrapperIjLb0EEEEEvT_jjPNSB_10value_typeET0_PNSt15iterator_traitsISE_E10value_typeEmT1_T2_.has_recursion, 0
	.set _ZN7rocprim17ROCPRIM_400000_NS6detail30init_device_scan_by_key_kernelINS1_19lookback_scan_stateINS0_5tupleIJlbEEELb0ELb0EEEPKljNS1_16block_id_wrapperIjLb0EEEEEvT_jjPNSB_10value_typeET0_PNSt15iterator_traitsISE_E10value_typeEmT1_T2_.has_indirect_call, 0
	.section	.AMDGPU.csdata,"",@progbits
; Kernel info:
; codeLenInByte = 664
; TotalNumSgprs: 23
; NumVgprs: 8
; ScratchSize: 0
; MemoryBound: 0
; FloatMode: 240
; IeeeMode: 1
; LDSByteSize: 0 bytes/workgroup (compile time only)
; SGPRBlocks: 0
; VGPRBlocks: 0
; NumSGPRsForWavesPerEU: 23
; NumVGPRsForWavesPerEU: 8
; NamedBarCnt: 0
; Occupancy: 16
; WaveLimiterHint : 0
; COMPUTE_PGM_RSRC2:SCRATCH_EN: 0
; COMPUTE_PGM_RSRC2:USER_SGPR: 2
; COMPUTE_PGM_RSRC2:TRAP_HANDLER: 0
; COMPUTE_PGM_RSRC2:TGID_X_EN: 1
; COMPUTE_PGM_RSRC2:TGID_Y_EN: 0
; COMPUTE_PGM_RSRC2:TGID_Z_EN: 0
; COMPUTE_PGM_RSRC2:TIDIG_COMP_CNT: 0
	.section	.text._ZN7rocprim17ROCPRIM_400000_NS6detail30init_device_scan_by_key_kernelINS1_19lookback_scan_stateINS0_5tupleIJlbEEELb0ELb0EEENS1_16block_id_wrapperIjLb0EEEEEvT_jjPNS9_10value_typeET0_,"axG",@progbits,_ZN7rocprim17ROCPRIM_400000_NS6detail30init_device_scan_by_key_kernelINS1_19lookback_scan_stateINS0_5tupleIJlbEEELb0ELb0EEENS1_16block_id_wrapperIjLb0EEEEEvT_jjPNS9_10value_typeET0_,comdat
	.protected	_ZN7rocprim17ROCPRIM_400000_NS6detail30init_device_scan_by_key_kernelINS1_19lookback_scan_stateINS0_5tupleIJlbEEELb0ELb0EEENS1_16block_id_wrapperIjLb0EEEEEvT_jjPNS9_10value_typeET0_ ; -- Begin function _ZN7rocprim17ROCPRIM_400000_NS6detail30init_device_scan_by_key_kernelINS1_19lookback_scan_stateINS0_5tupleIJlbEEELb0ELb0EEENS1_16block_id_wrapperIjLb0EEEEEvT_jjPNS9_10value_typeET0_
	.globl	_ZN7rocprim17ROCPRIM_400000_NS6detail30init_device_scan_by_key_kernelINS1_19lookback_scan_stateINS0_5tupleIJlbEEELb0ELb0EEENS1_16block_id_wrapperIjLb0EEEEEvT_jjPNS9_10value_typeET0_
	.p2align	8
	.type	_ZN7rocprim17ROCPRIM_400000_NS6detail30init_device_scan_by_key_kernelINS1_19lookback_scan_stateINS0_5tupleIJlbEEELb0ELb0EEENS1_16block_id_wrapperIjLb0EEEEEvT_jjPNS9_10value_typeET0_,@function
_ZN7rocprim17ROCPRIM_400000_NS6detail30init_device_scan_by_key_kernelINS1_19lookback_scan_stateINS0_5tupleIJlbEEELb0ELb0EEENS1_16block_id_wrapperIjLb0EEEEEvT_jjPNS9_10value_typeET0_: ; @_ZN7rocprim17ROCPRIM_400000_NS6detail30init_device_scan_by_key_kernelINS1_19lookback_scan_stateINS0_5tupleIJlbEEELb0ELb0EEENS1_16block_id_wrapperIjLb0EEEEEvT_jjPNS9_10value_typeET0_
; %bb.0:
	s_clause 0x2
	s_load_b32 s8, s[0:1], 0x3c
	s_load_b128 s[4:7], s[0:1], 0x10
	s_load_b64 s[2:3], s[0:1], 0x20
	s_bfe_u32 s9, ttmp6, 0x4000c
	s_and_b32 s10, ttmp6, 15
	s_add_co_i32 s9, s9, 1
	s_getreg_b32 s11, hwreg(HW_REG_IB_STS2, 6, 4)
	s_mul_i32 s9, ttmp9, s9
	s_delay_alu instid0(SALU_CYCLE_1)
	s_add_co_i32 s10, s10, s9
	s_wait_kmcnt 0x0
	s_and_b32 s8, s8, 0xffff
	s_cmp_eq_u32 s11, 0
	s_cselect_b32 s9, ttmp9, s10
	s_cmp_eq_u64 s[2:3], 0
	v_mad_u32 v0, s9, s8, v0
	s_cbranch_scc1 .LBB93_7
; %bb.1:
	s_cmp_lt_u32 s7, s6
	s_mov_b32 s14, exec_lo
	s_cselect_b32 s8, s7, 0
	s_delay_alu instid0(VALU_DEP_1) | instid1(SALU_CYCLE_1)
	v_cmpx_eq_u32_e64 s8, v0
	s_cbranch_execz .LBB93_6
; %bb.2:
	s_add_co_i32 s12, s7, 32
	s_load_b128 s[8:11], s[0:1], 0x0
	v_mov_b32_e32 v1, s12
	s_mov_b32 s13, 0
	global_load_u8 v1, v1, s[4:5] scope:SCOPE_DEV
	s_wait_loadcnt 0x0
	v_and_b32_e32 v2, 0xffff, v1
	v_readfirstlane_b32 s7, v1
	s_delay_alu instid0(VALU_DEP_2)
	v_cmp_ne_u32_e32 vcc_lo, 0, v2
	s_cbranch_vccnz .LBB93_5
; %bb.3:
	v_mov_b32_e32 v1, 0
	s_add_nc_u64 s[0:1], s[4:5], s[12:13]
.LBB93_4:                               ; =>This Inner Loop Header: Depth=1
	global_load_u8 v2, v1, s[0:1] scope:SCOPE_DEV
	s_wait_loadcnt 0x0
	v_and_b32_e32 v3, 0xffff, v2
	v_readfirstlane_b32 s7, v2
	s_delay_alu instid0(VALU_DEP_2)
	v_cmp_eq_u32_e32 vcc_lo, 0, v3
	s_cbranch_vccnz .LBB93_4
.LBB93_5:
	s_and_b32 s0, 0xffff, s7
	v_mov_b32_e32 v1, 0
	s_cmp_eq_u32 s0, 1
	global_wb scope:SCOPE_DEV
	s_wait_storecnt 0x0
	global_inv scope:SCOPE_DEV
	s_wait_kmcnt 0x0
	s_cselect_b32 s1, s9, s11
	s_cselect_b32 s0, s8, s10
	s_lshl_b64 s[8:9], s[12:13], 4
	s_delay_alu instid0(SALU_CYCLE_1)
	s_add_nc_u64 s[0:1], s[0:1], s[8:9]
	s_clause 0x1
	global_load_b64 v[2:3], v1, s[0:1]
	global_load_u8 v4, v1, s[0:1] offset:8
	s_wait_loadcnt 0x1
	global_store_b64 v1, v[2:3], s[2:3]
	s_wait_loadcnt 0x0
	global_store_b8 v1, v4, s[2:3] offset:8
.LBB93_6:
	s_wait_xcnt 0x0
	s_or_b32 exec_lo, exec_lo, s14
.LBB93_7:
	s_delay_alu instid0(SALU_CYCLE_1) | instskip(NEXT) | instid1(VALU_DEP_1)
	s_mov_b32 s0, exec_lo
	v_cmpx_gt_u32_e64 s6, v0
	s_cbranch_execz .LBB93_9
; %bb.8:
	v_dual_mov_b32 v2, 0 :: v_dual_add_nc_u32 v1, 32, v0
	global_store_b8 v1, v2, s[4:5]
.LBB93_9:
	s_wait_xcnt 0x0
	s_or_b32 exec_lo, exec_lo, s0
	s_delay_alu instid0(SALU_CYCLE_1)
	s_mov_b32 s0, exec_lo
	v_cmpx_gt_u32_e32 32, v0
	s_cbranch_execz .LBB93_11
; %bb.10:
	v_mov_b32_e32 v1, 0xff
	global_store_b8 v0, v1, s[4:5]
.LBB93_11:
	s_endpgm
	.section	.rodata,"a",@progbits
	.p2align	6, 0x0
	.amdhsa_kernel _ZN7rocprim17ROCPRIM_400000_NS6detail30init_device_scan_by_key_kernelINS1_19lookback_scan_stateINS0_5tupleIJlbEEELb0ELb0EEENS1_16block_id_wrapperIjLb0EEEEEvT_jjPNS9_10value_typeET0_
		.amdhsa_group_segment_fixed_size 0
		.amdhsa_private_segment_fixed_size 0
		.amdhsa_kernarg_size 304
		.amdhsa_user_sgpr_count 2
		.amdhsa_user_sgpr_dispatch_ptr 0
		.amdhsa_user_sgpr_queue_ptr 0
		.amdhsa_user_sgpr_kernarg_segment_ptr 1
		.amdhsa_user_sgpr_dispatch_id 0
		.amdhsa_user_sgpr_kernarg_preload_length 0
		.amdhsa_user_sgpr_kernarg_preload_offset 0
		.amdhsa_user_sgpr_private_segment_size 0
		.amdhsa_wavefront_size32 1
		.amdhsa_uses_dynamic_stack 0
		.amdhsa_enable_private_segment 0
		.amdhsa_system_sgpr_workgroup_id_x 1
		.amdhsa_system_sgpr_workgroup_id_y 0
		.amdhsa_system_sgpr_workgroup_id_z 0
		.amdhsa_system_sgpr_workgroup_info 0
		.amdhsa_system_vgpr_workitem_id 0
		.amdhsa_next_free_vgpr 5
		.amdhsa_next_free_sgpr 15
		.amdhsa_named_barrier_count 0
		.amdhsa_reserve_vcc 1
		.amdhsa_float_round_mode_32 0
		.amdhsa_float_round_mode_16_64 0
		.amdhsa_float_denorm_mode_32 3
		.amdhsa_float_denorm_mode_16_64 3
		.amdhsa_fp16_overflow 0
		.amdhsa_memory_ordered 1
		.amdhsa_forward_progress 1
		.amdhsa_inst_pref_size 4
		.amdhsa_round_robin_scheduling 0
		.amdhsa_exception_fp_ieee_invalid_op 0
		.amdhsa_exception_fp_denorm_src 0
		.amdhsa_exception_fp_ieee_div_zero 0
		.amdhsa_exception_fp_ieee_overflow 0
		.amdhsa_exception_fp_ieee_underflow 0
		.amdhsa_exception_fp_ieee_inexact 0
		.amdhsa_exception_int_div_zero 0
	.end_amdhsa_kernel
	.section	.text._ZN7rocprim17ROCPRIM_400000_NS6detail30init_device_scan_by_key_kernelINS1_19lookback_scan_stateINS0_5tupleIJlbEEELb0ELb0EEENS1_16block_id_wrapperIjLb0EEEEEvT_jjPNS9_10value_typeET0_,"axG",@progbits,_ZN7rocprim17ROCPRIM_400000_NS6detail30init_device_scan_by_key_kernelINS1_19lookback_scan_stateINS0_5tupleIJlbEEELb0ELb0EEENS1_16block_id_wrapperIjLb0EEEEEvT_jjPNS9_10value_typeET0_,comdat
.Lfunc_end93:
	.size	_ZN7rocprim17ROCPRIM_400000_NS6detail30init_device_scan_by_key_kernelINS1_19lookback_scan_stateINS0_5tupleIJlbEEELb0ELb0EEENS1_16block_id_wrapperIjLb0EEEEEvT_jjPNS9_10value_typeET0_, .Lfunc_end93-_ZN7rocprim17ROCPRIM_400000_NS6detail30init_device_scan_by_key_kernelINS1_19lookback_scan_stateINS0_5tupleIJlbEEELb0ELb0EEENS1_16block_id_wrapperIjLb0EEEEEvT_jjPNS9_10value_typeET0_
                                        ; -- End function
	.set _ZN7rocprim17ROCPRIM_400000_NS6detail30init_device_scan_by_key_kernelINS1_19lookback_scan_stateINS0_5tupleIJlbEEELb0ELb0EEENS1_16block_id_wrapperIjLb0EEEEEvT_jjPNS9_10value_typeET0_.num_vgpr, 5
	.set _ZN7rocprim17ROCPRIM_400000_NS6detail30init_device_scan_by_key_kernelINS1_19lookback_scan_stateINS0_5tupleIJlbEEELb0ELb0EEENS1_16block_id_wrapperIjLb0EEEEEvT_jjPNS9_10value_typeET0_.num_agpr, 0
	.set _ZN7rocprim17ROCPRIM_400000_NS6detail30init_device_scan_by_key_kernelINS1_19lookback_scan_stateINS0_5tupleIJlbEEELb0ELb0EEENS1_16block_id_wrapperIjLb0EEEEEvT_jjPNS9_10value_typeET0_.numbered_sgpr, 15
	.set _ZN7rocprim17ROCPRIM_400000_NS6detail30init_device_scan_by_key_kernelINS1_19lookback_scan_stateINS0_5tupleIJlbEEELb0ELb0EEENS1_16block_id_wrapperIjLb0EEEEEvT_jjPNS9_10value_typeET0_.num_named_barrier, 0
	.set _ZN7rocprim17ROCPRIM_400000_NS6detail30init_device_scan_by_key_kernelINS1_19lookback_scan_stateINS0_5tupleIJlbEEELb0ELb0EEENS1_16block_id_wrapperIjLb0EEEEEvT_jjPNS9_10value_typeET0_.private_seg_size, 0
	.set _ZN7rocprim17ROCPRIM_400000_NS6detail30init_device_scan_by_key_kernelINS1_19lookback_scan_stateINS0_5tupleIJlbEEELb0ELb0EEENS1_16block_id_wrapperIjLb0EEEEEvT_jjPNS9_10value_typeET0_.uses_vcc, 1
	.set _ZN7rocprim17ROCPRIM_400000_NS6detail30init_device_scan_by_key_kernelINS1_19lookback_scan_stateINS0_5tupleIJlbEEELb0ELb0EEENS1_16block_id_wrapperIjLb0EEEEEvT_jjPNS9_10value_typeET0_.uses_flat_scratch, 0
	.set _ZN7rocprim17ROCPRIM_400000_NS6detail30init_device_scan_by_key_kernelINS1_19lookback_scan_stateINS0_5tupleIJlbEEELb0ELb0EEENS1_16block_id_wrapperIjLb0EEEEEvT_jjPNS9_10value_typeET0_.has_dyn_sized_stack, 0
	.set _ZN7rocprim17ROCPRIM_400000_NS6detail30init_device_scan_by_key_kernelINS1_19lookback_scan_stateINS0_5tupleIJlbEEELb0ELb0EEENS1_16block_id_wrapperIjLb0EEEEEvT_jjPNS9_10value_typeET0_.has_recursion, 0
	.set _ZN7rocprim17ROCPRIM_400000_NS6detail30init_device_scan_by_key_kernelINS1_19lookback_scan_stateINS0_5tupleIJlbEEELb0ELb0EEENS1_16block_id_wrapperIjLb0EEEEEvT_jjPNS9_10value_typeET0_.has_indirect_call, 0
	.section	.AMDGPU.csdata,"",@progbits
; Kernel info:
; codeLenInByte = 456
; TotalNumSgprs: 17
; NumVgprs: 5
; ScratchSize: 0
; MemoryBound: 0
; FloatMode: 240
; IeeeMode: 1
; LDSByteSize: 0 bytes/workgroup (compile time only)
; SGPRBlocks: 0
; VGPRBlocks: 0
; NumSGPRsForWavesPerEU: 17
; NumVGPRsForWavesPerEU: 5
; NamedBarCnt: 0
; Occupancy: 16
; WaveLimiterHint : 0
; COMPUTE_PGM_RSRC2:SCRATCH_EN: 0
; COMPUTE_PGM_RSRC2:USER_SGPR: 2
; COMPUTE_PGM_RSRC2:TRAP_HANDLER: 0
; COMPUTE_PGM_RSRC2:TGID_X_EN: 1
; COMPUTE_PGM_RSRC2:TGID_Y_EN: 0
; COMPUTE_PGM_RSRC2:TGID_Z_EN: 0
; COMPUTE_PGM_RSRC2:TIDIG_COMP_CNT: 0
	.section	.text._ZN7rocprim17ROCPRIM_400000_NS6detail17trampoline_kernelINS0_14default_configENS1_27scan_by_key_config_selectorIllEEZZNS1_16scan_by_key_implILNS1_25lookback_scan_determinismE0ELb0ES3_PKlN6hipcub16HIPCUB_304000_NS21ConstantInputIteratorIllEEPllNSB_3SumENSB_8EqualityElEE10hipError_tPvRmT2_T3_T4_T5_mT6_T7_P12ihipStream_tbENKUlT_T0_E_clISt17integral_constantIbLb0EESX_EEDaSS_ST_EUlSS_E_NS1_11comp_targetILNS1_3genE0ELNS1_11target_archE4294967295ELNS1_3gpuE0ELNS1_3repE0EEENS1_30default_config_static_selectorELNS0_4arch9wavefront6targetE0EEEvT1_,"axG",@progbits,_ZN7rocprim17ROCPRIM_400000_NS6detail17trampoline_kernelINS0_14default_configENS1_27scan_by_key_config_selectorIllEEZZNS1_16scan_by_key_implILNS1_25lookback_scan_determinismE0ELb0ES3_PKlN6hipcub16HIPCUB_304000_NS21ConstantInputIteratorIllEEPllNSB_3SumENSB_8EqualityElEE10hipError_tPvRmT2_T3_T4_T5_mT6_T7_P12ihipStream_tbENKUlT_T0_E_clISt17integral_constantIbLb0EESX_EEDaSS_ST_EUlSS_E_NS1_11comp_targetILNS1_3genE0ELNS1_11target_archE4294967295ELNS1_3gpuE0ELNS1_3repE0EEENS1_30default_config_static_selectorELNS0_4arch9wavefront6targetE0EEEvT1_,comdat
	.protected	_ZN7rocprim17ROCPRIM_400000_NS6detail17trampoline_kernelINS0_14default_configENS1_27scan_by_key_config_selectorIllEEZZNS1_16scan_by_key_implILNS1_25lookback_scan_determinismE0ELb0ES3_PKlN6hipcub16HIPCUB_304000_NS21ConstantInputIteratorIllEEPllNSB_3SumENSB_8EqualityElEE10hipError_tPvRmT2_T3_T4_T5_mT6_T7_P12ihipStream_tbENKUlT_T0_E_clISt17integral_constantIbLb0EESX_EEDaSS_ST_EUlSS_E_NS1_11comp_targetILNS1_3genE0ELNS1_11target_archE4294967295ELNS1_3gpuE0ELNS1_3repE0EEENS1_30default_config_static_selectorELNS0_4arch9wavefront6targetE0EEEvT1_ ; -- Begin function _ZN7rocprim17ROCPRIM_400000_NS6detail17trampoline_kernelINS0_14default_configENS1_27scan_by_key_config_selectorIllEEZZNS1_16scan_by_key_implILNS1_25lookback_scan_determinismE0ELb0ES3_PKlN6hipcub16HIPCUB_304000_NS21ConstantInputIteratorIllEEPllNSB_3SumENSB_8EqualityElEE10hipError_tPvRmT2_T3_T4_T5_mT6_T7_P12ihipStream_tbENKUlT_T0_E_clISt17integral_constantIbLb0EESX_EEDaSS_ST_EUlSS_E_NS1_11comp_targetILNS1_3genE0ELNS1_11target_archE4294967295ELNS1_3gpuE0ELNS1_3repE0EEENS1_30default_config_static_selectorELNS0_4arch9wavefront6targetE0EEEvT1_
	.globl	_ZN7rocprim17ROCPRIM_400000_NS6detail17trampoline_kernelINS0_14default_configENS1_27scan_by_key_config_selectorIllEEZZNS1_16scan_by_key_implILNS1_25lookback_scan_determinismE0ELb0ES3_PKlN6hipcub16HIPCUB_304000_NS21ConstantInputIteratorIllEEPllNSB_3SumENSB_8EqualityElEE10hipError_tPvRmT2_T3_T4_T5_mT6_T7_P12ihipStream_tbENKUlT_T0_E_clISt17integral_constantIbLb0EESX_EEDaSS_ST_EUlSS_E_NS1_11comp_targetILNS1_3genE0ELNS1_11target_archE4294967295ELNS1_3gpuE0ELNS1_3repE0EEENS1_30default_config_static_selectorELNS0_4arch9wavefront6targetE0EEEvT1_
	.p2align	8
	.type	_ZN7rocprim17ROCPRIM_400000_NS6detail17trampoline_kernelINS0_14default_configENS1_27scan_by_key_config_selectorIllEEZZNS1_16scan_by_key_implILNS1_25lookback_scan_determinismE0ELb0ES3_PKlN6hipcub16HIPCUB_304000_NS21ConstantInputIteratorIllEEPllNSB_3SumENSB_8EqualityElEE10hipError_tPvRmT2_T3_T4_T5_mT6_T7_P12ihipStream_tbENKUlT_T0_E_clISt17integral_constantIbLb0EESX_EEDaSS_ST_EUlSS_E_NS1_11comp_targetILNS1_3genE0ELNS1_11target_archE4294967295ELNS1_3gpuE0ELNS1_3repE0EEENS1_30default_config_static_selectorELNS0_4arch9wavefront6targetE0EEEvT1_,@function
_ZN7rocprim17ROCPRIM_400000_NS6detail17trampoline_kernelINS0_14default_configENS1_27scan_by_key_config_selectorIllEEZZNS1_16scan_by_key_implILNS1_25lookback_scan_determinismE0ELb0ES3_PKlN6hipcub16HIPCUB_304000_NS21ConstantInputIteratorIllEEPllNSB_3SumENSB_8EqualityElEE10hipError_tPvRmT2_T3_T4_T5_mT6_T7_P12ihipStream_tbENKUlT_T0_E_clISt17integral_constantIbLb0EESX_EEDaSS_ST_EUlSS_E_NS1_11comp_targetILNS1_3genE0ELNS1_11target_archE4294967295ELNS1_3gpuE0ELNS1_3repE0EEENS1_30default_config_static_selectorELNS0_4arch9wavefront6targetE0EEEvT1_: ; @_ZN7rocprim17ROCPRIM_400000_NS6detail17trampoline_kernelINS0_14default_configENS1_27scan_by_key_config_selectorIllEEZZNS1_16scan_by_key_implILNS1_25lookback_scan_determinismE0ELb0ES3_PKlN6hipcub16HIPCUB_304000_NS21ConstantInputIteratorIllEEPllNSB_3SumENSB_8EqualityElEE10hipError_tPvRmT2_T3_T4_T5_mT6_T7_P12ihipStream_tbENKUlT_T0_E_clISt17integral_constantIbLb0EESX_EEDaSS_ST_EUlSS_E_NS1_11comp_targetILNS1_3genE0ELNS1_11target_archE4294967295ELNS1_3gpuE0ELNS1_3repE0EEENS1_30default_config_static_selectorELNS0_4arch9wavefront6targetE0EEEvT1_
; %bb.0:
	s_clause 0x4
	s_load_b128 s[4:7], s[0:1], 0x0
	s_load_b256 s[36:43], s[0:1], 0x68
	s_load_b96 s[44:46], s[0:1], 0x58
	s_load_b64 s[8:9], s[0:1], 0x10
	s_load_b256 s[24:31], s[0:1], 0x38
	s_getreg_b32 s10, hwreg(HW_REG_IB_STS2, 6, 4)
	s_mov_b32 s3, 0
	s_barrier_signal -1
	s_barrier_wait -1
	s_wait_kmcnt 0x0
	s_lshl_b64 s[34:35], s[6:7], 3
	s_cmp_lg_u64 s[40:41], 0
	s_mov_b32 s41, s3
	s_cselect_b32 s12, -1, 0
	s_bfe_u32 s2, ttmp6, 0x4000c
	s_and_b32 s6, ttmp6, 15
	s_add_co_i32 s2, s2, 1
	s_add_nc_u64 s[14:15], s[36:37], -1
	s_mul_i32 s7, ttmp9, s2
	s_mov_b32 s2, s46
	s_add_co_i32 s11, s6, s7
	s_cmp_eq_u32 s10, 0
	s_mul_u64 s[6:7], s[44:45], s[2:3]
	s_cselect_b32 s40, ttmp9, s11
	s_add_nc_u64 s[4:5], s[4:5], s[34:35]
	s_add_nc_u64 s[10:11], s[6:7], s[40:41]
	s_mul_i32 s2, s40, 0xe00
	v_cmp_ge_u64_e64 s31, s[10:11], s[14:15]
	s_lshl_b64 s[36:37], s[2:3], 3
	s_mul_i32 s33, s14, 0xfffff200
	s_add_nc_u64 s[6:7], s[4:5], s[36:37]
	s_and_b32 vcc_lo, exec_lo, s31
	s_cbranch_vccz .LBB94_32
; %bb.1:
	s_load_b64 s[2:3], s[6:7], 0x0
	s_add_co_i32 s16, s33, s30
	s_mov_b32 s4, exec_lo
	s_wait_kmcnt 0x0
	v_mov_b64_e32 v[2:3], s[2:3]
	v_cmpx_gt_u32_e64 s16, v0
	s_cbranch_execz .LBB94_3
; %bb.2:
	global_load_b64 v[2:3], v0, s[6:7] scale_offset
.LBB94_3:
	s_wait_xcnt 0x0
	s_or_b32 exec_lo, exec_lo, s4
	v_mov_b64_e32 v[4:5], s[2:3]
	v_or_b32_e32 v1, 0x100, v0
	s_mov_b32 s4, exec_lo
	s_delay_alu instid0(VALU_DEP_1)
	v_cmpx_gt_u32_e64 s16, v1
	s_cbranch_execz .LBB94_5
; %bb.4:
	global_load_b64 v[4:5], v0, s[6:7] offset:2048 scale_offset
.LBB94_5:
	s_wait_xcnt 0x0
	s_or_b32 exec_lo, exec_lo, s4
	v_mov_b64_e32 v[6:7], s[2:3]
	v_or_b32_e32 v1, 0x200, v0
	s_mov_b32 s4, exec_lo
	s_delay_alu instid0(VALU_DEP_1)
	v_cmpx_gt_u32_e64 s16, v1
	s_cbranch_execz .LBB94_7
; %bb.6:
	global_load_b64 v[6:7], v0, s[6:7] offset:4096 scale_offset
.LBB94_7:
	;; [unrolled: 11-line block ×13, first 2 shown]
	s_wait_xcnt 0x0
	s_or_b32 exec_lo, exec_lo, s2
	v_lshlrev_b32_e32 v1, 3, v0
	s_cmp_eq_u64 s[10:11], 0
	s_mov_b64 s[2:3], s[6:7]
	s_wait_loadcnt 0x0
	ds_store_2addr_stride64_b64 v1, v[2:3], v[4:5] offset1:4
	ds_store_2addr_stride64_b64 v1, v[6:7], v[8:9] offset0:8 offset1:12
	ds_store_2addr_stride64_b64 v1, v[10:11], v[12:13] offset0:16 offset1:20
	;; [unrolled: 1-line block ×6, first 2 shown]
	v_mad_u32_u24 v16, 0x68, v0, v1
	s_wait_dscnt 0x0
	s_barrier_signal -1
	s_barrier_wait -1
	ds_load_b128 v[76:79], v16 offset:16
	ds_load_2addr_b64 v[64:67], v16 offset0:3 offset1:4
	ds_load_b128 v[72:75], v16
	ds_load_2addr_b64 v[80:83], v16 offset0:1 offset1:2
	ds_load_2addr_b64 v[56:59], v16 offset0:7 offset1:8
	;; [unrolled: 1-line block ×5, first 2 shown]
	ds_load_b64 v[86:87], v16 offset:104
	s_cbranch_scc1 .LBB94_35
; %bb.30:
	s_and_not1_b32 vcc_lo, exec_lo, s12
	s_cbranch_vccnz .LBB94_33
; %bb.31:
	s_lshl_b64 s[2:3], s[10:11], 3
	s_mov_b32 s4, 0
	s_add_nc_u64 s[2:3], s[42:43], s[2:3]
	s_delay_alu instid0(SALU_CYCLE_1)
	s_add_nc_u64 s[2:3], s[2:3], -8
	s_branch .LBB94_34
.LBB94_32:
                                        ; implicit-def: $sgpr5
                                        ; implicit-def: $vgpr97
                                        ; implicit-def: $vgpr89
                                        ; implicit-def: $vgpr96
                                        ; implicit-def: $vgpr95
                                        ; implicit-def: $vgpr107
                                        ; implicit-def: $vgpr90
                                        ; implicit-def: $vgpr102
                                        ; implicit-def: $vgpr100
                                        ; implicit-def: $vgpr16_vgpr17
                                        ; implicit-def: $vgpr34_vgpr35
                                        ; implicit-def: $vgpr38_vgpr39
                                        ; implicit-def: $vgpr42_vgpr43
                                        ; implicit-def: $vgpr46_vgpr47
                                        ; implicit-def: $vgpr50_vgpr51
                                        ; implicit-def: $vgpr4_vgpr5
                                        ; implicit-def: $vgpr109
                                        ; implicit-def: $vgpr93
                                        ; implicit-def: $vgpr91
                                        ; implicit-def: $vgpr92
                                        ; implicit-def: $vgpr94
                                        ; implicit-def: $vgpr103
                                        ; implicit-def: $vgpr99
                                        ; implicit-def: $vgpr101
                                        ; implicit-def: $vgpr98
                                        ; implicit-def: $vgpr88
                                        ; implicit-def: $vgpr108
                                        ; implicit-def: $vgpr105
                                        ; implicit-def: $vgpr104
                                        ; implicit-def: $vgpr84_vgpr85
                                        ; implicit-def: $vgpr28_vgpr29
                                        ; implicit-def: $vgpr24_vgpr25
                                        ; implicit-def: $vgpr20_vgpr21
                                        ; implicit-def: $vgpr12_vgpr13
                                        ; implicit-def: $vgpr1
                                        ; implicit-def: $vgpr30_vgpr31
                                        ; implicit-def: $vgpr26_vgpr27
                                        ; implicit-def: $vgpr22_vgpr23
                                        ; implicit-def: $vgpr18_vgpr19
                                        ; implicit-def: $vgpr10_vgpr11
                                        ; implicit-def: $vgpr6_vgpr7
	v_lshlrev_b32_e32 v60, 3, v0
	s_cbranch_execnz .LBB94_64
	s_branch .LBB94_72
.LBB94_33:
	s_add_nc_u64 s[2:3], s[6:7], -8
	s_mov_b32 s4, -1
.LBB94_34:
	s_delay_alu instid0(SALU_CYCLE_1)
	s_and_not1_b32 vcc_lo, exec_lo, s4
.LBB94_35:
	s_load_b64 s[2:3], s[2:3], 0x0
	v_mad_i32_i24 v2, 0xffffff98, v0, v16
	s_wait_dscnt 0x0
	ds_store_b64 v2, v[86:87] offset:28672
	s_wait_dscnt 0x0
	s_barrier_signal -1
	s_barrier_wait -1
	s_wait_kmcnt 0x0
	v_mov_b64_e32 v[8:9], s[2:3]
	s_mov_b32 s3, 0
	s_mov_b32 s2, exec_lo
	v_cmpx_ne_u32_e32 0, v0
; %bb.36:
	v_mul_i32_i24_e32 v2, 0xffffff98, v0
	s_delay_alu instid0(VALU_DEP_1)
	v_add_nc_u32_e32 v2, v16, v2
	ds_load_b64 v[8:9], v2 offset:28664
; %bb.37:
	s_or_b32 exec_lo, exec_lo, s2
	v_mov_b64_e32 v[2:3], s[8:9]
	v_mul_u32_u24_e32 v106, 14, v0
	s_wait_dscnt 0x0
	s_barrier_signal -1
	s_barrier_wait -1
	v_mov_b64_e32 v[34:35], 0
	ds_store_2addr_stride64_b64 v1, v[2:3], v[2:3] offset1:4
	ds_store_2addr_stride64_b64 v1, v[2:3], v[2:3] offset0:8 offset1:12
	ds_store_2addr_stride64_b64 v1, v[2:3], v[2:3] offset0:16 offset1:20
	;; [unrolled: 1-line block ×6, first 2 shown]
	v_mov_b64_e32 v[32:33], 0
	v_mov_b64_e32 v[38:39], 0
	;; [unrolled: 1-line block ×23, first 2 shown]
	v_cmp_gt_u32_e32 vcc_lo, s16, v106
	v_dual_mov_b32 v97, 0 :: v_dual_mov_b32 v89, 0
	v_dual_mov_b32 v96, 0 :: v_dual_mov_b32 v95, 0
	v_dual_mov_b32 v107, 0 :: v_dual_mov_b32 v90, 0
	v_dual_mov_b32 v102, 0 :: v_dual_mov_b32 v100, 0
	v_dual_mov_b32 v109, 0 :: v_dual_mov_b32 v93, 0
	v_dual_mov_b32 v91, 0 :: v_dual_mov_b32 v92, 0
	v_dual_mov_b32 v94, 0 :: v_dual_mov_b32 v103, 0
	v_dual_mov_b32 v99, 0 :: v_dual_mov_b32 v101, 0
	v_dual_mov_b32 v98, 0 :: v_dual_mov_b32 v88, 0
	v_dual_mov_b32 v108, 0 :: v_dual_mov_b32 v105, 0
	v_dual_mov_b32 v104, 0 :: v_dual_mov_b32 v1, 0
	s_wait_dscnt 0x0
	s_barrier_signal -1
	s_barrier_wait -1
                                        ; implicit-def: $sgpr5
	s_and_saveexec_b32 s13, vcc_lo
	s_cbranch_execz .LBB94_63
; %bb.38:
	ds_load_b64 v[2:3], v16
	v_dual_mov_b32 v97, 0 :: v_dual_bitop2_b32 v1, 1, v106 bitop3:0x54
	v_mov_b64_e32 v[34:35], 0
	v_mov_b64_e32 v[32:33], 0
	;; [unrolled: 1-line block ×23, first 2 shown]
	v_cmp_gt_u32_e64 s2, s16, v1
	v_dual_mov_b32 v89, 0 :: v_dual_mov_b32 v96, 0
	v_dual_mov_b32 v95, 0 :: v_dual_mov_b32 v107, 0
	;; [unrolled: 1-line block ×9, first 2 shown]
	v_mov_b32_e32 v104, 0
	v_cmp_ne_u64_e32 vcc_lo, v[8:9], v[72:73]
                                        ; implicit-def: $sgpr5
	s_and_saveexec_b32 s14, s2
	s_cbranch_execz .LBB94_62
; %bb.39:
	ds_load_2addr_b64 v[6:9], v16 offset0:1 offset1:2
	v_cmp_ne_u64_e64 s2, v[74:75], v[82:83]
	v_cmp_ne_u64_e64 s4, v[72:73], v[80:81]
	v_dual_add_nc_u32 v5, 2, v106 :: v_dual_mov_b32 v97, 0
	v_cmp_ne_u64_e64 s3, v[78:79], v[66:67]
	v_mov_b64_e32 v[34:35], 0
	v_mov_b64_e32 v[32:33], 0
	v_cndmask_b32_e64 v1, 0, 1, s2
	v_cmp_ne_u64_e64 s2, v[76:77], v[64:65]
	v_mov_b64_e32 v[38:39], 0
	v_mov_b64_e32 v[36:37], 0
	;; [unrolled: 1-line block ×19, first 2 shown]
	v_lshlrev_b16 v1, 8, v1
	v_cndmask_b32_e64 v4, 0, 1, s4
	v_cmp_gt_u32_e64 s4, s16, v5
	v_dual_mov_b32 v89, 0 :: v_dual_mov_b32 v96, 0
	v_dual_mov_b32 v95, 0 :: v_dual_mov_b32 v90, 0
	;; [unrolled: 1-line block ×8, first 2 shown]
	v_mov_b32_e32 v104, 0
	s_mov_b32 s17, 0
                                        ; implicit-def: $sgpr5
	s_and_saveexec_b32 s15, s4
	s_cbranch_execz .LBB94_61
; %bb.40:
	v_cndmask_b32_e64 v5, 0, 1, s3
	v_cndmask_b32_e64 v10, 0, 1, s2
	v_and_b32_e32 v11, 0xffff, v1
	v_dual_mov_b32 v97, 0 :: v_dual_add_nc_u32 v12, 3, v106
	s_delay_alu instid0(VALU_DEP_4)
	v_lshlrev_b16 v5, 8, v5
	v_mov_b32_e32 v95, 0
	v_mov_b64_e32 v[34:35], 0
	v_mov_b64_e32 v[32:33], 0
	;; [unrolled: 1-line block ×3, first 2 shown]
	v_or_b32_e32 v5, v10, v5
	v_mov_b64_e32 v[36:37], 0
	v_mov_b64_e32 v[42:43], 0
	;; [unrolled: 1-line block ×4, first 2 shown]
	v_dual_mov_b32 v93, 0 :: v_dual_lshlrev_b32 v48, 16, v5
	v_mov_b64_e32 v[44:45], 0
	v_mov_b64_e32 v[50:51], 0
	v_mov_b64_e32 v[14:15], 0
	s_delay_alu instid0(VALU_DEP_4) | instskip(SKIP_3) | instid1(VALU_DEP_4)
	v_dual_mov_b32 v91, 0 :: v_dual_bitop2_b32 v10, v11, v48 bitop3:0x54
	v_mov_b64_e32 v[30:31], 0
	v_mov_b64_e32 v[84:85], 0
	v_mov_b64_e32 v[26:27], 0
	v_dual_lshrrev_b32 v90, 8, v10 :: v_dual_mov_b32 v92, 0
	v_mov_b64_e32 v[28:29], 0
	v_mov_b64_e32 v[22:23], 0
	v_mov_b64_e32 v[24:25], 0
	v_mov_b64_e32 v[18:19], 0
	v_mov_b64_e32 v[20:21], 0
	v_mov_b64_e32 v[10:11], 0
	v_dual_mov_b32 v89, 0 :: v_dual_mov_b32 v96, 0
	v_dual_mov_b32 v102, 0 :: v_dual_mov_b32 v100, 0
	v_cmp_gt_u32_e64 s2, s16, v12
	v_dual_mov_b32 v94, 0 :: v_dual_mov_b32 v103, 0
	v_dual_mov_b32 v99, 0 :: v_dual_mov_b32 v101, 0
	;; [unrolled: 1-line block ×3, first 2 shown]
	v_mov_b32_e32 v104, 0
	s_mov_b32 s3, 0
                                        ; implicit-def: $sgpr5
	s_and_saveexec_b32 s17, s2
	s_cbranch_execz .LBB94_60
; %bb.41:
	ds_load_2addr_b64 v[10:13], v16 offset0:3 offset1:4
	v_dual_mov_b32 v97, 0 :: v_dual_add_nc_u32 v14, 4, v106
	v_mov_b64_e32 v[34:35], 0
	v_mov_b64_e32 v[32:33], 0
	;; [unrolled: 1-line block ×3, first 2 shown]
	s_delay_alu instid0(VALU_DEP_4)
	v_cmp_gt_u32_e64 s2, s16, v14
	v_mov_b64_e32 v[36:37], 0
	v_mov_b64_e32 v[42:43], 0
	;; [unrolled: 1-line block ×14, first 2 shown]
	v_dual_mov_b32 v89, 0 :: v_dual_mov_b32 v96, 0
	v_dual_mov_b32 v95, 0 :: v_dual_mov_b32 v100, 0
	;; [unrolled: 1-line block ×6, first 2 shown]
	v_mov_b32_e32 v104, 0
                                        ; implicit-def: $sgpr5
	s_and_saveexec_b32 s18, s2
	s_cbranch_execz .LBB94_59
; %bb.42:
	v_dual_mov_b32 v97, 0 :: v_dual_add_nc_u32 v14, 5, v106
	v_mov_b64_e32 v[34:35], 0
	v_mov_b64_e32 v[32:33], 0
	;; [unrolled: 1-line block ×3, first 2 shown]
	s_delay_alu instid0(VALU_DEP_4)
	v_cmp_gt_u32_e64 s2, s16, v14
	v_mov_b64_e32 v[36:37], 0
	v_mov_b64_e32 v[42:43], 0
	;; [unrolled: 1-line block ×12, first 2 shown]
	v_dual_mov_b32 v89, 0 :: v_dual_mov_b32 v96, 0
	v_dual_mov_b32 v95, 0 :: v_dual_mov_b32 v93, 0
	;; [unrolled: 1-line block ×5, first 2 shown]
                                        ; implicit-def: $sgpr5
	s_and_saveexec_b32 s19, s2
	s_cbranch_execz .LBB94_58
; %bb.43:
	ds_load_2addr_b64 v[18:21], v16 offset0:5 offset1:6
	v_cmp_ne_u64_e64 s2, v[68:69], v[70:71]
	v_cmp_ne_u64_e64 s4, v[66:67], v[68:69]
	v_dual_add_nc_u32 v15, 6, v106 :: v_dual_mov_b32 v89, 0
	v_cmp_ne_u64_e64 s3, v[56:57], v[58:59]
	v_mov_b64_e32 v[34:35], 0
	v_mov_b64_e32 v[32:33], 0
	v_cndmask_b32_e64 v14, 0, 1, s2
	v_cmp_ne_u64_e64 s2, v[70:71], v[56:57]
	v_cndmask_b32_e64 v45, 0, 1, s4
	v_cmp_gt_u32_e64 s4, s16, v15
	v_mov_b64_e32 v[38:39], 0
	v_lshlrev_b16 v44, 8, v14
	v_mov_b64_e32 v[36:37], 0
	v_mov_b64_e32 v[42:43], 0
	;; [unrolled: 1-line block ×10, first 2 shown]
	v_dual_mov_b32 v96, 0 :: v_dual_mov_b32 v95, 0
	v_dual_mov_b32 v93, 0 :: v_dual_mov_b32 v91, 0
	;; [unrolled: 1-line block ×4, first 2 shown]
	v_mov_b32_e32 v98, 0
	s_mov_b32 s21, 0
                                        ; implicit-def: $sgpr5
	s_and_saveexec_b32 s20, s4
	s_cbranch_execz .LBB94_57
; %bb.44:
	v_cndmask_b32_e64 v14, 0, 1, s3
	v_cndmask_b32_e64 v15, 0, 1, s2
	v_and_b32_e32 v17, 0xffff, v44
	v_mov_b64_e32 v[34:35], 0
	v_mov_b64_e32 v[32:33], 0
	v_lshlrev_b16 v14, 8, v14
	v_mov_b32_e32 v95, 0
	v_mov_b64_e32 v[38:39], 0
	v_mov_b64_e32 v[36:37], 0
	;; [unrolled: 1-line block ×3, first 2 shown]
	v_or_b32_e32 v40, v15, v14
	v_mov_b64_e32 v[14:15], 0
	v_mov_b64_e32 v[30:31], 0
	;; [unrolled: 1-line block ×4, first 2 shown]
	v_dual_mov_b32 v92, 0 :: v_dual_lshlrev_b32 v41, 16, v40
	v_mov_b64_e32 v[28:29], 0
	v_mov_b64_e32 v[22:23], 0
	v_dual_add_nc_u32 v24, 7, v106 :: v_dual_mov_b32 v96, 0
	s_delay_alu instid0(VALU_DEP_4) | instskip(SKIP_1) | instid1(VALU_DEP_2)
	v_dual_mov_b32 v94, 0 :: v_dual_bitop2_b32 v17, v17, v41 bitop3:0x54
	v_dual_mov_b32 v93, 0 :: v_dual_mov_b32 v91, 0
	v_dual_mov_b32 v98, 0 :: v_dual_lshrrev_b32 v89, 8, v17
	s_mov_b32 s3, 0
	s_mov_b32 s21, exec_lo
                                        ; implicit-def: $sgpr5
	v_cmpx_gt_u32_e64 s16, v24
	s_cbranch_execz .LBB94_56
; %bb.45:
	ds_load_2addr_b64 v[22:25], v16 offset0:7 offset1:8
	v_dual_mov_b32 v95, 0 :: v_dual_add_nc_u32 v14, 8, v106
	v_mov_b64_e32 v[34:35], 0
	v_mov_b64_e32 v[32:33], 0
	;; [unrolled: 1-line block ×3, first 2 shown]
	s_delay_alu instid0(VALU_DEP_4)
	v_cmp_gt_u32_e64 s2, s16, v14
	v_mov_b64_e32 v[36:37], 0
	v_mov_b64_e32 v[14:15], 0
	;; [unrolled: 1-line block ×6, first 2 shown]
	v_dual_mov_b32 v93, 0 :: v_dual_mov_b32 v91, 0
	v_dual_mov_b32 v92, 0 :: v_dual_mov_b32 v94, 0
                                        ; implicit-def: $sgpr5
	s_and_saveexec_b32 s22, s2
	s_cbranch_execz .LBB94_55
; %bb.46:
	v_dual_mov_b32 v93, 0 :: v_dual_add_nc_u32 v14, 9, v106
	v_mov_b64_e32 v[34:35], 0
	v_mov_b64_e32 v[32:33], 0
	;; [unrolled: 1-line block ×3, first 2 shown]
	s_delay_alu instid0(VALU_DEP_4)
	v_cmp_gt_u32_e64 s2, s16, v14
	v_mov_b64_e32 v[14:15], 0
	v_mov_b64_e32 v[30:31], 0
	;; [unrolled: 1-line block ×4, first 2 shown]
	v_dual_mov_b32 v91, 0 :: v_dual_mov_b32 v92, 0
	v_mov_b32_e32 v94, 0
                                        ; implicit-def: $sgpr5
	s_and_saveexec_b32 s23, s2
	s_cbranch_execz .LBB94_54
; %bb.47:
	ds_load_2addr_b64 v[26:29], v16 offset0:9 offset1:10
	v_cmp_ne_u64_e64 s2, v[60:61], v[62:63]
	v_cmp_ne_u64_e64 s4, v[58:59], v[60:61]
	v_dual_add_nc_u32 v15, 10, v106 :: v_dual_mov_b32 v91, 0
	v_cmp_ne_u64_e64 s3, v[52:53], v[54:55]
	v_mov_b64_e32 v[34:35], 0
	v_mov_b64_e32 v[32:33], 0
	v_cndmask_b32_e64 v14, 0, 1, s2
	v_cmp_ne_u64_e64 s2, v[62:63], v[52:53]
	v_cndmask_b32_e64 v37, 0, 1, s4
	v_cmp_gt_u32_e64 s4, s16, v15
	v_mov_b64_e32 v[30:31], 0
	v_lshlrev_b16 v36, 8, v14
	v_mov_b64_e32 v[14:15], 0
	v_mov_b64_e32 v[84:85], 0
	v_dual_mov_b32 v92, 0 :: v_dual_mov_b32 v94, 0
	s_mov_b32 s46, 0
                                        ; implicit-def: $sgpr5
	s_and_saveexec_b32 s41, s4
	s_cbranch_execz .LBB94_53
; %bb.48:
	v_cndmask_b32_e64 v14, 0, 1, s3
	v_cndmask_b32_e64 v15, 0, 1, s2
	v_mov_b64_e32 v[30:31], 0
	v_mov_b32_e32 v94, 0
	s_mov_b32 s4, 0
	v_lshlrev_b16 v14, 8, v14
	s_mov_b32 s3, exec_lo
                                        ; implicit-def: $sgpr5
	s_delay_alu instid0(VALU_DEP_1) | instskip(SKIP_1) | instid1(VALU_DEP_2)
	v_dual_mov_b32 v92, 0 :: v_dual_bitop2_b32 v34, v15, v14 bitop3:0x54
	v_and_b32_e32 v14, 0xffff, v36
	v_lshlrev_b32_e32 v35, 16, v34
	s_delay_alu instid0(VALU_DEP_1) | instskip(SKIP_1) | instid1(VALU_DEP_2)
	v_dual_add_nc_u32 v17, 11, v106 :: v_dual_bitop2_b32 v32, v14, v35 bitop3:0x54
	v_mov_b64_e32 v[14:15], 0
	v_lshrrev_b32_e32 v91, 8, v32
	s_delay_alu instid0(VALU_DEP_3)
	v_cmpx_gt_u32_e64 s16, v17
	s_cbranch_execz .LBB94_52
; %bb.49:
	ds_load_2addr_b64 v[30:33], v16 offset0:11 offset1:12
	v_mov_b64_e32 v[14:15], 0
	v_dual_mov_b32 v94, 0 :: v_dual_add_nc_u32 v17, 12, v106
	s_mov_b32 s46, exec_lo
                                        ; implicit-def: $sgpr5
	s_delay_alu instid0(VALU_DEP_1)
	v_cmpx_gt_u32_e64 s16, v17
	s_xor_b32 s46, exec_lo, s46
	s_cbranch_execz .LBB94_51
; %bb.50:
	ds_load_b64 v[16:17], v16 offset:104
	v_dual_add_nc_u32 v14, 13, v106 :: v_dual_lshrrev_b32 v94, 24, v35
	v_cmp_ne_u64_e64 s5, v[54:55], v[86:87]
	s_delay_alu instid0(VALU_DEP_2)
	v_cmp_gt_u32_e64 s2, s16, v14
	s_wait_dscnt 0x1
	v_mov_b64_e32 v[14:15], v[32:33]
	s_and_b32 s4, s2, exec_lo
.LBB94_51:
	s_or_b32 exec_lo, exec_lo, s46
	v_mov_b32_e32 v92, v34
	s_and_b32 s4, s4, exec_lo
.LBB94_52:
	s_or_b32 exec_lo, exec_lo, s3
	s_wait_dscnt 0x0
	v_mov_b64_e32 v[34:35], v[30:31]
	v_mov_b64_e32 v[32:33], v[28:29]
	;; [unrolled: 1-line block ×3, first 2 shown]
	s_and_b32 s46, s4, exec_lo
.LBB94_53:
	s_or_b32 exec_lo, exec_lo, s41
	s_wait_dscnt 0x0
	v_mov_b64_e32 v[38:39], v[26:27]
	v_or_b32_e32 v93, v37, v36
	s_and_b32 s3, s46, exec_lo
.LBB94_54:
	s_or_b32 exec_lo, exec_lo, s23
	s_wait_dscnt 0x0
	v_mov_b64_e32 v[36:37], v[24:25]
	v_mov_b64_e32 v[28:29], v[24:25]
	v_lshrrev_b32_e32 v95, 24, v41
	s_and_b32 s3, s3, exec_lo
.LBB94_55:
	s_or_b32 exec_lo, exec_lo, s22
	s_wait_dscnt 0x0
	v_mov_b64_e32 v[42:43], v[22:23]
	v_dual_mov_b32 v96, v40 :: v_dual_mov_b32 v98, v95
	s_and_b32 s3, s3, exec_lo
.LBB94_56:
	s_or_b32 exec_lo, exec_lo, s21
	s_wait_dscnt 0x0
	v_mov_b64_e32 v[40:41], v[20:21]
	v_mov_b64_e32 v[24:25], v[20:21]
	v_dual_mov_b32 v99, v89 :: v_dual_mov_b32 v101, v96
	s_and_b32 s21, s3, exec_lo
.LBB94_57:
	s_or_b32 exec_lo, exec_lo, s20
	s_wait_dscnt 0x0
	v_mov_b64_e32 v[46:47], v[18:19]
	v_or_b32_e32 v97, v45, v44
	s_and_b32 s3, s21, exec_lo
.LBB94_58:
	s_or_b32 exec_lo, exec_lo, s19
	s_delay_alu instid0(VALU_DEP_1)
	v_dual_mov_b32 v103, v97 :: v_dual_lshrrev_b32 v100, 24, v48
	s_wait_dscnt 0x0
	v_mov_b64_e32 v[44:45], v[12:13]
	v_mov_b64_e32 v[20:21], v[12:13]
	s_and_b32 s3, s3, exec_lo
	v_mov_b32_e32 v104, v100
.LBB94_59:
	s_or_b32 exec_lo, exec_lo, s18
	s_wait_dscnt 0x0
	v_mov_b64_e32 v[50:51], v[10:11]
	v_dual_mov_b32 v102, v5 :: v_dual_mov_b32 v105, v5
	s_and_b32 s3, s3, exec_lo
.LBB94_60:
	s_or_b32 exec_lo, exec_lo, s17
	s_wait_dscnt 0x0
	v_mov_b64_e32 v[48:49], v[8:9]
	v_mov_b64_e32 v[12:13], v[8:9]
	v_mov_b32_e32 v108, v90
	s_and_b32 s17, s3, exec_lo
.LBB94_61:
	s_or_b32 exec_lo, exec_lo, s15
	v_or_b32_e32 v107, v4, v1
	s_wait_dscnt 0x0
	v_mov_b64_e32 v[4:5], v[6:7]
	s_and_b32 s3, s17, exec_lo
	s_delay_alu instid0(VALU_DEP_2)
	v_mov_b32_e32 v88, v107
.LBB94_62:
	s_or_b32 exec_lo, exec_lo, s14
	v_cndmask_b32_e64 v109, 0, 1, vcc_lo
	s_and_b32 s3, s3, exec_lo
	s_delay_alu instid0(VALU_DEP_1)
	v_mov_b32_e32 v1, v109
.LBB94_63:
	s_or_b32 exec_lo, exec_lo, s13
	v_lshlrev_b32_e32 v60, 3, v0
	s_branch .LBB94_72
.LBB94_64:
	s_wait_dscnt 0x0
	s_clause 0xd
	global_load_b64 v[2:3], v0, s[6:7] scale_offset
	global_load_b64 v[4:5], v0, s[6:7] offset:2048 scale_offset
	global_load_b64 v[6:7], v0, s[6:7] offset:4096 scale_offset
	;; [unrolled: 1-line block ×13, first 2 shown]
	v_mad_u32_u24 v1, 0x68, v0, v60
	s_cmp_eq_u64 s[10:11], 0
	s_wait_loadcnt 0xc
	ds_store_2addr_stride64_b64 v60, v[2:3], v[4:5] offset1:4
	s_wait_loadcnt 0xa
	ds_store_2addr_stride64_b64 v60, v[6:7], v[8:9] offset0:8 offset1:12
	s_wait_loadcnt 0x8
	ds_store_2addr_stride64_b64 v60, v[10:11], v[12:13] offset0:16 offset1:20
	;; [unrolled: 2-line block ×6, first 2 shown]
	s_wait_dscnt 0x0
	s_barrier_signal -1
	s_barrier_wait -1
	ds_load_b128 v[14:17], v1 offset:16
	ds_load_2addr_b64 v[10:13], v1 offset0:3 offset1:4
	ds_load_b128 v[6:9], v1
	ds_load_2addr_b64 v[2:5], v1 offset0:1 offset1:2
	ds_load_2addr_b64 v[22:25], v1 offset0:7 offset1:8
	;; [unrolled: 1-line block ×5, first 2 shown]
	ds_load_b64 v[34:35], v1 offset:104
	s_cbranch_scc1 .LBB94_69
; %bb.65:
	s_and_not1_b32 vcc_lo, exec_lo, s12
	s_cbranch_vccnz .LBB94_67
; %bb.66:
	s_lshl_b64 s[2:3], s[10:11], 3
	s_delay_alu instid0(SALU_CYCLE_1) | instskip(NEXT) | instid1(SALU_CYCLE_1)
	s_add_nc_u64 s[2:3], s[42:43], s[2:3]
	s_add_nc_u64 s[6:7], s[2:3], -8
	s_mov_b32 s2, 0
	s_branch .LBB94_68
.LBB94_67:
	s_add_nc_u64 s[6:7], s[6:7], -8
	s_mov_b32 s2, -1
.LBB94_68:
	s_delay_alu instid0(SALU_CYCLE_1)
	s_and_not1_b32 vcc_lo, exec_lo, s2
.LBB94_69:
	s_load_b64 s[2:3], s[6:7], 0x0
	v_mad_i32_i24 v36, 0xffffff98, v0, v1
	s_wait_dscnt 0x0
	ds_store_b64 v36, v[34:35] offset:28672
	s_wait_dscnt 0x0
	s_barrier_signal -1
	s_barrier_wait -1
	s_wait_kmcnt 0x0
	v_mov_b64_e32 v[52:53], s[2:3]
	s_mov_b32 s2, exec_lo
	v_cmpx_ne_u32_e32 0, v0
; %bb.70:
	v_mul_i32_i24_e32 v36, 0xffffff98, v0
	s_delay_alu instid0(VALU_DEP_1)
	v_add_nc_u32_e32 v36, v1, v36
	ds_load_b64 v[52:53], v36 offset:28664
; %bb.71:
	s_or_b32 exec_lo, exec_lo, s2
	v_cmp_ne_u64_e32 vcc_lo, v[30:31], v[32:33]
	s_wait_dscnt 0x0
	s_barrier_signal -1
	s_barrier_wait -1
	v_cmp_ne_u64_e64 s5, v[28:29], v[34:35]
	s_mov_b32 s3, -1
	v_cndmask_b32_e64 v36, 0, 1, vcc_lo
	v_cmp_ne_u64_e32 vcc_lo, v[26:27], v[28:29]
	s_delay_alu instid0(VALU_DEP_2) | instskip(SKIP_2) | instid1(VALU_DEP_2)
	v_lshlrev_b16 v36, 8, v36
	v_cndmask_b32_e64 v37, 0, 1, vcc_lo
	v_cmp_ne_u64_e32 vcc_lo, v[24:25], v[30:31]
	v_lshlrev_b16 v31, 8, v37
	v_cndmask_b32_e64 v30, 0, 1, vcc_lo
	v_cmp_ne_u64_e32 vcc_lo, v[32:33], v[26:27]
	v_cndmask_b32_e64 v26, 0, 1, vcc_lo
	v_cmp_ne_u64_e32 vcc_lo, v[22:23], v[24:25]
	v_and_b32_e32 v25, 0xffff, v36
	v_cndmask_b32_e64 v24, 0, 1, vcc_lo
	v_cmp_ne_u64_e32 vcc_lo, v[20:21], v[22:23]
	s_delay_alu instid0(VALU_DEP_2) | instskip(SKIP_4) | instid1(VALU_DEP_2)
	v_lshlrev_b16 v24, 8, v24
	v_cndmask_b32_e64 v22, 0, 1, vcc_lo
	v_cmp_ne_u64_e32 vcc_lo, v[18:19], v[20:21]
	v_cndmask_b32_e64 v20, 0, 1, vcc_lo
	v_cmp_ne_u64_e32 vcc_lo, v[16:17], v[12:13]
	v_lshlrev_b16 v20, 8, v20
	v_cndmask_b32_e64 v16, 0, 1, vcc_lo
	v_cmp_ne_u64_e32 vcc_lo, v[14:15], v[10:11]
	s_delay_alu instid0(VALU_DEP_2) | instskip(SKIP_3) | instid1(VALU_DEP_3)
	v_lshlrev_b16 v16, 8, v16
	v_cndmask_b32_e64 v10, 0, 1, vcc_lo
	v_cmp_ne_u64_e32 vcc_lo, v[8:9], v[4:5]
	v_and_b32_e32 v5, 0xffff, v20
	v_or_b32_e32 v102, v10, v16
	v_or_b32_e32 v96, v22, v24
	v_cndmask_b32_e64 v4, 0, 1, vcc_lo
	v_cmp_ne_u64_e32 vcc_lo, v[12:13], v[18:19]
	s_delay_alu instid0(VALU_DEP_2) | instskip(SKIP_3) | instid1(VALU_DEP_4)
	v_lshlrev_b16 v4, 8, v4
	v_cndmask_b32_e64 v8, 0, 1, vcc_lo
	v_cmp_ne_u64_e32 vcc_lo, v[6:7], v[2:3]
	v_mov_b64_e32 v[2:3], s[8:9]
	v_and_b32_e32 v9, 0xffff, v4
	ds_store_2addr_stride64_b64 v60, v[2:3], v[2:3] offset1:4
	ds_store_2addr_stride64_b64 v60, v[2:3], v[2:3] offset0:8 offset1:12
	ds_store_2addr_stride64_b64 v60, v[2:3], v[2:3] offset0:16 offset1:20
	;; [unrolled: 1-line block ×6, first 2 shown]
	v_dual_lshlrev_b32 v8, 16, v102 :: v_dual_bitop2_b32 v97, v8, v20 bitop3:0x54
	v_dual_lshlrev_b32 v21, 16, v96 :: v_dual_bitop2_b32 v92, v26, v31 bitop3:0x54
	s_wait_dscnt 0x0
	s_barrier_signal -1
	s_delay_alu instid0(VALU_DEP_2) | instskip(NEXT) | instid1(VALU_DEP_2)
	v_dual_mov_b32 v101, v96 :: v_dual_bitop2_b32 v2, v9, v8 bitop3:0x54
	v_dual_lshlrev_b32 v23, 16, v92 :: v_dual_bitop2_b32 v5, v5, v21 bitop3:0x54
	v_dual_lshrrev_b32 v100, 24, v8 :: v_dual_lshrrev_b32 v95, 24, v21
	s_barrier_wait -1
	s_delay_alu instid0(VALU_DEP_2) | instskip(SKIP_1) | instid1(VALU_DEP_2)
	v_dual_lshrrev_b32 v89, 8, v5 :: v_dual_bitop2_b32 v17, v25, v23 bitop3:0x54
	v_cndmask_b32_e64 v5, 0, 1, vcc_lo
	v_dual_lshrrev_b32 v90, 8, v2 :: v_dual_lshrrev_b32 v91, 8, v17
	v_dual_lshrrev_b32 v94, 24, v23 :: v_dual_bitop2_b32 v93, v30, v36 bitop3:0x54
	ds_load_b128 v[36:39], v1 offset:64
	ds_load_b128 v[32:35], v1 offset:80
	v_dual_mov_b32 v98, v95 :: v_dual_bitop2_b32 v107, v5, v4 bitop3:0x54
	ds_load_b128 v[44:47], v1 offset:32
	ds_load_b128 v[40:43], v1 offset:48
	ds_load_b128 v[2:5], v1
	ds_load_b128 v[48:51], v1 offset:16
	ds_load_b128 v[14:17], v1 offset:96
	v_cmp_ne_u64_e32 vcc_lo, v[52:53], v[6:7]
	v_dual_mov_b32 v103, v97 :: v_dual_mov_b32 v99, v89
	v_dual_mov_b32 v88, v107 :: v_dual_mov_b32 v108, v90
	;; [unrolled: 1-line block ×3, first 2 shown]
	v_cndmask_b32_e64 v109, 0, 1, vcc_lo
	s_delay_alu instid0(VALU_DEP_1)
	v_mov_b32_e32 v1, v109
	s_wait_dscnt 0x6
	v_mov_b64_e32 v[26:27], v[38:39]
	s_wait_dscnt 0x5
	v_mov_b64_e32 v[30:31], v[34:35]
	v_mov_b64_e32 v[84:85], v[32:33]
	;; [unrolled: 1-line block ×3, first 2 shown]
	s_wait_dscnt 0x3
	v_mov_b64_e32 v[22:23], v[42:43]
	v_mov_b64_e32 v[24:25], v[40:41]
	;; [unrolled: 1-line block ×4, first 2 shown]
	s_wait_dscnt 0x1
	v_mov_b64_e32 v[12:13], v[48:49]
	v_mov_b64_e32 v[10:11], v[50:51]
	;; [unrolled: 1-line block ×3, first 2 shown]
.LBB94_72:
	v_mov_b64_e32 v[8:9], 0
	v_mov_b32_e32 v61, 0
	s_and_saveexec_b32 s2, s3
	s_cbranch_execz .LBB94_74
; %bb.73:
	v_mov_b64_e32 v[6:7], v[4:5]
	v_mov_b64_e32 v[12:13], v[48:49]
	;; [unrolled: 1-line block ×11, first 2 shown]
	s_wait_dscnt 0x0
	v_mov_b64_e32 v[8:9], v[16:17]
	v_cndmask_b32_e64 v61, 0, 1, s5
	v_dual_mov_b32 v1, v109 :: v_dual_mov_b32 v88, v107
	v_dual_mov_b32 v108, v90 :: v_dual_mov_b32 v105, v102
	;; [unrolled: 1-line block ×4, first 2 shown]
	v_mov_b32_e32 v98, v95
.LBB94_74:
	s_or_b32 exec_lo, exec_lo, s2
	v_and_b32_e32 v66, 1, v108
	v_dual_lshrrev_b32 v65, 1, v0 :: v_dual_bitop2_b32 v64, 1, v103 bitop3:0x40
	s_delay_alu instid0(VALU_DEP_3)
	v_and_b32_e32 v63, 1, v98
	v_and_b32_e32 v62, 1, v92
	;; [unrolled: 1-line block ×6, first 2 shown]
	v_cmp_eq_u32_e64 s15, 1, v66
	v_bitop3_b16 v68, v104, 0xff, v105 bitop3:0xc8
	v_and_b32_e32 v74, 0xff, v98
	v_and_b32_e32 v76, 0xff, v101
	;; [unrolled: 1-line block ×4, first 2 shown]
	v_cmp_eq_u32_e64 s16, 1, v64
	v_bitop3_b16 v69, v101, 0xff, v99 bitop3:0xc8
	v_cmp_eq_u32_e64 s17, 1, v63
	v_and_b32_e32 v71, 0xff, v94
	v_and_b32_e32 v72, 0xff, v92
	;; [unrolled: 1-line block ×4, first 2 shown]
	v_bitop3_b16 v70, v91, 0xff, v93 bitop3:0xc8
	v_cmp_eq_u32_e64 s18, 1, v62
	v_cmp_eq_u16_e64 s2, 0, v61
	v_bitop3_b16 v67, v61, 0xff, v94 bitop3:0xc8
	s_cmp_lg_u32 s40, 0
	s_wait_dscnt 0x0
	v_cmp_gt_u32_e32 vcc_lo, 32, v0
	s_barrier_signal -1
	s_barrier_wait -1
	s_cbranch_scc0 .LBB94_124
; %bb.75:
	v_cmp_eq_u16_e64 s3, 0, v82
	v_cmp_eq_u16_e64 s4, 0, v81
	;; [unrolled: 1-line block ×5, first 2 shown]
	v_dual_cndmask_b32 v5, 0, v3, s3 :: v_dual_cndmask_b32 v4, 0, v2, s3
	v_cmp_eq_u16_e64 s8, 0, v77
	v_cmp_eq_u16_e64 s9, 0, v76
	;; [unrolled: 1-line block ×4, first 2 shown]
	v_add_nc_u64_e32 v[4:5], v[4:5], v[6:7]
	v_cmp_eq_u16_e64 s12, 0, v73
	v_cmp_eq_u16_e64 s13, 0, v72
	;; [unrolled: 1-line block ×3, first 2 shown]
	v_cmp_ne_u16_e64 s21, 0, v70
	v_bitop3_b16 v16, v88, 0xff, v1 bitop3:0xc8
	v_cmp_ne_u16_e64 s20, 0, v69
	v_dual_cndmask_b32 v5, 0, v5, s4 :: v_dual_cndmask_b32 v4, 0, v4, s4
	v_cmp_ne_u16_e64 s22, 0, v67
	v_cmp_ne_u16_e64 s19, 0, v68
	s_or_b32 s18, s21, s18
	v_cmp_ne_u16_e64 s23, 0, v16
	v_add_nc_u64_e32 v[4:5], v[4:5], v[12:13]
	s_or_b32 s17, s20, s17
	s_or_b32 s18, s22, s18
	;; [unrolled: 1-line block ×4, first 2 shown]
	v_and_b32_e32 v17, 0x70, v65
	s_or_b32 s15, s23, s15
	v_dual_cndmask_b32 v5, 0, v5, s5 :: v_dual_cndmask_b32 v4, 0, v4, s5
	s_or_b32 s16, s17, s16
	s_delay_alu instid0(VALU_DEP_2) | instskip(SKIP_1) | instid1(VALU_DEP_2)
	v_lshl_add_u32 v16, v0, 4, v17
	s_or_b32 s20, s16, s15
	v_add_nc_u64_e32 v[4:5], v[4:5], v[10:11]
	v_cndmask_b32_e64 v35, 0, 1, s20
	s_delay_alu instid0(VALU_DEP_2) | instskip(NEXT) | instid1(VALU_DEP_1)
	v_dual_cndmask_b32 v5, 0, v5, s6 :: v_dual_cndmask_b32 v4, 0, v4, s6
	v_add_nc_u64_e32 v[4:5], v[4:5], v[20:21]
	s_delay_alu instid0(VALU_DEP_1) | instskip(NEXT) | instid1(VALU_DEP_1)
	v_dual_cndmask_b32 v5, 0, v5, s7 :: v_dual_cndmask_b32 v4, 0, v4, s7
	v_add_nc_u64_e32 v[4:5], v[4:5], v[18:19]
	s_delay_alu instid0(VALU_DEP_1) | instskip(NEXT) | instid1(VALU_DEP_1)
	;; [unrolled: 3-line block ×9, first 2 shown]
	v_dual_cndmask_b32 v5, 0, v5, s2 :: v_dual_cndmask_b32 v4, 0, v4, s2
	v_add_nc_u64_e32 v[4:5], v[4:5], v[8:9]
	ds_store_b64 v16, v[4:5]
	ds_store_b8 v16, v35 offset:8
	s_wait_dscnt 0x0
	s_barrier_signal -1
	s_barrier_wait -1
	s_and_saveexec_b32 s18, vcc_lo
	s_cbranch_execz .LBB94_87
; %bb.76:
	v_dual_lshlrev_b32 v16, 2, v0 :: v_dual_lshlrev_b32 v17, 7, v0
	s_delay_alu instid0(VALU_DEP_1) | instskip(NEXT) | instid1(VALU_DEP_1)
	v_and_b32_e32 v16, 0x3f0, v16
	v_add_nc_u32_e32 v34, v16, v17
	ds_load_u8 v37, v34 offset:24
	ds_load_b64 v[16:17], v34
	ds_load_2addr_b64 v[38:41], v34 offset0:2 offset1:4
	ds_load_u8 v46, v34 offset:40
	ds_load_b32 v36, v34 offset:8
	ds_load_u8 v47, v34 offset:56
	ds_load_u8 v48, v34 offset:72
	;; [unrolled: 1-line block ×4, first 2 shown]
	s_wait_dscnt 0x8
	v_cmp_eq_u16_e64 s15, 0, v37
	s_wait_dscnt 0x7
	s_delay_alu instid0(VALU_DEP_1)
	v_dual_cndmask_b32 v33, 0, v17, s15 :: v_dual_cndmask_b32 v32, 0, v16, s15
	s_wait_dscnt 0x5
	v_cmp_eq_u16_e64 s15, 0, v46
	ds_load_2addr_b64 v[42:45], v34 offset0:6 offset1:8
	s_wait_dscnt 0x4
	v_bitop3_b16 v37, v46, v47, v37 bitop3:0xfe
	v_add_nc_u64_e32 v[32:33], v[32:33], v[38:39]
	s_delay_alu instid0(VALU_DEP_1) | instskip(SKIP_1) | instid1(VALU_DEP_2)
	v_dual_cndmask_b32 v33, 0, v33, s15 :: v_dual_cndmask_b32 v32, 0, v32, s15
	v_cmp_eq_u16_e64 s15, 0, v47
	v_add_nc_u64_e32 v[32:33], v[32:33], v[40:41]
	ds_load_2addr_b64 v[38:41], v34 offset0:10 offset1:12
	ds_load_u8 v51, v34 offset:120
	v_dual_cndmask_b32 v33, 0, v33, s15 :: v_dual_cndmask_b32 v32, 0, v32, s15
	s_wait_dscnt 0x5
	v_cmp_eq_u16_e64 s15, 0, v48
	s_wait_dscnt 0x2
	s_delay_alu instid0(VALU_DEP_2) | instskip(SKIP_1) | instid1(VALU_DEP_2)
	v_add_nc_u64_e32 v[32:33], v[32:33], v[42:43]
	v_bitop3_b16 v42, v49, v50, v48 bitop3:0xfe
	v_dual_cndmask_b32 v33, 0, v33, s15 :: v_dual_cndmask_b32 v32, 0, v32, s15
	v_cmp_eq_u16_e64 s15, 0, v49
	s_wait_dscnt 0x0
	s_delay_alu instid0(VALU_DEP_3) | instskip(SKIP_3) | instid1(VALU_DEP_1)
	v_bitop3_b16 v37, v51, v37, v42 bitop3:0xfe
	ds_load_b64 v[42:43], v34 offset:112
	v_cmp_eq_u16_e64 s17, 0, v51
	v_add_nc_u64_e32 v[32:33], v[32:33], v[44:45]
	v_dual_cndmask_b32 v32, 0, v32, s15 :: v_dual_bitop2_b32 v37, 1, v37 bitop3:0x40
	s_delay_alu instid0(VALU_DEP_2) | instskip(SKIP_1) | instid1(VALU_DEP_3)
	v_cndmask_b32_e64 v33, 0, v33, s15
	v_cmp_eq_u16_e64 s15, 0, v50
	v_cmp_eq_u32_e64 s16, 1, v37
	v_and_b32_e32 v37, 0xffffff00, v36
	s_delay_alu instid0(VALU_DEP_4) | instskip(NEXT) | instid1(VALU_DEP_1)
	v_add_nc_u64_e32 v[32:33], v[32:33], v[38:39]
	v_dual_cndmask_b32 v33, 0, v33, s15 :: v_dual_bitop2_b32 v38, 1, v36 bitop3:0x40
	s_delay_alu instid0(VALU_DEP_2) | instskip(NEXT) | instid1(VALU_DEP_2)
	v_cndmask_b32_e64 v32, 0, v32, s15
	v_cmp_eq_u32_e64 s15, 1, v38
	v_mbcnt_lo_u32_b32 v38, -1, 0
	s_delay_alu instid0(VALU_DEP_3) | instskip(SKIP_1) | instid1(SALU_CYCLE_1)
	v_add_nc_u64_e32 v[32:33], v[32:33], v[40:41]
	s_or_b32 s16, s16, s15
	v_cndmask_b32_e64 v40, 0, 1, s16
	v_cndmask_b32_e64 v39, 0, 1, s16
	s_delay_alu instid0(VALU_DEP_3) | instskip(NEXT) | instid1(VALU_DEP_3)
	v_dual_cndmask_b32 v33, 0, v33, s17 :: v_dual_cndmask_b32 v32, 0, v32, s17
	v_or_b32_e32 v41, v37, v40
	v_and_b32_e32 v40, 15, v38
	s_mov_b32 s17, exec_lo
	s_wait_dscnt 0x0
	v_add_nc_u64_e32 v[32:33], v[32:33], v[42:43]
	v_mov_b32_dpp v43, v41 row_shr:1 row_mask:0xf bank_mask:0xf
	s_delay_alu instid0(VALU_DEP_2) | instskip(NEXT) | instid1(VALU_DEP_3)
	v_mov_b32_dpp v42, v32 row_shr:1 row_mask:0xf bank_mask:0xf
	v_mov_b32_dpp v44, v33 row_shr:1 row_mask:0xf bank_mask:0xf
	v_cmpx_ne_u32_e32 0, v40
; %bb.77:
	s_delay_alu instid0(VALU_DEP_4) | instskip(NEXT) | instid1(VALU_DEP_3)
	v_bitop3_b16 v39, v43, v39, 1 bitop3:0xec
	v_cndmask_b32_e64 v43, v44, 0, s16
	v_cndmask_b32_e64 v42, v42, 0, s16
	s_delay_alu instid0(VALU_DEP_3) | instskip(NEXT) | instid1(VALU_DEP_2)
	v_and_b32_e32 v41, 0xffff, v39
	v_add_nc_u64_e32 v[32:33], v[42:43], v[32:33]
	s_delay_alu instid0(VALU_DEP_2)
	v_or_b32_e32 v41, v37, v41
; %bb.78:
	s_or_b32 exec_lo, exec_lo, s17
	s_delay_alu instid0(VALU_DEP_2) | instskip(NEXT) | instid1(VALU_DEP_3)
	v_mov_b32_dpp v42, v32 row_shr:2 row_mask:0xf bank_mask:0xf
	v_mov_b32_dpp v43, v33 row_shr:2 row_mask:0xf bank_mask:0xf
	s_delay_alu instid0(VALU_DEP_3)
	v_mov_b32_dpp v44, v41 row_shr:2 row_mask:0xf bank_mask:0xf
	s_mov_b32 s19, exec_lo
	v_cmpx_lt_u32_e32 1, v40
	s_cbranch_execz .LBB94_80
; %bb.79:
	v_cmp_eq_u16_e64 s15, 0, v39
	v_and_b32_e32 v41, 1, v39
	s_delay_alu instid0(VALU_DEP_2) | instskip(SKIP_1) | instid1(VALU_DEP_3)
	v_dual_cndmask_b32 v43, 0, v43, s15 :: v_dual_bitop2_b32 v44, 1, v44 bitop3:0x40
	v_cndmask_b32_e64 v42, 0, v42, s15
	v_cmp_eq_u32_e64 s16, 1, v41
	s_delay_alu instid0(VALU_DEP_3) | instskip(NEXT) | instid1(VALU_DEP_3)
	v_cmp_eq_u32_e64 s17, 1, v44
	v_add_nc_u64_e32 v[32:33], v[42:43], v[32:33]
	s_or_b32 s15, s16, s17
	s_delay_alu instid0(SALU_CYCLE_1) | instskip(SKIP_1) | instid1(VALU_DEP_2)
	v_cndmask_b32_e64 v41, 0, 1, s15
	v_cndmask_b32_e64 v39, 0, 1, s15
	v_or_b32_e32 v41, v37, v41
.LBB94_80:
	s_or_b32 exec_lo, exec_lo, s19
	s_delay_alu instid0(VALU_DEP_4) | instskip(SKIP_1) | instid1(VALU_DEP_3)
	v_mov_b32_dpp v42, v32 row_shr:4 row_mask:0xf bank_mask:0xf
	v_mov_b32_dpp v43, v33 row_shr:4 row_mask:0xf bank_mask:0xf
	;; [unrolled: 1-line block ×3, first 2 shown]
	s_mov_b32 s19, exec_lo
	v_cmpx_lt_u32_e32 3, v40
	s_cbranch_execz .LBB94_82
; %bb.81:
	v_cmp_eq_u16_e64 s15, 0, v39
	v_and_b32_e32 v41, 1, v39
	s_delay_alu instid0(VALU_DEP_2) | instskip(SKIP_1) | instid1(VALU_DEP_3)
	v_dual_cndmask_b32 v43, 0, v43, s15 :: v_dual_bitop2_b32 v44, 1, v44 bitop3:0x40
	v_cndmask_b32_e64 v42, 0, v42, s15
	v_cmp_eq_u32_e64 s16, 1, v41
	s_delay_alu instid0(VALU_DEP_3) | instskip(NEXT) | instid1(VALU_DEP_3)
	v_cmp_eq_u32_e64 s17, 1, v44
	v_add_nc_u64_e32 v[32:33], v[42:43], v[32:33]
	s_or_b32 s15, s16, s17
	s_delay_alu instid0(SALU_CYCLE_1) | instskip(SKIP_1) | instid1(VALU_DEP_2)
	v_cndmask_b32_e64 v41, 0, 1, s15
	v_cndmask_b32_e64 v39, 0, 1, s15
	v_or_b32_e32 v41, v37, v41
.LBB94_82:
	s_or_b32 exec_lo, exec_lo, s19
	s_delay_alu instid0(VALU_DEP_4) | instskip(SKIP_1) | instid1(VALU_DEP_3)
	v_mov_b32_dpp v42, v32 row_shr:8 row_mask:0xf bank_mask:0xf
	v_mov_b32_dpp v43, v33 row_shr:8 row_mask:0xf bank_mask:0xf
	;; [unrolled: 1-line block ×3, first 2 shown]
	s_mov_b32 s19, exec_lo
	v_cmpx_lt_u32_e32 7, v40
	s_cbranch_execz .LBB94_84
; %bb.83:
	v_and_b32_e32 v40, 1, v39
	v_cmp_eq_u16_e64 s15, 0, v39
	v_and_b32_e32 v41, 1, v44
	s_delay_alu instid0(VALU_DEP_3) | instskip(NEXT) | instid1(VALU_DEP_3)
	v_cmp_eq_u32_e64 s16, 1, v40
	v_cndmask_b32_e64 v40, 0, v42, s15
	s_delay_alu instid0(VALU_DEP_3) | instskip(SKIP_2) | instid1(VALU_DEP_1)
	v_cmp_eq_u32_e64 s17, 1, v41
	v_cndmask_b32_e64 v41, 0, v43, s15
	s_or_b32 s15, s16, s17
	v_add_nc_u64_e32 v[32:33], v[40:41], v[32:33]
	v_cndmask_b32_e64 v42, 0, 1, s15
	v_cndmask_b32_e64 v39, 0, 1, s15
	s_delay_alu instid0(VALU_DEP_2)
	v_or_b32_e32 v41, v37, v42
.LBB94_84:
	s_or_b32 exec_lo, exec_lo, s19
	ds_swizzle_b32 v40, v32 offset:swizzle(BROADCAST,32,15)
	ds_swizzle_b32 v42, v33 offset:swizzle(BROADCAST,32,15)
	;; [unrolled: 1-line block ×3, first 2 shown]
	v_and_b32_e32 v43, 16, v38
	s_mov_b32 s17, exec_lo
	s_delay_alu instid0(VALU_DEP_1)
	v_cmpx_ne_u32_e32 0, v43
	s_cbranch_execz .LBB94_86
; %bb.85:
	v_cmp_eq_u16_e64 s15, 0, v39
	v_and_b32_e32 v39, 1, v39
	s_wait_dscnt 0x0
	s_delay_alu instid0(VALU_DEP_2) | instskip(SKIP_1) | instid1(VALU_DEP_3)
	v_dual_cndmask_b32 v40, 0, v40, s15 :: v_dual_bitop2_b32 v43, 1, v41 bitop3:0x40
	v_cndmask_b32_e64 v41, 0, v42, s15
	v_cmp_eq_u32_e64 s15, 1, v39
	s_delay_alu instid0(VALU_DEP_3) | instskip(NEXT) | instid1(VALU_DEP_3)
	v_cmp_eq_u32_e64 s16, 1, v43
	v_add_nc_u64_e32 v[32:33], v[40:41], v[32:33]
	s_or_b32 s15, s15, s16
	s_delay_alu instid0(SALU_CYCLE_1)
	v_cndmask_b32_e64 v39, 0, 1, s15
.LBB94_86:
	s_or_b32 exec_lo, exec_lo, s17
	s_wait_dscnt 0x2
	v_add_nc_u32_e32 v40, -1, v38
	s_delay_alu instid0(VALU_DEP_2) | instskip(NEXT) | instid1(VALU_DEP_2)
	v_and_b32_e32 v39, 0xffff, v39
	; wave barrier
	v_cmp_gt_i32_e64 s15, 0, v40
	s_delay_alu instid0(VALU_DEP_1) | instskip(NEXT) | instid1(VALU_DEP_1)
	v_dual_cndmask_b32 v38, v40, v38, s15 :: v_dual_bitop2_b32 v37, v37, v39 bitop3:0x54
	v_lshlrev_b32_e32 v38, 2, v38
	ds_bpermute_b32 v33, v38, v33
	ds_bpermute_b32 v32, v38, v32
	;; [unrolled: 1-line block ×3, first 2 shown]
	v_and_b32_e32 v38, 0xff, v36
	s_delay_alu instid0(VALU_DEP_1) | instskip(SKIP_1) | instid1(VALU_DEP_1)
	v_cmp_eq_u32_e64 s15, 0, v38
	s_wait_dscnt 0x1
	v_dual_cndmask_b32 v33, 0, v33, s15 :: v_dual_cndmask_b32 v32, 0, v32, s15
	v_cmp_eq_u32_e64 s15, 0, v0
	s_wait_dscnt 0x0
	v_or_b32_e32 v36, v37, v36
	s_delay_alu instid0(VALU_DEP_3) | instskip(NEXT) | instid1(VALU_DEP_1)
	v_add_nc_u64_e32 v[16:17], v[32:33], v[16:17]
	v_dual_cndmask_b32 v17, v17, v5, s15 :: v_dual_bitop2_b32 v32, 1, v36 bitop3:0x40
	s_delay_alu instid0(VALU_DEP_2) | instskip(NEXT) | instid1(VALU_DEP_2)
	v_cndmask_b32_e64 v16, v16, v4, s15
	v_cndmask_b32_e64 v35, v32, v35, s15
	ds_store_b64 v34, v[16:17]
	ds_store_b8 v34, v35 offset:8
	; wave barrier
	ds_load_u8 v48, v34 offset:24
	ds_load_2addr_b64 v[36:39], v34 offset0:2 offset1:4
	ds_load_u8 v49, v34 offset:40
	ds_load_u8 v50, v34 offset:56
	ds_load_u8 v51, v34 offset:72
	ds_load_u8 v52, v34 offset:88
	ds_load_u8 v53, v34 offset:104
	ds_load_b64 v[32:33], v34 offset:112
	ds_load_u8 v54, v34 offset:120
	s_wait_dscnt 0x8
	v_and_b32_e32 v40, 0xff, v48
	v_bitop3_b16 v56, v48, 1, v35 bitop3:0xc8
	s_wait_dscnt 0x5
	v_and_b32_e32 v46, 0xff, v50
	s_delay_alu instid0(VALU_DEP_3) | instskip(SKIP_3) | instid1(VALU_DEP_3)
	v_cmp_eq_u16_e64 s15, 0, v40
	v_and_b32_e32 v40, 0xff, v49
	s_wait_dscnt 0x3
	v_and_b32_e32 v55, 0xff, v52
	v_dual_cndmask_b32 v17, 0, v17, s15 :: v_dual_cndmask_b32 v16, 0, v16, s15
	s_delay_alu instid0(VALU_DEP_3) | instskip(SKIP_2) | instid1(VALU_DEP_1)
	v_cmp_eq_u16_e64 s15, 0, v40
	ds_load_2addr_b64 v[40:43], v34 offset0:6 offset1:8
	v_add_nc_u64_e32 v[16:17], v[16:17], v[36:37]
	v_dual_cndmask_b32 v37, 0, v17, s15 :: v_dual_cndmask_b32 v36, 0, v16, s15
	v_cmp_eq_u16_e64 s15, 0, v46
	s_delay_alu instid0(VALU_DEP_2) | instskip(SKIP_1) | instid1(VALU_DEP_2)
	v_add_nc_u64_e32 v[44:45], v[36:37], v[38:39]
	v_and_b32_e32 v38, 0xff, v51
	v_dual_cndmask_b32 v37, 0, v45, s15 :: v_dual_cndmask_b32 v36, 0, v44, s15
	s_delay_alu instid0(VALU_DEP_2) | instskip(SKIP_1) | instid1(VALU_DEP_2)
	v_cmp_eq_u16_e64 s15, 0, v38
	s_wait_dscnt 0x0
	v_add_nc_u64_e32 v[40:41], v[36:37], v[40:41]
	ds_load_2addr_b64 v[36:39], v34 offset0:10 offset1:12
	v_dual_cndmask_b32 v47, 0, v41, s15 :: v_dual_cndmask_b32 v46, 0, v40, s15
	v_cmp_eq_u16_e64 s15, 0, v55
	v_and_b32_e32 v55, 0xff, v53
	s_delay_alu instid0(VALU_DEP_3) | instskip(NEXT) | instid1(VALU_DEP_1)
	v_add_nc_u64_e32 v[42:43], v[46:47], v[42:43]
	v_dual_cndmask_b32 v47, 0, v43, s15 :: v_dual_cndmask_b32 v46, 0, v42, s15
	s_delay_alu instid0(VALU_DEP_3) | instskip(SKIP_4) | instid1(VALU_DEP_3)
	v_cmp_eq_u16_e64 s15, 0, v55
	v_or_b32_e32 v55, v48, v35
	v_bitop3_b16 v35, v49, v48, v35 bitop3:0xfe
	s_wait_dscnt 0x0
	v_add_nc_u64_e32 v[36:37], v[46:47], v[36:37]
	v_bitop3_b16 v48, v50, v49, v55 bitop3:0xfe
	v_bitop3_b16 v49, v49, 1, v55 bitop3:0xc8
	;; [unrolled: 1-line block ×4, first 2 shown]
	v_dual_cndmask_b32 v47, 0, v37, s15 :: v_dual_cndmask_b32 v46, 0, v36, s15
	v_cmp_eq_u16_e64 s15, 0, v54
	s_delay_alu instid0(VALU_DEP_3) | instskip(SKIP_1) | instid1(VALU_DEP_4)
	v_bitop3_b16 v50, v53, v52, v35 bitop3:0xfe
	v_bitop3_b16 v35, v52, 1, v35 bitop3:0xc8
	v_add_nc_u64_e32 v[38:39], v[46:47], v[38:39]
	v_bitop3_b16 v46, v52, v51, v48 bitop3:0xfe
	v_bitop3_b16 v48, v51, 1, v48 bitop3:0xc8
	ds_store_2addr_b64 v34, v[16:17], v[44:45] offset0:2 offset1:4
	ds_store_2addr_b64 v34, v[40:41], v[42:43] offset0:6 offset1:8
	;; [unrolled: 1-line block ×3, first 2 shown]
	v_bitop3_b16 v51, v53, 1, v46 bitop3:0xc8
	v_dual_cndmask_b32 v47, 0, v39, s15 :: v_dual_cndmask_b32 v46, 0, v38, s15
	v_bitop3_b16 v50, v54, 1, v50 bitop3:0xc8
	s_delay_alu instid0(VALU_DEP_2)
	v_add_nc_u64_e32 v[16:17], v[46:47], v[32:33]
	ds_store_b8 v34, v56 offset:24
	ds_store_b8 v34, v49 offset:40
	ds_store_b8 v34, v55 offset:56
	ds_store_b8 v34, v48 offset:72
	ds_store_b8 v34, v35 offset:88
	ds_store_b8 v34, v51 offset:104
	ds_store_b64 v34, v[16:17] offset:112
	ds_store_b8 v34, v50 offset:120
.LBB94_87:
	s_or_b32 exec_lo, exec_lo, s18
	v_cmp_eq_u32_e64 s15, 0, v0
	s_mov_b32 s17, exec_lo
	s_wait_dscnt 0x0
	s_barrier_signal -1
	s_barrier_wait -1
	v_cmpx_ne_u32_e32 0, v0
	s_cbranch_execz .LBB94_89
; %bb.88:
	v_add_nc_u32_e32 v4, -1, v0
	s_and_not1_b32 s18, s20, exec_lo
	s_delay_alu instid0(VALU_DEP_1) | instskip(NEXT) | instid1(VALU_DEP_1)
	v_lshrrev_b32_e32 v5, 1, v4
	v_and_b32_e32 v5, 0x7ffffff0, v5
	s_delay_alu instid0(VALU_DEP_1) | instskip(SKIP_4) | instid1(VALU_DEP_1)
	v_lshl_add_u32 v4, v4, 4, v5
	ds_load_u8 v16, v4 offset:8
	ds_load_b64 v[4:5], v4
	s_wait_dscnt 0x1
	v_and_b32_e32 v16, 1, v16
	v_cmp_eq_u32_e64 s16, 1, v16
	s_and_b32 s16, s16, exec_lo
	s_delay_alu instid0(SALU_CYCLE_1)
	s_or_b32 s20, s18, s16
.LBB94_89:
	s_or_b32 exec_lo, exec_lo, s17
	s_and_saveexec_b32 s21, vcc_lo
	s_cbranch_execz .LBB94_129
; %bb.90:
	v_mov_b32_e32 v35, 0
	v_mbcnt_lo_u32_b32 v39, -1, 0
	s_mov_b32 s19, 0
	ds_load_b64 v[16:17], v35 offset:4192
	ds_load_u8 v38, v35 offset:4200
	v_cmp_eq_u32_e64 s16, 0, v39
	s_and_saveexec_b32 s17, s16
	s_cbranch_execz .LBB94_92
; %bb.91:
	s_add_co_i32 s18, s40, 32
	s_delay_alu instid0(SALU_CYCLE_1) | instskip(SKIP_1) | instid1(SALU_CYCLE_1)
	v_dual_mov_b32 v32, 1 :: v_dual_mov_b32 v33, s18
	s_lshl_b64 s[22:23], s[18:19], 4
	s_add_nc_u64 s[18:19], s[24:25], s[22:23]
	s_wait_dscnt 0x1
	global_store_b64 v35, v[16:17], s[18:19]
	s_wait_dscnt 0x0
	global_store_b8 v35, v38, s[18:19] offset:8
	global_wb scope:SCOPE_DEV
	s_wait_storecnt 0x0
	global_inv scope:SCOPE_DEV
	s_wait_xcnt 0x0
	global_store_b8 v33, v32, s[28:29] scope:SCOPE_DEV
.LBB94_92:
	s_wait_xcnt 0x0
	s_or_b32 exec_lo, exec_lo, s17
	v_xad_u32 v32, v39, -1, s40
	s_mov_b32 s17, exec_lo
	s_delay_alu instid0(VALU_DEP_1)
	v_add_nc_u32_e32 v34, 32, v32
	global_load_u8 v40, v34, s[28:29] scope:SCOPE_DEV
	s_wait_loadcnt 0x0
	v_cmpx_eq_u16_e32 0, v40
	s_cbranch_execz .LBB94_96
; %bb.93:
	v_add_nc_u64_e32 v[36:37], s[28:29], v[34:35]
	s_mov_b32 s18, 0
.LBB94_94:                              ; =>This Inner Loop Header: Depth=1
	global_load_u8 v40, v[36:37], off scope:SCOPE_DEV
	s_wait_loadcnt 0x0
	v_cmp_ne_u16_e32 vcc_lo, 0, v40
	s_or_b32 s18, vcc_lo, s18
	s_wait_xcnt 0x0
	s_and_not1_b32 exec_lo, exec_lo, s18
	s_cbranch_execnz .LBB94_94
; %bb.95:
	s_or_b32 exec_lo, exec_lo, s18
.LBB94_96:
	s_delay_alu instid0(SALU_CYCLE_1)
	s_or_b32 exec_lo, exec_lo, s17
	v_dual_mov_b32 v33, s25 :: v_dual_mov_b32 v36, s24
	v_cmp_eq_u16_e32 vcc_lo, 1, v40
	global_wb scope:SCOPE_DEV
	s_wait_storecnt_dscnt 0x0
	global_inv scope:SCOPE_DEV
	v_lshlrev_b32_e64 v42, v39, -1
	s_mov_b32 s17, exec_lo
	v_cndmask_b32_e32 v37, s27, v33, vcc_lo
	v_cndmask_b32_e32 v36, s26, v36, vcc_lo
	v_cmp_ne_u32_e32 vcc_lo, 31, v39
	v_add_co_ci_u32_e64 v33, null, 0, v39, vcc_lo
	v_cmp_eq_u16_e32 vcc_lo, 2, v40
	s_delay_alu instid0(VALU_DEP_2)
	v_lshlrev_b32_e32 v41, 2, v33
	v_lshl_add_u64 v[34:35], v[34:35], 4, v[36:37]
	s_clause 0x1
	global_load_u8 v52, v[34:35], off offset:8
	global_load_b64 v[36:37], v[34:35], off
	v_and_or_b32 v33, vcc_lo, v42, 0x80000000
	s_delay_alu instid0(VALU_DEP_1)
	v_ctz_i32_b32_e32 v33, v33
	s_wait_loadcnt 0x1
	s_wait_xcnt 0x0
	v_and_b32_e32 v34, 1, v52
	s_wait_loadcnt 0x0
	ds_bpermute_b32 v43, v41, v36
	ds_bpermute_b32 v44, v41, v37
	;; [unrolled: 1-line block ×3, first 2 shown]
	v_cmpx_lt_u32_e64 v39, v33
	s_cbranch_execz .LBB94_98
; %bb.97:
	v_and_b32_e32 v34, 0xff, v52
	s_wait_dscnt 0x0
	v_bitop3_b16 v52, v35, v52, 1 bitop3:0xec
	s_delay_alu instid0(VALU_DEP_2) | instskip(NEXT) | instid1(VALU_DEP_2)
	v_cmp_eq_u16_e32 vcc_lo, 0, v34
	v_and_b32_e32 v34, 0xff, v52
	v_dual_cndmask_b32 v45, 0, v44 :: v_dual_cndmask_b32 v44, 0, v43
	s_delay_alu instid0(VALU_DEP_1)
	v_add_nc_u64_e32 v[36:37], v[44:45], v[36:37]
.LBB94_98:
	s_or_b32 exec_lo, exec_lo, s17
	v_cmp_gt_u32_e32 vcc_lo, 30, v39
	s_wait_dscnt 0x1
	v_add_nc_u32_e32 v44, 2, v39
	s_mov_b32 s18, exec_lo
	s_wait_dscnt 0x0
	v_cndmask_b32_e64 v35, 0, 2, vcc_lo
	s_delay_alu instid0(VALU_DEP_1)
	v_add_lshl_u32 v43, v35, v39, 2
	ds_bpermute_b32 v35, v43, v36
	ds_bpermute_b32 v45, v43, v37
	ds_bpermute_b32 v46, v43, v34
	v_cmpx_le_u32_e64 v44, v33
	s_cbranch_execz .LBB94_100
; %bb.99:
	v_and_b32_e32 v34, 0xff, v52
	s_delay_alu instid0(VALU_DEP_1) | instskip(SKIP_4) | instid1(VALU_DEP_3)
	v_cmp_eq_u16_e32 vcc_lo, 0, v34
	v_and_b32_e32 v48, 1, v52
	s_wait_dscnt 0x0
	v_dual_cndmask_b32 v46, 0, v35, vcc_lo :: v_dual_bitop2_b32 v34, 1, v46 bitop3:0x40
	v_cndmask_b32_e32 v47, 0, v45, vcc_lo
	v_cmp_eq_u32_e64 s17, 1, v48
	s_delay_alu instid0(VALU_DEP_3) | instskip(NEXT) | instid1(VALU_DEP_3)
	v_cmp_eq_u32_e32 vcc_lo, 1, v34
	v_add_nc_u64_e32 v[36:37], v[46:47], v[36:37]
	s_or_b32 s17, s17, vcc_lo
	s_delay_alu instid0(SALU_CYCLE_1)
	v_cndmask_b32_e64 v52, 0, 1, s17
	v_cndmask_b32_e64 v34, 0, 1, s17
.LBB94_100:
	s_or_b32 exec_lo, exec_lo, s18
	v_cmp_gt_u32_e32 vcc_lo, 28, v39
	s_wait_dscnt 0x0
	v_add_nc_u32_e32 v46, 4, v39
	s_mov_b32 s18, exec_lo
	v_cndmask_b32_e64 v35, 0, 4, vcc_lo
	s_delay_alu instid0(VALU_DEP_1)
	v_add_lshl_u32 v45, v35, v39, 2
	ds_bpermute_b32 v35, v45, v36
	ds_bpermute_b32 v47, v45, v37
	;; [unrolled: 1-line block ×3, first 2 shown]
	v_cmpx_le_u32_e64 v46, v33
	s_cbranch_execz .LBB94_102
; %bb.101:
	v_and_b32_e32 v34, 0xff, v52
	s_delay_alu instid0(VALU_DEP_1) | instskip(SKIP_4) | instid1(VALU_DEP_3)
	v_cmp_eq_u16_e32 vcc_lo, 0, v34
	v_and_b32_e32 v50, 1, v52
	s_wait_dscnt 0x0
	v_dual_cndmask_b32 v48, 0, v35, vcc_lo :: v_dual_bitop2_b32 v34, 1, v48 bitop3:0x40
	v_cndmask_b32_e32 v49, 0, v47, vcc_lo
	v_cmp_eq_u32_e64 s17, 1, v50
	s_delay_alu instid0(VALU_DEP_3) | instskip(NEXT) | instid1(VALU_DEP_3)
	v_cmp_eq_u32_e32 vcc_lo, 1, v34
	v_add_nc_u64_e32 v[36:37], v[48:49], v[36:37]
	s_or_b32 s17, s17, vcc_lo
	s_delay_alu instid0(SALU_CYCLE_1)
	v_cndmask_b32_e64 v52, 0, 1, s17
	v_cndmask_b32_e64 v34, 0, 1, s17
.LBB94_102:
	s_or_b32 exec_lo, exec_lo, s18
	v_cmp_gt_u32_e32 vcc_lo, 24, v39
	s_wait_dscnt 0x0
	v_add_nc_u32_e32 v48, 8, v39
	s_mov_b32 s18, exec_lo
	v_cndmask_b32_e64 v35, 0, 8, vcc_lo
	s_delay_alu instid0(VALU_DEP_1)
	v_add_lshl_u32 v47, v35, v39, 2
	ds_bpermute_b32 v35, v47, v36
	ds_bpermute_b32 v49, v47, v37
	;; [unrolled: 1-line block ×3, first 2 shown]
	v_cmpx_le_u32_e64 v48, v33
	s_cbranch_execz .LBB94_104
; %bb.103:
	v_and_b32_e32 v34, 0xff, v52
	s_delay_alu instid0(VALU_DEP_1) | instskip(SKIP_4) | instid1(VALU_DEP_3)
	v_cmp_eq_u16_e32 vcc_lo, 0, v34
	v_and_b32_e32 v52, 1, v52
	s_wait_dscnt 0x0
	v_dual_cndmask_b32 v50, 0, v35, vcc_lo :: v_dual_bitop2_b32 v34, 1, v50 bitop3:0x40
	v_cndmask_b32_e32 v51, 0, v49, vcc_lo
	v_cmp_eq_u32_e64 s17, 1, v52
	s_delay_alu instid0(VALU_DEP_3) | instskip(NEXT) | instid1(VALU_DEP_3)
	v_cmp_eq_u32_e32 vcc_lo, 1, v34
	v_add_nc_u64_e32 v[36:37], v[50:51], v[36:37]
	s_or_b32 s17, s17, vcc_lo
	s_delay_alu instid0(SALU_CYCLE_1)
	v_cndmask_b32_e64 v52, 0, 1, s17
	v_cndmask_b32_e64 v34, 0, 1, s17
.LBB94_104:
	s_or_b32 exec_lo, exec_lo, s18
	s_wait_dscnt 0x1
	v_lshl_or_b32 v49, v39, 2, 64
	v_add_nc_u32_e32 v51, 16, v39
	s_mov_b32 s18, exec_lo
	ds_bpermute_b32 v35, v49, v36
	s_wait_dscnt 0x1
	ds_bpermute_b32 v50, v49, v37
	ds_bpermute_b32 v34, v49, v34
	v_cmpx_le_u32_e64 v51, v33
	s_cbranch_execz .LBB94_106
; %bb.105:
	v_and_b32_e32 v33, 0xff, v52
	s_delay_alu instid0(VALU_DEP_1) | instskip(SKIP_4) | instid1(VALU_DEP_3)
	v_cmp_eq_u16_e32 vcc_lo, 0, v33
	v_and_b32_e32 v33, 1, v52
	s_wait_dscnt 0x0
	v_dual_cndmask_b32 v52, 0, v35, vcc_lo :: v_dual_bitop2_b32 v34, 1, v34 bitop3:0x40
	v_cndmask_b32_e32 v53, 0, v50, vcc_lo
	v_cmp_eq_u32_e32 vcc_lo, 1, v33
	s_delay_alu instid0(VALU_DEP_3) | instskip(NEXT) | instid1(VALU_DEP_3)
	v_cmp_eq_u32_e64 s17, 1, v34
	v_add_nc_u64_e32 v[36:37], v[52:53], v[36:37]
	s_or_b32 s17, vcc_lo, s17
	s_delay_alu instid0(SALU_CYCLE_1)
	v_cndmask_b32_e64 v52, 0, 1, s17
.LBB94_106:
	s_or_b32 exec_lo, exec_lo, s18
	v_mov_b32_e32 v33, 0
	s_branch .LBB94_109
.LBB94_107:                             ;   in Loop: Header=BB94_109 Depth=1
	s_or_b32 exec_lo, exec_lo, s19
	v_and_b32_e32 v52, 0xff, v50
	v_subrev_nc_u32_e32 v32, 32, v32
	s_delay_alu instid0(VALU_DEP_2) | instskip(SKIP_2) | instid1(VALU_DEP_2)
	v_cmp_eq_u16_e32 vcc_lo, 0, v52
	v_dual_cndmask_b32 v37, 0, v37, vcc_lo :: v_dual_bitop2_b32 v52, 1, v50 bitop3:0x40
	v_cndmask_b32_e32 v36, 0, v36, vcc_lo
	v_cmp_eq_u32_e32 vcc_lo, 1, v52
	s_delay_alu instid0(VALU_DEP_2) | instskip(SKIP_1) | instid1(SALU_CYCLE_1)
	v_add_nc_u64_e32 v[36:37], v[36:37], v[34:35]
	s_or_b32 s17, vcc_lo, s18
	v_cndmask_b32_e64 v52, 0, 1, s17
	s_mov_b32 s17, 0
.LBB94_108:                             ;   in Loop: Header=BB94_109 Depth=1
	s_delay_alu instid0(SALU_CYCLE_1)
	s_and_b32 vcc_lo, exec_lo, s17
	s_cbranch_vccnz .LBB94_125
.LBB94_109:                             ; =>This Loop Header: Depth=1
                                        ;     Child Loop BB94_112 Depth 2
	s_wait_dscnt 0x0
	v_and_b32_e32 v34, 0xff, v40
	v_mov_b32_e32 v50, v52
	s_mov_b32 s17, -1
                                        ; implicit-def: $vgpr52
                                        ; implicit-def: $vgpr40
	s_delay_alu instid0(VALU_DEP_2)
	v_cmp_ne_u16_e32 vcc_lo, 2, v34
	v_mov_b64_e32 v[34:35], v[36:37]
                                        ; implicit-def: $vgpr36_vgpr37
	s_cmp_lg_u32 vcc_lo, exec_lo
	s_cbranch_scc1 .LBB94_108
; %bb.110:                              ;   in Loop: Header=BB94_109 Depth=1
	global_load_u8 v40, v32, s[28:29] scope:SCOPE_DEV
	s_mov_b32 s17, exec_lo
	s_wait_loadcnt 0x0
	v_cmpx_eq_u16_e32 0, v40
	s_cbranch_execz .LBB94_114
; %bb.111:                              ;   in Loop: Header=BB94_109 Depth=1
	v_add_nc_u64_e32 v[36:37], s[28:29], v[32:33]
	s_mov_b32 s18, 0
.LBB94_112:                             ;   Parent Loop BB94_109 Depth=1
                                        ; =>  This Inner Loop Header: Depth=2
	global_load_u8 v40, v[36:37], off scope:SCOPE_DEV
	s_wait_loadcnt 0x0
	v_cmp_ne_u16_e32 vcc_lo, 0, v40
	s_or_b32 s18, vcc_lo, s18
	s_delay_alu instid0(SALU_CYCLE_1)
	s_and_not1_b32 exec_lo, exec_lo, s18
	s_cbranch_execnz .LBB94_112
; %bb.113:                              ;   in Loop: Header=BB94_109 Depth=1
	s_or_b32 exec_lo, exec_lo, s18
.LBB94_114:                             ;   in Loop: Header=BB94_109 Depth=1
	s_delay_alu instid0(SALU_CYCLE_1)
	s_or_b32 exec_lo, exec_lo, s17
	v_dual_mov_b32 v36, s25 :: v_dual_mov_b32 v52, s24
	v_cmp_eq_u16_e32 vcc_lo, 1, v40
	global_wb scope:SCOPE_DEV
	s_wait_storecnt 0x0
	global_inv scope:SCOPE_DEV
	s_mov_b32 s17, exec_lo
	v_cndmask_b32_e32 v37, s27, v36, vcc_lo
	v_cndmask_b32_e32 v36, s26, v52, vcc_lo
	v_cmp_eq_u16_e32 vcc_lo, 2, v40
	s_delay_alu instid0(VALU_DEP_2)
	v_lshl_add_u64 v[54:55], v[32:33], 4, v[36:37]
	v_and_or_b32 v52, vcc_lo, v42, 0x80000000
	s_clause 0x1
	global_load_u8 v53, v[54:55], off offset:8
	global_load_b64 v[36:37], v[54:55], off
	v_ctz_i32_b32_e32 v52, v52
	s_wait_loadcnt 0x1
	s_wait_xcnt 0x0
	v_and_b32_e32 v54, 1, v53
	s_wait_loadcnt 0x0
	ds_bpermute_b32 v56, v41, v36
	ds_bpermute_b32 v57, v41, v37
	;; [unrolled: 1-line block ×3, first 2 shown]
	v_cmpx_lt_u32_e64 v39, v52
	s_cbranch_execz .LBB94_116
; %bb.115:                              ;   in Loop: Header=BB94_109 Depth=1
	v_and_b32_e32 v54, 0xff, v53
	s_wait_dscnt 0x0
	v_bitop3_b16 v53, v55, v53, 1 bitop3:0xec
	s_delay_alu instid0(VALU_DEP_2) | instskip(NEXT) | instid1(VALU_DEP_2)
	v_cmp_eq_u16_e32 vcc_lo, 0, v54
	v_and_b32_e32 v54, 0xff, v53
	v_dual_cndmask_b32 v57, 0, v57 :: v_dual_cndmask_b32 v56, 0, v56
	s_delay_alu instid0(VALU_DEP_1)
	v_add_nc_u64_e32 v[36:37], v[56:57], v[36:37]
.LBB94_116:                             ;   in Loop: Header=BB94_109 Depth=1
	s_or_b32 exec_lo, exec_lo, s17
	s_wait_dscnt 0x0
	ds_bpermute_b32 v55, v43, v36
	ds_bpermute_b32 v56, v43, v37
	;; [unrolled: 1-line block ×3, first 2 shown]
	v_and_b32_e32 v58, 1, v53
	s_mov_b32 s17, exec_lo
	s_delay_alu instid0(VALU_DEP_1)
	v_cmp_eq_u32_e64 s18, 1, v58
	v_cmpx_le_u32_e64 v44, v52
	s_cbranch_execz .LBB94_118
; %bb.117:                              ;   in Loop: Header=BB94_109 Depth=1
	v_and_b32_e32 v53, 0xff, v53
	s_delay_alu instid0(VALU_DEP_1) | instskip(SKIP_3) | instid1(VALU_DEP_2)
	v_cmp_eq_u16_e32 vcc_lo, 0, v53
	s_wait_dscnt 0x0
	v_dual_cndmask_b32 v57, 0, v56, vcc_lo :: v_dual_bitop2_b32 v53, 1, v57 bitop3:0x40
	v_cndmask_b32_e32 v56, 0, v55, vcc_lo
	v_cmp_eq_u32_e32 vcc_lo, 1, v53
	s_delay_alu instid0(VALU_DEP_2)
	v_add_nc_u64_e32 v[36:37], v[56:57], v[36:37]
	s_or_b32 s19, s18, vcc_lo
	s_and_not1_b32 s18, s18, exec_lo
	v_cndmask_b32_e64 v53, 0, 1, s19
	v_cndmask_b32_e64 v54, 0, 1, s19
	s_and_b32 s19, s19, exec_lo
	s_delay_alu instid0(SALU_CYCLE_1)
	s_or_b32 s18, s18, s19
.LBB94_118:                             ;   in Loop: Header=BB94_109 Depth=1
	s_or_b32 exec_lo, exec_lo, s17
	s_wait_dscnt 0x2
	ds_bpermute_b32 v55, v45, v36
	s_wait_dscnt 0x2
	ds_bpermute_b32 v56, v45, v37
	;; [unrolled: 2-line block ×3, first 2 shown]
	s_mov_b32 s19, exec_lo
	v_cmpx_le_u32_e64 v46, v52
	s_cbranch_execz .LBB94_120
; %bb.119:                              ;   in Loop: Header=BB94_109 Depth=1
	v_and_b32_e32 v54, 0xff, v53
	s_and_not1_b32 s18, s18, exec_lo
	s_delay_alu instid0(VALU_DEP_1) | instskip(SKIP_3) | instid1(VALU_DEP_2)
	v_cmp_eq_u16_e32 vcc_lo, 0, v54
	v_and_b32_e32 v53, 1, v53
	s_wait_dscnt 0x0
	v_dual_cndmask_b32 v57, 0, v56, vcc_lo :: v_dual_bitop2_b32 v54, 1, v57 bitop3:0x40
	v_cmp_eq_u32_e64 s17, 1, v53
	v_cndmask_b32_e32 v56, 0, v55, vcc_lo
	s_delay_alu instid0(VALU_DEP_3) | instskip(NEXT) | instid1(VALU_DEP_2)
	v_cmp_eq_u32_e32 vcc_lo, 1, v54
	v_add_nc_u64_e32 v[36:37], v[56:57], v[36:37]
	s_or_b32 s17, s17, vcc_lo
	s_delay_alu instid0(SALU_CYCLE_1) | instskip(SKIP_2) | instid1(SALU_CYCLE_1)
	v_cndmask_b32_e64 v53, 0, 1, s17
	v_cndmask_b32_e64 v54, 0, 1, s17
	s_and_b32 s17, s17, exec_lo
	s_or_b32 s18, s18, s17
.LBB94_120:                             ;   in Loop: Header=BB94_109 Depth=1
	s_or_b32 exec_lo, exec_lo, s19
	s_wait_dscnt 0x2
	ds_bpermute_b32 v55, v47, v36
	s_wait_dscnt 0x2
	ds_bpermute_b32 v56, v47, v37
	;; [unrolled: 2-line block ×3, first 2 shown]
	s_mov_b32 s19, exec_lo
	v_cmpx_le_u32_e64 v48, v52
	s_cbranch_execz .LBB94_122
; %bb.121:                              ;   in Loop: Header=BB94_109 Depth=1
	v_and_b32_e32 v54, 0xff, v53
	s_and_not1_b32 s18, s18, exec_lo
	s_delay_alu instid0(VALU_DEP_1) | instskip(SKIP_3) | instid1(VALU_DEP_2)
	v_cmp_eq_u16_e32 vcc_lo, 0, v54
	v_and_b32_e32 v53, 1, v53
	s_wait_dscnt 0x0
	v_dual_cndmask_b32 v57, 0, v56, vcc_lo :: v_dual_bitop2_b32 v54, 1, v57 bitop3:0x40
	v_cmp_eq_u32_e64 s17, 1, v53
	v_cndmask_b32_e32 v56, 0, v55, vcc_lo
	s_delay_alu instid0(VALU_DEP_3) | instskip(NEXT) | instid1(VALU_DEP_2)
	v_cmp_eq_u32_e32 vcc_lo, 1, v54
	v_add_nc_u64_e32 v[36:37], v[56:57], v[36:37]
	s_or_b32 s17, s17, vcc_lo
	s_delay_alu instid0(SALU_CYCLE_1) | instskip(SKIP_2) | instid1(SALU_CYCLE_1)
	v_cndmask_b32_e64 v53, 0, 1, s17
	v_cndmask_b32_e64 v54, 0, 1, s17
	s_and_b32 s17, s17, exec_lo
	s_or_b32 s18, s18, s17
.LBB94_122:                             ;   in Loop: Header=BB94_109 Depth=1
	s_or_b32 exec_lo, exec_lo, s19
	s_wait_dscnt 0x2
	ds_bpermute_b32 v55, v49, v36
	s_wait_dscnt 0x2
	ds_bpermute_b32 v56, v49, v37
	ds_bpermute_b32 v54, v49, v54
	s_mov_b32 s19, exec_lo
	v_cmpx_le_u32_e64 v51, v52
	s_cbranch_execz .LBB94_107
; %bb.123:                              ;   in Loop: Header=BB94_109 Depth=1
	v_and_b32_e32 v52, 0xff, v53
	s_and_not1_b32 s18, s18, exec_lo
	s_delay_alu instid0(VALU_DEP_1)
	v_cmp_eq_u16_e32 vcc_lo, 0, v52
	s_wait_dscnt 0x3
	v_and_b32_e32 v57, 1, v53
	s_wait_dscnt 0x0
	v_dual_cndmask_b32 v52, 0, v55, vcc_lo :: v_dual_bitop2_b32 v54, 1, v54 bitop3:0x40
	v_cndmask_b32_e32 v53, 0, v56, vcc_lo
	s_delay_alu instid0(VALU_DEP_3) | instskip(NEXT) | instid1(VALU_DEP_3)
	v_cmp_eq_u32_e32 vcc_lo, 1, v57
	v_cmp_eq_u32_e64 s17, 1, v54
	s_delay_alu instid0(VALU_DEP_3) | instskip(SKIP_1) | instid1(SALU_CYCLE_1)
	v_add_nc_u64_e32 v[36:37], v[52:53], v[36:37]
	s_or_b32 s17, vcc_lo, s17
	s_and_b32 s17, s17, exec_lo
	s_delay_alu instid0(SALU_CYCLE_1)
	s_or_b32 s18, s18, s17
	s_branch .LBB94_107
.LBB94_124:
                                        ; implicit-def: $vgpr58_vgpr59
                                        ; implicit-def: $vgpr54_vgpr55
                                        ; implicit-def: $vgpr50_vgpr51
                                        ; implicit-def: $vgpr46_vgpr47
                                        ; implicit-def: $vgpr42_vgpr43
                                        ; implicit-def: $vgpr38_vgpr39
                                        ; implicit-def: $vgpr34_vgpr35
	s_cbranch_execnz .LBB94_130
	s_branch .LBB94_149
.LBB94_125:
	s_and_saveexec_b32 s17, s16
	s_cbranch_execz .LBB94_127
; %bb.126:
	v_and_b32_e32 v32, 0xff, v38
	s_add_co_i32 s18, s40, 32
	s_mov_b32 s19, 0
	v_mov_b32_e32 v37, s18
	v_bitop3_b16 v36, v38, 1, v50 bitop3:0xc8
	v_cmp_eq_u32_e32 vcc_lo, 0, v32
	s_lshl_b64 s[22:23], s[18:19], 4
	s_delay_alu instid0(SALU_CYCLE_1) | instskip(SKIP_1) | instid1(VALU_DEP_1)
	s_add_nc_u64 s[18:19], s[26:27], s[22:23]
	v_dual_cndmask_b32 v33, 0, v35 :: v_dual_cndmask_b32 v32, 0, v34
	v_add_nc_u64_e32 v[16:17], v[32:33], v[16:17]
	v_dual_mov_b32 v32, 0 :: v_dual_mov_b32 v33, 2
	s_clause 0x1
	global_store_b64 v32, v[16:17], s[18:19]
	global_store_b8 v32, v36, s[18:19] offset:8
	global_wb scope:SCOPE_DEV
	s_wait_storecnt_dscnt 0x0
	global_inv scope:SCOPE_DEV
	s_wait_xcnt 0x0
	global_store_b8 v37, v33, s[28:29] scope:SCOPE_DEV
.LBB94_127:
	s_wait_xcnt 0x0
	s_or_b32 exec_lo, exec_lo, s17
	s_delay_alu instid0(SALU_CYCLE_1)
	s_and_b32 exec_lo, exec_lo, s15
	s_cbranch_execz .LBB94_129
; %bb.128:
	v_mov_b32_e32 v16, 0
	ds_store_b64 v16, v[34:35]
	ds_store_b8 v16, v50 offset:8
.LBB94_129:
	s_or_b32 exec_lo, exec_lo, s21
	v_dual_mov_b32 v17, 0 :: v_dual_bitop2_b32 v16, 1, v1 bitop3:0x40
	s_wait_storecnt 0x0
	s_wait_loadcnt_dscnt 0x0
	s_barrier_signal -1
	s_barrier_wait -1
	v_cmp_eq_u32_e32 vcc_lo, 1, v16
	v_and_b32_e32 v32, 0xff, v1
	ds_load_b64 v[16:17], v17
	s_or_b32 s16, vcc_lo, s20
	v_cmp_eq_u16_e32 vcc_lo, 0, v32
	v_cndmask_b32_e64 v33, 0, 1, s16
	v_cndmask_b32_e32 v5, 0, v5, vcc_lo
	s_delay_alu instid0(VALU_DEP_2) | instskip(NEXT) | instid1(VALU_DEP_1)
	v_dual_cndmask_b32 v32, v33, v1, s15 :: v_dual_cndmask_b32 v4, 0, v4, vcc_lo
	v_and_b32_e32 v32, 0xff, v32
	s_delay_alu instid0(VALU_DEP_2) | instskip(NEXT) | instid1(VALU_DEP_2)
	v_cndmask_b32_e64 v4, v4, 0, s15
	v_cmp_eq_u16_e32 vcc_lo, 0, v32
	s_wait_dscnt 0x0
	v_cndmask_b32_e32 v16, 0, v16, vcc_lo
	v_cndmask_b32_e64 v5, v5, 0, s15
	v_cndmask_b32_e32 v17, 0, v17, vcc_lo
	s_delay_alu instid0(VALU_DEP_2) | instskip(NEXT) | instid1(VALU_DEP_1)
	v_add_nc_u64_e32 v[4:5], v[4:5], v[2:3]
	v_add_nc_u64_e32 v[32:33], v[4:5], v[16:17]
	s_delay_alu instid0(VALU_DEP_1) | instskip(NEXT) | instid1(VALU_DEP_1)
	v_dual_cndmask_b32 v5, 0, v33, s3 :: v_dual_cndmask_b32 v4, 0, v32, s3
	v_add_nc_u64_e32 v[34:35], v[4:5], v[6:7]
	s_delay_alu instid0(VALU_DEP_1) | instskip(NEXT) | instid1(VALU_DEP_1)
	v_dual_cndmask_b32 v5, 0, v35, s4 :: v_dual_cndmask_b32 v4, 0, v34, s4
	;; [unrolled: 3-line block ×13, first 2 shown]
	v_add_nc_u64_e32 v[58:59], v[4:5], v[8:9]
	s_branch .LBB94_149
.LBB94_130:
	s_cmp_lg_u64 s[44:45], 0
	v_cmp_eq_u32_e32 vcc_lo, 0, v0
	s_cselect_b32 s3, -1, 0
	s_cmp_lg_u64 s[38:39], 0
	v_cmp_ne_u32_e64 s2, 0, v0
	s_cselect_b32 s4, -1, 0
	s_delay_alu instid0(SALU_CYCLE_1) | instskip(NEXT) | instid1(SALU_CYCLE_1)
	s_and_b32 s3, s3, s4
	s_and_b32 s3, vcc_lo, s3
	s_delay_alu instid0(SALU_CYCLE_1)
	s_and_saveexec_b32 s4, s3
	s_cbranch_execz .LBB94_132
; %bb.131:
	v_mov_b32_e32 v16, 0
	s_clause 0x1
	global_load_b64 v[4:5], v16, s[38:39]
	global_load_u8 v17, v16, s[38:39] offset:8
	s_wait_xcnt 0x0
	v_and_b32_e32 v16, 0xff, v1
	s_delay_alu instid0(VALU_DEP_1) | instskip(SKIP_1) | instid1(VALU_DEP_1)
	v_cmp_eq_u16_e64 s3, 0, v16
	s_wait_loadcnt 0x1
	v_dual_cndmask_b32 v5, 0, v5, s3 :: v_dual_cndmask_b32 v4, 0, v4, s3
	s_wait_loadcnt 0x0
	v_bitop3_b16 v1, v1, 1, v17 bitop3:0xc8
	s_delay_alu instid0(VALU_DEP_2)
	v_add_nc_u64_e32 v[2:3], v[4:5], v[2:3]
.LBB94_132:
	s_or_b32 exec_lo, exec_lo, s4
	v_cmp_eq_u16_e64 s3, 0, v82
	v_cmp_eq_u16_e64 s4, 0, v81
	;; [unrolled: 1-line block ×5, first 2 shown]
	v_dual_cndmask_b32 v5, 0, v3, s3 :: v_dual_cndmask_b32 v4, 0, v2, s3
	v_cmp_eq_u16_e64 s8, 0, v77
	v_cmp_eq_u16_e64 s9, 0, v76
	;; [unrolled: 1-line block ×4, first 2 shown]
	v_add_nc_u64_e32 v[34:35], v[4:5], v[6:7]
	v_cmp_eq_u16_e64 s12, 0, v73
	v_cmp_eq_u16_e64 s13, 0, v72
	;; [unrolled: 1-line block ×3, first 2 shown]
	v_cmp_ne_u16_e64 s21, 0, v70
	v_cmp_eq_u32_e64 s22, 1, v62
	v_bitop3_b16 v16, v1, 0xff, v88 bitop3:0xc8
	v_dual_cndmask_b32 v5, 0, v35, s4 :: v_dual_cndmask_b32 v4, 0, v34, s4
	v_cmp_ne_u16_e64 s19, 0, v69
	v_cmp_eq_u32_e64 s20, 1, v63
	v_cmp_ne_u16_e64 s23, 0, v67
	v_cmp_eq_u16_e64 s15, 0, v61
	v_add_nc_u64_e32 v[36:37], v[4:5], v[12:13]
	v_cmp_ne_u16_e64 s17, 0, v68
	v_cmp_eq_u32_e64 s18, 1, v64
	s_or_b32 s21, s21, s22
	v_cmp_eq_u32_e64 s16, 1, v66
	v_cmp_ne_u16_e64 s24, 0, v16
	s_or_b32 s19, s19, s20
	v_dual_cndmask_b32 v5, 0, v37, s5 :: v_dual_cndmask_b32 v4, 0, v36, s5
	s_or_b32 s20, s23, s21
	s_or_b32 s17, s17, s18
	;; [unrolled: 1-line block ×3, first 2 shown]
	v_and_b32_e32 v17, 0x70, v65
	v_add_nc_u64_e32 v[38:39], v[4:5], v[10:11]
	s_or_b32 s16, s24, s16
	s_or_b32 s17, s18, s17
	s_mov_b32 s19, exec_lo
	s_or_b32 s16, s17, s16
	s_delay_alu instid0(SALU_CYCLE_1) | instskip(NEXT) | instid1(VALU_DEP_2)
	v_cndmask_b32_e64 v33, 0, 1, s16
	v_dual_cndmask_b32 v5, 0, v39, s6 :: v_dual_cndmask_b32 v4, 0, v38, s6
	s_delay_alu instid0(VALU_DEP_1) | instskip(NEXT) | instid1(VALU_DEP_1)
	v_add_nc_u64_e32 v[40:41], v[4:5], v[20:21]
	v_dual_cndmask_b32 v5, 0, v41, s7 :: v_dual_cndmask_b32 v4, 0, v40, s7
	s_delay_alu instid0(VALU_DEP_1) | instskip(NEXT) | instid1(VALU_DEP_1)
	v_add_nc_u64_e32 v[42:43], v[4:5], v[18:19]
	;; [unrolled: 3-line block ×9, first 2 shown]
	v_dual_cndmask_b32 v5, 0, v57, s15 :: v_dual_cndmask_b32 v4, 0, v56, s15
	s_delay_alu instid0(VALU_DEP_1)
	v_add_nc_u64_e32 v[58:59], v[4:5], v[8:9]
	v_lshl_add_u32 v4, v0, 4, v17
	ds_store_b64 v4, v[58:59]
	ds_store_b8 v4, v33 offset:8
	s_wait_dscnt 0x0
	s_barrier_signal -1
	s_barrier_wait -1
	v_cmpx_gt_u32_e32 32, v0
	s_cbranch_execz .LBB94_144
; %bb.133:
	v_dual_lshlrev_b32 v4, 2, v0 :: v_dual_lshlrev_b32 v5, 7, v0
	s_delay_alu instid0(VALU_DEP_1) | instskip(NEXT) | instid1(VALU_DEP_1)
	v_and_b32_e32 v4, 0x3f0, v4
	v_add_nc_u32_e32 v32, v4, v5
	ds_load_u8 v70, v32 offset:24
	ds_load_b64 v[4:5], v32
	ds_load_2addr_b64 v[62:65], v32 offset0:2 offset1:4
	ds_load_u8 v71, v32 offset:40
	ds_load_b32 v61, v32 offset:8
	ds_load_u8 v72, v32 offset:56
	ds_load_u8 v73, v32 offset:72
	;; [unrolled: 1-line block ×4, first 2 shown]
	s_wait_dscnt 0x8
	v_cmp_eq_u16_e64 s16, 0, v70
	s_wait_dscnt 0x7
	s_delay_alu instid0(VALU_DEP_1) | instskip(SKIP_4) | instid1(VALU_DEP_1)
	v_dual_cndmask_b32 v17, 0, v5, s16 :: v_dual_cndmask_b32 v16, 0, v4, s16
	s_wait_dscnt 0x5
	v_cmp_eq_u16_e64 s16, 0, v71
	ds_load_2addr_b64 v[66:69], v32 offset0:6 offset1:8
	v_add_nc_u64_e32 v[16:17], v[16:17], v[62:63]
	v_dual_cndmask_b32 v17, 0, v17, s16 :: v_dual_cndmask_b32 v16, 0, v16, s16
	s_wait_dscnt 0x4
	v_cmp_eq_u16_e64 s16, 0, v72
	s_delay_alu instid0(VALU_DEP_2)
	v_add_nc_u64_e32 v[16:17], v[16:17], v[64:65]
	ds_load_2addr_b64 v[62:65], v32 offset0:10 offset1:12
	ds_load_u8 v76, v32 offset:120
	v_dual_cndmask_b32 v17, 0, v17, s16 :: v_dual_cndmask_b32 v16, 0, v16, s16
	s_wait_dscnt 0x5
	v_cmp_eq_u16_e64 s16, 0, v73
	s_wait_dscnt 0x2
	s_delay_alu instid0(VALU_DEP_2) | instskip(SKIP_2) | instid1(VALU_DEP_3)
	v_add_nc_u64_e32 v[16:17], v[16:17], v[66:67]
	v_bitop3_b16 v66, v71, v72, v70 bitop3:0xfe
	v_bitop3_b16 v67, v74, v75, v73 bitop3:0xfe
	v_dual_cndmask_b32 v17, 0, v17, s16 :: v_dual_cndmask_b32 v16, 0, v16, s16
	v_cmp_eq_u16_e64 s16, 0, v74
	s_wait_dscnt 0x0
	v_cmp_eq_u16_e64 s18, 0, v76
	s_delay_alu instid0(VALU_DEP_3) | instskip(NEXT) | instid1(VALU_DEP_1)
	v_add_nc_u64_e32 v[16:17], v[16:17], v[68:69]
	v_dual_cndmask_b32 v17, 0, v17, s16 :: v_dual_cndmask_b32 v16, 0, v16, s16
	v_cmp_eq_u16_e64 s16, 0, v75
	s_delay_alu instid0(VALU_DEP_2)
	v_add_nc_u64_e32 v[16:17], v[16:17], v[62:63]
	v_bitop3_b16 v62, v76, v66, v67 bitop3:0xfe
	ds_load_b64 v[66:67], v32 offset:112
	v_and_b32_e32 v63, 1, v61
	v_dual_cndmask_b32 v17, 0, v17, s16 :: v_dual_bitop2_b32 v62, 1, v62 bitop3:0x40
	v_cndmask_b32_e64 v16, 0, v16, s16
	s_delay_alu instid0(VALU_DEP_3) | instskip(SKIP_1) | instid1(VALU_DEP_4)
	v_cmp_eq_u32_e64 s16, 1, v63
	v_mbcnt_lo_u32_b32 v63, -1, 0
	v_cmp_eq_u32_e64 s17, 1, v62
	v_and_b32_e32 v62, 0xffffff00, v61
	v_add_nc_u64_e32 v[16:17], v[16:17], v[64:65]
	s_or_b32 s17, s17, s16
	s_delay_alu instid0(SALU_CYCLE_1) | instskip(SKIP_1) | instid1(VALU_DEP_3)
	v_cndmask_b32_e64 v65, 0, 1, s17
	v_cndmask_b32_e64 v64, 0, 1, s17
	v_dual_cndmask_b32 v17, 0, v17, s18 :: v_dual_cndmask_b32 v16, 0, v16, s18
	s_mov_b32 s18, exec_lo
	s_wait_dscnt 0x0
	s_delay_alu instid0(VALU_DEP_1) | instskip(SKIP_2) | instid1(VALU_DEP_2)
	v_add_nc_u64_e32 v[16:17], v[16:17], v[66:67]
	v_or_b32_e32 v66, v62, v65
	v_and_b32_e32 v65, 15, v63
	v_mov_b32_dpp v68, v66 row_shr:1 row_mask:0xf bank_mask:0xf
	s_delay_alu instid0(VALU_DEP_4) | instskip(SKIP_1) | instid1(VALU_DEP_4)
	v_mov_b32_dpp v67, v16 row_shr:1 row_mask:0xf bank_mask:0xf
	v_mov_b32_dpp v69, v17 row_shr:1 row_mask:0xf bank_mask:0xf
	v_cmpx_ne_u32_e32 0, v65
; %bb.134:
	s_delay_alu instid0(VALU_DEP_4) | instskip(NEXT) | instid1(VALU_DEP_3)
	v_bitop3_b16 v64, v68, v64, 1 bitop3:0xec
	v_cndmask_b32_e64 v69, v69, 0, s17
	v_cndmask_b32_e64 v68, v67, 0, s17
	s_delay_alu instid0(VALU_DEP_3) | instskip(NEXT) | instid1(VALU_DEP_2)
	v_and_b32_e32 v66, 0xffff, v64
	v_add_nc_u64_e32 v[16:17], v[68:69], v[16:17]
	s_delay_alu instid0(VALU_DEP_2)
	v_or_b32_e32 v66, v62, v66
; %bb.135:
	s_or_b32 exec_lo, exec_lo, s18
	s_delay_alu instid0(VALU_DEP_2) | instskip(NEXT) | instid1(VALU_DEP_3)
	v_mov_b32_dpp v67, v16 row_shr:2 row_mask:0xf bank_mask:0xf
	v_mov_b32_dpp v68, v17 row_shr:2 row_mask:0xf bank_mask:0xf
	s_delay_alu instid0(VALU_DEP_3)
	v_mov_b32_dpp v69, v66 row_shr:2 row_mask:0xf bank_mask:0xf
	s_mov_b32 s20, exec_lo
	v_cmpx_lt_u32_e32 1, v65
	s_cbranch_execz .LBB94_137
; %bb.136:
	s_delay_alu instid0(VALU_DEP_2) | instskip(SKIP_2) | instid1(VALU_DEP_3)
	v_and_b32_e32 v69, 1, v69
	v_cmp_eq_u16_e64 s16, 0, v64
	v_and_b32_e32 v66, 1, v64
	v_cmp_eq_u32_e64 s18, 1, v69
	s_delay_alu instid0(VALU_DEP_3) | instskip(NEXT) | instid1(VALU_DEP_3)
	v_dual_cndmask_b32 v69, 0, v68, s16 :: v_dual_cndmask_b32 v68, 0, v67, s16
	v_cmp_eq_u32_e64 s17, 1, v66
	s_or_b32 s16, s17, s18
	s_delay_alu instid0(SALU_CYCLE_1) | instskip(SKIP_1) | instid1(VALU_DEP_2)
	v_cndmask_b32_e64 v66, 0, 1, s16
	v_cndmask_b32_e64 v64, 0, 1, s16
	v_or_b32_e32 v66, v62, v66
	v_add_nc_u64_e32 v[16:17], v[68:69], v[16:17]
.LBB94_137:
	s_or_b32 exec_lo, exec_lo, s20
	s_delay_alu instid0(VALU_DEP_1) | instskip(NEXT) | instid1(VALU_DEP_2)
	v_mov_b32_dpp v67, v16 row_shr:4 row_mask:0xf bank_mask:0xf
	v_mov_b32_dpp v68, v17 row_shr:4 row_mask:0xf bank_mask:0xf
	;; [unrolled: 1-line block ×3, first 2 shown]
	s_mov_b32 s20, exec_lo
	v_cmpx_lt_u32_e32 3, v65
	s_cbranch_execz .LBB94_139
; %bb.138:
	s_delay_alu instid0(VALU_DEP_2) | instskip(SKIP_2) | instid1(VALU_DEP_3)
	v_and_b32_e32 v69, 1, v69
	v_cmp_eq_u16_e64 s16, 0, v64
	v_and_b32_e32 v66, 1, v64
	v_cmp_eq_u32_e64 s18, 1, v69
	s_delay_alu instid0(VALU_DEP_3) | instskip(NEXT) | instid1(VALU_DEP_3)
	v_dual_cndmask_b32 v69, 0, v68, s16 :: v_dual_cndmask_b32 v68, 0, v67, s16
	v_cmp_eq_u32_e64 s17, 1, v66
	s_or_b32 s16, s17, s18
	s_delay_alu instid0(SALU_CYCLE_1) | instskip(SKIP_1) | instid1(VALU_DEP_2)
	v_cndmask_b32_e64 v66, 0, 1, s16
	v_cndmask_b32_e64 v64, 0, 1, s16
	v_or_b32_e32 v66, v62, v66
	v_add_nc_u64_e32 v[16:17], v[68:69], v[16:17]
.LBB94_139:
	s_or_b32 exec_lo, exec_lo, s20
	s_delay_alu instid0(VALU_DEP_1) | instskip(NEXT) | instid1(VALU_DEP_2)
	v_mov_b32_dpp v67, v16 row_shr:8 row_mask:0xf bank_mask:0xf
	v_mov_b32_dpp v68, v17 row_shr:8 row_mask:0xf bank_mask:0xf
	;; [unrolled: 1-line block ×3, first 2 shown]
	s_mov_b32 s20, exec_lo
	v_cmpx_lt_u32_e32 7, v65
	s_cbranch_execz .LBB94_141
; %bb.140:
	v_cmp_eq_u16_e64 s16, 0, v64
	v_and_b32_e32 v65, 1, v64
	s_delay_alu instid0(VALU_DEP_2) | instskip(SKIP_1) | instid1(VALU_DEP_3)
	v_dual_cndmask_b32 v69, 0, v68, s16 :: v_dual_bitop2_b32 v66, 1, v69 bitop3:0x40
	v_cndmask_b32_e64 v68, 0, v67, s16
	v_cmp_eq_u32_e64 s17, 1, v65
	s_delay_alu instid0(VALU_DEP_3) | instskip(NEXT) | instid1(VALU_DEP_3)
	v_cmp_eq_u32_e64 s18, 1, v66
	v_add_nc_u64_e32 v[16:17], v[68:69], v[16:17]
	s_or_b32 s16, s17, s18
	s_delay_alu instid0(SALU_CYCLE_1) | instskip(SKIP_1) | instid1(VALU_DEP_2)
	v_cndmask_b32_e64 v65, 0, 1, s16
	v_cndmask_b32_e64 v64, 0, 1, s16
	v_or_b32_e32 v66, v62, v65
.LBB94_141:
	s_or_b32 exec_lo, exec_lo, s20
	ds_swizzle_b32 v65, v16 offset:swizzle(BROADCAST,32,15)
	ds_swizzle_b32 v67, v17 offset:swizzle(BROADCAST,32,15)
	;; [unrolled: 1-line block ×3, first 2 shown]
	v_and_b32_e32 v68, 16, v63
	s_mov_b32 s18, exec_lo
	s_delay_alu instid0(VALU_DEP_1)
	v_cmpx_ne_u32_e32 0, v68
	s_cbranch_execz .LBB94_143
; %bb.142:
	v_cmp_eq_u16_e64 s16, 0, v64
	v_and_b32_e32 v64, 1, v64
	s_wait_dscnt 0x0
	s_delay_alu instid0(VALU_DEP_2) | instskip(SKIP_1) | instid1(VALU_DEP_3)
	v_dual_cndmask_b32 v66, 0, v65, s16 :: v_dual_bitop2_b32 v68, 1, v66 bitop3:0x40
	v_cndmask_b32_e64 v67, 0, v67, s16
	v_cmp_eq_u32_e64 s16, 1, v64
	s_delay_alu instid0(VALU_DEP_3) | instskip(NEXT) | instid1(VALU_DEP_3)
	v_cmp_eq_u32_e64 s17, 1, v68
	v_add_nc_u64_e32 v[16:17], v[66:67], v[16:17]
	s_or_b32 s16, s16, s17
	s_delay_alu instid0(SALU_CYCLE_1)
	v_cndmask_b32_e64 v64, 0, 1, s16
.LBB94_143:
	s_or_b32 exec_lo, exec_lo, s18
	s_wait_dscnt 0x2
	v_add_nc_u32_e32 v65, -1, v63
	s_delay_alu instid0(VALU_DEP_2) | instskip(NEXT) | instid1(VALU_DEP_2)
	v_and_b32_e32 v64, 0xffff, v64
	; wave barrier
	v_cmp_gt_i32_e64 s16, 0, v65
	s_delay_alu instid0(VALU_DEP_1) | instskip(NEXT) | instid1(VALU_DEP_1)
	v_dual_cndmask_b32 v63, v65, v63, s16 :: v_dual_bitop2_b32 v62, v62, v64 bitop3:0x54
	v_lshlrev_b32_e32 v63, 2, v63
	ds_bpermute_b32 v17, v63, v17
	ds_bpermute_b32 v16, v63, v16
	;; [unrolled: 1-line block ×3, first 2 shown]
	v_and_b32_e32 v63, 0xff, v61
	s_delay_alu instid0(VALU_DEP_1) | instskip(SKIP_1) | instid1(VALU_DEP_1)
	v_cmp_eq_u32_e64 s16, 0, v63
	s_wait_dscnt 0x1
	v_dual_cndmask_b32 v17, 0, v17, s16 :: v_dual_cndmask_b32 v16, 0, v16, s16
	s_delay_alu instid0(VALU_DEP_1) | instskip(SKIP_1) | instid1(VALU_DEP_1)
	v_add_nc_u64_e32 v[4:5], v[16:17], v[4:5]
	s_wait_dscnt 0x0
	v_dual_cndmask_b32 v5, v5, v59, vcc_lo :: v_dual_bitop2_b32 v61, v62, v61 bitop3:0x54
	s_delay_alu instid0(VALU_DEP_1) | instskip(NEXT) | instid1(VALU_DEP_1)
	v_dual_cndmask_b32 v4, v4, v58, vcc_lo :: v_dual_bitop2_b32 v16, 1, v61 bitop3:0x40
	v_cndmask_b32_e32 v33, v16, v33, vcc_lo
	ds_store_b64 v32, v[4:5]
	ds_store_b8 v32, v33 offset:8
	; wave barrier
	ds_load_u8 v61, v32 offset:24
	ds_load_2addr_b64 v[62:65], v32 offset0:2 offset1:4
	ds_load_u8 v74, v32 offset:40
	ds_load_u8 v75, v32 offset:56
	;; [unrolled: 1-line block ×5, first 2 shown]
	ds_load_b64 v[16:17], v32 offset:112
	ds_load_u8 v79, v32 offset:120
	s_wait_dscnt 0x8
	v_and_b32_e32 v66, 0xff, v61
	s_wait_dscnt 0x5
	v_and_b32_e32 v72, 0xff, v75
	s_delay_alu instid0(VALU_DEP_2) | instskip(SKIP_3) | instid1(VALU_DEP_3)
	v_cmp_eq_u16_e64 s16, 0, v66
	v_and_b32_e32 v66, 0xff, v74
	s_wait_dscnt 0x3
	v_and_b32_e32 v80, 0xff, v77
	v_dual_cndmask_b32 v5, 0, v5, s16 :: v_dual_cndmask_b32 v4, 0, v4, s16
	s_delay_alu instid0(VALU_DEP_3) | instskip(SKIP_3) | instid1(VALU_DEP_1)
	v_cmp_eq_u16_e64 s16, 0, v66
	ds_load_2addr_b64 v[66:69], v32 offset0:6 offset1:8
	v_bitop3_b16 v81, v61, 1, v33 bitop3:0xc8
	v_add_nc_u64_e32 v[4:5], v[4:5], v[62:63]
	v_dual_cndmask_b32 v63, 0, v5, s16 :: v_dual_cndmask_b32 v62, 0, v4, s16
	v_cmp_eq_u16_e64 s16, 0, v72
	s_delay_alu instid0(VALU_DEP_2) | instskip(SKIP_1) | instid1(VALU_DEP_2)
	v_add_nc_u64_e32 v[70:71], v[62:63], v[64:65]
	v_and_b32_e32 v64, 0xff, v76
	v_dual_cndmask_b32 v63, 0, v71, s16 :: v_dual_cndmask_b32 v62, 0, v70, s16
	s_delay_alu instid0(VALU_DEP_2) | instskip(SKIP_1) | instid1(VALU_DEP_2)
	v_cmp_eq_u16_e64 s16, 0, v64
	s_wait_dscnt 0x0
	v_add_nc_u64_e32 v[66:67], v[62:63], v[66:67]
	ds_load_2addr_b64 v[62:65], v32 offset0:10 offset1:12
	v_dual_cndmask_b32 v73, 0, v67, s16 :: v_dual_cndmask_b32 v72, 0, v66, s16
	v_cmp_eq_u16_e64 s16, 0, v80
	v_and_b32_e32 v80, 0xff, v78
	s_delay_alu instid0(VALU_DEP_3) | instskip(NEXT) | instid1(VALU_DEP_1)
	v_add_nc_u64_e32 v[68:69], v[72:73], v[68:69]
	v_dual_cndmask_b32 v73, 0, v69, s16 :: v_dual_cndmask_b32 v72, 0, v68, s16
	s_delay_alu instid0(VALU_DEP_3) | instskip(SKIP_1) | instid1(VALU_DEP_2)
	v_cmp_eq_u16_e64 s16, 0, v80
	s_wait_dscnt 0x0
	v_add_nc_u64_e32 v[62:63], v[72:73], v[62:63]
	v_or_b32_e32 v80, v61, v33
	v_bitop3_b16 v33, v74, v61, v33 bitop3:0xfe
	s_delay_alu instid0(VALU_DEP_3) | instskip(NEXT) | instid1(VALU_DEP_3)
	v_dual_cndmask_b32 v73, 0, v63, s16 :: v_dual_cndmask_b32 v72, 0, v62, s16
	v_bitop3_b16 v61, v75, v74, v80 bitop3:0xfe
	v_cmp_eq_u16_e64 s16, 0, v79
	v_bitop3_b16 v74, v74, 1, v80 bitop3:0xc8
	v_bitop3_b16 v80, v75, 1, v33 bitop3:0xc8
	v_add_nc_u64_e32 v[64:65], v[72:73], v[64:65]
	v_bitop3_b16 v72, v77, v76, v61 bitop3:0xfe
	v_bitop3_b16 v33, v76, v75, v33 bitop3:0xfe
	;; [unrolled: 1-line block ×3, first 2 shown]
	ds_store_2addr_b64 v32, v[4:5], v[70:71] offset0:2 offset1:4
	ds_store_2addr_b64 v32, v[66:67], v[68:69] offset0:6 offset1:8
	;; [unrolled: 1-line block ×3, first 2 shown]
	v_bitop3_b16 v76, v78, 1, v72 bitop3:0xc8
	v_dual_cndmask_b32 v73, 0, v65, s16 :: v_dual_cndmask_b32 v72, 0, v64, s16
	v_bitop3_b16 v75, v78, v77, v33 bitop3:0xfe
	v_bitop3_b16 v33, v77, 1, v33 bitop3:0xc8
	s_delay_alu instid0(VALU_DEP_3) | instskip(NEXT) | instid1(VALU_DEP_3)
	v_add_nc_u64_e32 v[4:5], v[72:73], v[16:17]
	v_bitop3_b16 v75, v79, 1, v75 bitop3:0xc8
	ds_store_b8 v32, v81 offset:24
	ds_store_b8 v32, v74 offset:40
	;; [unrolled: 1-line block ×6, first 2 shown]
	ds_store_b64 v32, v[4:5] offset:112
	ds_store_b8 v32, v75 offset:120
.LBB94_144:
	s_or_b32 exec_lo, exec_lo, s19
	s_wait_dscnt 0x0
	s_barrier_signal -1
	s_barrier_wait -1
	s_and_saveexec_b32 s16, s2
	s_cbranch_execz .LBB94_146
; %bb.145:
	v_and_b32_e32 v1, 0xff, v1
	s_delay_alu instid0(VALU_DEP_1) | instskip(SKIP_1) | instid1(VALU_DEP_1)
	v_cmp_eq_u16_e64 s2, 0, v1
	v_add_nc_u32_e32 v4, -1, v0
	v_lshrrev_b32_e32 v5, 1, v4
	s_delay_alu instid0(VALU_DEP_1) | instskip(NEXT) | instid1(VALU_DEP_1)
	v_and_b32_e32 v5, 0x7ffffff0, v5
	v_lshl_add_u32 v4, v4, 4, v5
	ds_load_b64 v[4:5], v4
	;;#ASMSTART
	;;#ASMEND
	s_wait_dscnt 0x0
	v_dual_cndmask_b32 v5, 0, v5, s2 :: v_dual_cndmask_b32 v4, 0, v4, s2
	s_delay_alu instid0(VALU_DEP_1) | instskip(NEXT) | instid1(VALU_DEP_1)
	v_add_nc_u64_e32 v[2:3], v[4:5], v[2:3]
	v_dual_cndmask_b32 v5, 0, v3, s3 :: v_dual_cndmask_b32 v4, 0, v2, s3
	s_delay_alu instid0(VALU_DEP_1) | instskip(NEXT) | instid1(VALU_DEP_1)
	v_add_nc_u64_e32 v[34:35], v[4:5], v[6:7]
	v_dual_cndmask_b32 v5, 0, v35, s4 :: v_dual_cndmask_b32 v4, 0, v34, s4
	s_delay_alu instid0(VALU_DEP_1) | instskip(NEXT) | instid1(VALU_DEP_1)
	v_add_nc_u64_e32 v[36:37], v[4:5], v[12:13]
	v_dual_cndmask_b32 v5, 0, v37, s5 :: v_dual_cndmask_b32 v4, 0, v36, s5
	s_delay_alu instid0(VALU_DEP_1) | instskip(NEXT) | instid1(VALU_DEP_1)
	v_add_nc_u64_e32 v[38:39], v[4:5], v[10:11]
	v_dual_cndmask_b32 v5, 0, v39, s6 :: v_dual_cndmask_b32 v4, 0, v38, s6
	s_delay_alu instid0(VALU_DEP_1) | instskip(NEXT) | instid1(VALU_DEP_1)
	v_add_nc_u64_e32 v[40:41], v[4:5], v[20:21]
	v_dual_cndmask_b32 v5, 0, v41, s7 :: v_dual_cndmask_b32 v4, 0, v40, s7
	s_delay_alu instid0(VALU_DEP_1) | instskip(NEXT) | instid1(VALU_DEP_1)
	v_add_nc_u64_e32 v[42:43], v[4:5], v[18:19]
	v_dual_cndmask_b32 v5, 0, v43, s8 :: v_dual_cndmask_b32 v4, 0, v42, s8
	s_delay_alu instid0(VALU_DEP_1) | instskip(NEXT) | instid1(VALU_DEP_1)
	v_add_nc_u64_e32 v[44:45], v[4:5], v[24:25]
	v_dual_cndmask_b32 v5, 0, v45, s9 :: v_dual_cndmask_b32 v4, 0, v44, s9
	s_delay_alu instid0(VALU_DEP_1) | instskip(NEXT) | instid1(VALU_DEP_1)
	v_add_nc_u64_e32 v[46:47], v[4:5], v[22:23]
	v_dual_cndmask_b32 v5, 0, v47, s10 :: v_dual_cndmask_b32 v4, 0, v46, s10
	s_delay_alu instid0(VALU_DEP_1) | instskip(NEXT) | instid1(VALU_DEP_1)
	v_add_nc_u64_e32 v[48:49], v[4:5], v[28:29]
	v_dual_cndmask_b32 v5, 0, v49, s11 :: v_dual_cndmask_b32 v4, 0, v48, s11
	s_delay_alu instid0(VALU_DEP_1) | instskip(NEXT) | instid1(VALU_DEP_1)
	v_add_nc_u64_e32 v[50:51], v[4:5], v[26:27]
	v_dual_cndmask_b32 v5, 0, v51, s12 :: v_dual_cndmask_b32 v4, 0, v50, s12
	s_delay_alu instid0(VALU_DEP_1) | instskip(NEXT) | instid1(VALU_DEP_1)
	v_add_nc_u64_e32 v[52:53], v[4:5], v[84:85]
	v_dual_cndmask_b32 v5, 0, v53, s13 :: v_dual_cndmask_b32 v4, 0, v52, s13
	s_delay_alu instid0(VALU_DEP_1) | instskip(NEXT) | instid1(VALU_DEP_1)
	v_add_nc_u64_e32 v[54:55], v[4:5], v[30:31]
	v_dual_cndmask_b32 v5, 0, v55, s14 :: v_dual_cndmask_b32 v4, 0, v54, s14
	s_delay_alu instid0(VALU_DEP_1) | instskip(NEXT) | instid1(VALU_DEP_1)
	v_add_nc_u64_e32 v[56:57], v[4:5], v[14:15]
	v_dual_cndmask_b32 v5, 0, v57, s15 :: v_dual_cndmask_b32 v4, 0, v56, s15
	s_delay_alu instid0(VALU_DEP_1)
	v_add_nc_u64_e32 v[58:59], v[4:5], v[8:9]
.LBB94_146:
	s_or_b32 exec_lo, exec_lo, s16
	s_and_saveexec_b32 s2, vcc_lo
	s_cbranch_execz .LBB94_148
; %bb.147:
	v_dual_mov_b32 v1, 0 :: v_dual_mov_b32 v7, 2
	ds_load_b64 v[4:5], v1 offset:4192
	ds_load_u8 v6, v1 offset:4200
	s_wait_dscnt 0x1
	global_store_b64 v1, v[4:5], s[26:27] offset:512
	s_wait_dscnt 0x0
	global_store_b8 v1, v6, s[26:27] offset:520
	global_wb scope:SCOPE_DEV
	s_wait_storecnt 0x0
	global_inv scope:SCOPE_DEV
	s_wait_xcnt 0x0
	global_store_b8 v1, v7, s[28:29] offset:32 scope:SCOPE_DEV
.LBB94_148:
	s_wait_xcnt 0x0
	s_or_b32 exec_lo, exec_lo, s2
	v_mov_b64_e32 v[32:33], v[2:3]
.LBB94_149:
	s_load_b64 s[0:1], s[0:1], 0x20
	s_and_b32 vcc_lo, exec_lo, s31
	s_wait_kmcnt 0x0
	s_add_nc_u64 s[0:1], s[0:1], s[34:35]
	s_delay_alu instid0(SALU_CYCLE_1)
	s_add_nc_u64 s[0:1], s[0:1], s[36:37]
	s_cbranch_vccz .LBB94_197
; %bb.150:
	v_mul_u32_u24_e32 v1, 14, v0
	s_add_co_i32 s33, s33, s30
	s_mov_b32 s2, exec_lo
	s_delay_alu instid0(VALU_DEP_1)
	v_cmpx_gt_u32_e64 s33, v1
	s_cbranch_execz .LBB94_170
; %bb.151:
	v_or_b32_e32 v2, 1, v1
	s_mov_b32 s3, exec_lo
	s_delay_alu instid0(VALU_DEP_1)
	v_cmpx_gt_u32_e64 s33, v2
	s_cbranch_execz .LBB94_169
; %bb.152:
	v_add_nc_u32_e32 v2, 2, v1
	s_mov_b32 s4, exec_lo
	s_delay_alu instid0(VALU_DEP_1)
	v_cmpx_gt_u32_e64 s33, v2
	s_cbranch_execz .LBB94_168
; %bb.153:
	v_add_nc_u32_e32 v2, 3, v1
	;; [unrolled: 6-line block ×8, first 2 shown]
	s_mov_b32 s11, exec_lo
	s_delay_alu instid0(VALU_DEP_1)
	v_cmpx_gt_u32_e64 s33, v2
; %bb.160:
	v_add_nc_u32_e32 v2, 10, v1
	s_mov_b32 s12, exec_lo
	s_delay_alu instid0(VALU_DEP_1)
	v_cmpx_gt_u32_e64 s33, v2
	s_or_b32 exec_lo, exec_lo, s12
; %bb.161:
	s_delay_alu instid0(SALU_CYCLE_1)
	s_or_b32 exec_lo, exec_lo, s11
.LBB94_162:
	s_delay_alu instid0(SALU_CYCLE_1)
	s_or_b32 exec_lo, exec_lo, s10
.LBB94_163:
	s_delay_alu instid0(SALU_CYCLE_1)
	s_or_b32 exec_lo, exec_lo, s9
.LBB94_164:
	s_delay_alu instid0(SALU_CYCLE_1)
	s_or_b32 exec_lo, exec_lo, s8
.LBB94_165:
	s_delay_alu instid0(SALU_CYCLE_1)
	s_or_b32 exec_lo, exec_lo, s7
.LBB94_166:
	s_delay_alu instid0(SALU_CYCLE_1)
	s_or_b32 exec_lo, exec_lo, s6
.LBB94_167:
	s_delay_alu instid0(SALU_CYCLE_1)
	s_or_b32 exec_lo, exec_lo, s5
.LBB94_168:
	s_delay_alu instid0(SALU_CYCLE_1)
	s_or_b32 exec_lo, exec_lo, s4
.LBB94_169:
	s_delay_alu instid0(SALU_CYCLE_1)
	s_or_b32 exec_lo, exec_lo, s3
.LBB94_170:
	s_delay_alu instid0(SALU_CYCLE_1)
	s_or_b32 exec_lo, exec_lo, s2
	v_dual_lshlrev_b32 v1, 3, v1 :: v_dual_mov_b32 v61, 0
	s_wait_loadcnt 0x0
	s_wait_storecnt 0x0
	s_barrier_signal -1
	s_barrier_wait -1
	v_mad_i32_i24 v2, 0xffffff98, v0, v1
	ds_store_b128 v1, v[32:35]
	ds_store_b128 v1, v[36:39] offset:16
	ds_store_b128 v1, v[40:43] offset:32
	ds_store_b128 v1, v[44:47] offset:48
	ds_store_b128 v1, v[48:51] offset:64
	ds_store_b128 v1, v[52:55] offset:80
	ds_store_b128 v1, v[56:59] offset:96
	s_wait_dscnt 0x0
	s_barrier_signal -1
	s_barrier_wait -1
	ds_load_2addr_stride64_b64 v[26:29], v2 offset0:4 offset1:8
	ds_load_2addr_stride64_b64 v[22:25], v2 offset0:12 offset1:16
	;; [unrolled: 1-line block ×6, first 2 shown]
	ds_load_b64 v[4:5], v2 offset:26624
	v_add_nc_u64_e32 v[2:3], s[0:1], v[60:61]
	s_mov_b32 s2, exec_lo
	v_cmpx_gt_u32_e64 s33, v0
	s_cbranch_execz .LBB94_172
; %bb.171:
	v_mul_i32_i24_e32 v30, 0xffffff98, v0
	s_delay_alu instid0(VALU_DEP_1)
	v_add_nc_u32_e32 v1, v1, v30
	ds_load_b64 v[30:31], v1
	s_wait_dscnt 0x0
	global_store_b64 v[2:3], v[30:31], off
.LBB94_172:
	s_wait_xcnt 0x0
	s_or_b32 exec_lo, exec_lo, s2
	v_or_b32_e32 v1, 0x100, v0
	s_mov_b32 s2, exec_lo
	s_delay_alu instid0(VALU_DEP_1)
	v_cmpx_gt_u32_e64 s33, v1
	s_cbranch_execz .LBB94_174
; %bb.173:
	s_wait_dscnt 0x6
	global_store_b64 v[2:3], v[26:27], off offset:2048
.LBB94_174:
	s_wait_xcnt 0x0
	s_or_b32 exec_lo, exec_lo, s2
	v_or_b32_e32 v1, 0x200, v0
	s_mov_b32 s2, exec_lo
	s_delay_alu instid0(VALU_DEP_1)
	v_cmpx_gt_u32_e64 s33, v1
	s_cbranch_execz .LBB94_176
; %bb.175:
	s_wait_dscnt 0x6
	global_store_b64 v[2:3], v[28:29], off offset:4096
.LBB94_176:
	;; [unrolled: 11-line block ×12, first 2 shown]
	s_wait_xcnt 0x0
	s_or_b32 exec_lo, exec_lo, s2
	v_or_b32_e32 v1, 0xd00, v0
	s_delay_alu instid0(VALU_DEP_1)
	v_cmp_gt_u32_e64 s2, s33, v1
	s_branch .LBB94_199
.LBB94_197:
	s_mov_b32 s2, 0
                                        ; implicit-def: $vgpr4_vgpr5
	s_cbranch_execz .LBB94_199
; %bb.198:
	v_mul_u32_u24_e32 v1, 0x70, v0
	v_mul_i32_i24_e32 v2, 0xffffff98, v0
	s_wait_storecnt 0x0
	s_wait_loadcnt_dscnt 0x0
	s_barrier_signal -1
	s_barrier_wait -1
	ds_store_b128 v1, v[32:35]
	ds_store_b128 v1, v[36:39] offset:16
	ds_store_b128 v1, v[40:43] offset:32
	;; [unrolled: 1-line block ×6, first 2 shown]
	v_mad_u32_u24 v1, 0x70, v0, v2
	s_wait_dscnt 0x0
	s_barrier_signal -1
	s_barrier_wait -1
	ds_load_2addr_stride64_b64 v[6:9], v1 offset1:4
	ds_load_2addr_stride64_b64 v[10:13], v1 offset0:8 offset1:12
	ds_load_2addr_stride64_b64 v[14:17], v1 offset0:16 offset1:20
	;; [unrolled: 1-line block ×6, first 2 shown]
	s_or_b32 s2, s2, exec_lo
	s_wait_dscnt 0x6
	s_clause 0x1
	global_store_b64 v0, v[6:7], s[0:1] scale_offset
	global_store_b64 v0, v[8:9], s[0:1] offset:2048 scale_offset
	s_wait_dscnt 0x5
	s_clause 0x1
	global_store_b64 v0, v[10:11], s[0:1] offset:4096 scale_offset
	global_store_b64 v0, v[12:13], s[0:1] offset:6144 scale_offset
	s_wait_dscnt 0x4
	s_clause 0x1
	global_store_b64 v0, v[14:15], s[0:1] offset:8192 scale_offset
	;; [unrolled: 4-line block ×5, first 2 shown]
	global_store_b64 v0, v[28:29], s[0:1] offset:22528 scale_offset
	s_wait_dscnt 0x0
	global_store_b64 v0, v[2:3], s[0:1] offset:24576 scale_offset
.LBB94_199:
	s_wait_xcnt 0x0
	s_delay_alu instid0(VALU_DEP_1)
	s_and_saveexec_b32 s3, s2
	s_cbranch_execnz .LBB94_201
; %bb.200:
	s_sendmsg sendmsg(MSG_DEALLOC_VGPRS)
	s_endpgm
.LBB94_201:
	s_wait_dscnt 0x0
	global_store_b64 v0, v[4:5], s[0:1] offset:26624 scale_offset
	s_sendmsg sendmsg(MSG_DEALLOC_VGPRS)
	s_endpgm
	.section	.rodata,"a",@progbits
	.p2align	6, 0x0
	.amdhsa_kernel _ZN7rocprim17ROCPRIM_400000_NS6detail17trampoline_kernelINS0_14default_configENS1_27scan_by_key_config_selectorIllEEZZNS1_16scan_by_key_implILNS1_25lookback_scan_determinismE0ELb0ES3_PKlN6hipcub16HIPCUB_304000_NS21ConstantInputIteratorIllEEPllNSB_3SumENSB_8EqualityElEE10hipError_tPvRmT2_T3_T4_T5_mT6_T7_P12ihipStream_tbENKUlT_T0_E_clISt17integral_constantIbLb0EESX_EEDaSS_ST_EUlSS_E_NS1_11comp_targetILNS1_3genE0ELNS1_11target_archE4294967295ELNS1_3gpuE0ELNS1_3repE0EEENS1_30default_config_static_selectorELNS0_4arch9wavefront6targetE0EEEvT1_
		.amdhsa_group_segment_fixed_size 32768
		.amdhsa_private_segment_fixed_size 0
		.amdhsa_kernarg_size 144
		.amdhsa_user_sgpr_count 2
		.amdhsa_user_sgpr_dispatch_ptr 0
		.amdhsa_user_sgpr_queue_ptr 0
		.amdhsa_user_sgpr_kernarg_segment_ptr 1
		.amdhsa_user_sgpr_dispatch_id 0
		.amdhsa_user_sgpr_kernarg_preload_length 0
		.amdhsa_user_sgpr_kernarg_preload_offset 0
		.amdhsa_user_sgpr_private_segment_size 0
		.amdhsa_wavefront_size32 1
		.amdhsa_uses_dynamic_stack 0
		.amdhsa_enable_private_segment 0
		.amdhsa_system_sgpr_workgroup_id_x 1
		.amdhsa_system_sgpr_workgroup_id_y 0
		.amdhsa_system_sgpr_workgroup_id_z 0
		.amdhsa_system_sgpr_workgroup_info 0
		.amdhsa_system_vgpr_workitem_id 0
		.amdhsa_next_free_vgpr 110
		.amdhsa_next_free_sgpr 47
		.amdhsa_named_barrier_count 0
		.amdhsa_reserve_vcc 1
		.amdhsa_float_round_mode_32 0
		.amdhsa_float_round_mode_16_64 0
		.amdhsa_float_denorm_mode_32 3
		.amdhsa_float_denorm_mode_16_64 3
		.amdhsa_fp16_overflow 0
		.amdhsa_memory_ordered 1
		.amdhsa_forward_progress 1
		.amdhsa_inst_pref_size 118
		.amdhsa_round_robin_scheduling 0
		.amdhsa_exception_fp_ieee_invalid_op 0
		.amdhsa_exception_fp_denorm_src 0
		.amdhsa_exception_fp_ieee_div_zero 0
		.amdhsa_exception_fp_ieee_overflow 0
		.amdhsa_exception_fp_ieee_underflow 0
		.amdhsa_exception_fp_ieee_inexact 0
		.amdhsa_exception_int_div_zero 0
	.end_amdhsa_kernel
	.section	.text._ZN7rocprim17ROCPRIM_400000_NS6detail17trampoline_kernelINS0_14default_configENS1_27scan_by_key_config_selectorIllEEZZNS1_16scan_by_key_implILNS1_25lookback_scan_determinismE0ELb0ES3_PKlN6hipcub16HIPCUB_304000_NS21ConstantInputIteratorIllEEPllNSB_3SumENSB_8EqualityElEE10hipError_tPvRmT2_T3_T4_T5_mT6_T7_P12ihipStream_tbENKUlT_T0_E_clISt17integral_constantIbLb0EESX_EEDaSS_ST_EUlSS_E_NS1_11comp_targetILNS1_3genE0ELNS1_11target_archE4294967295ELNS1_3gpuE0ELNS1_3repE0EEENS1_30default_config_static_selectorELNS0_4arch9wavefront6targetE0EEEvT1_,"axG",@progbits,_ZN7rocprim17ROCPRIM_400000_NS6detail17trampoline_kernelINS0_14default_configENS1_27scan_by_key_config_selectorIllEEZZNS1_16scan_by_key_implILNS1_25lookback_scan_determinismE0ELb0ES3_PKlN6hipcub16HIPCUB_304000_NS21ConstantInputIteratorIllEEPllNSB_3SumENSB_8EqualityElEE10hipError_tPvRmT2_T3_T4_T5_mT6_T7_P12ihipStream_tbENKUlT_T0_E_clISt17integral_constantIbLb0EESX_EEDaSS_ST_EUlSS_E_NS1_11comp_targetILNS1_3genE0ELNS1_11target_archE4294967295ELNS1_3gpuE0ELNS1_3repE0EEENS1_30default_config_static_selectorELNS0_4arch9wavefront6targetE0EEEvT1_,comdat
.Lfunc_end94:
	.size	_ZN7rocprim17ROCPRIM_400000_NS6detail17trampoline_kernelINS0_14default_configENS1_27scan_by_key_config_selectorIllEEZZNS1_16scan_by_key_implILNS1_25lookback_scan_determinismE0ELb0ES3_PKlN6hipcub16HIPCUB_304000_NS21ConstantInputIteratorIllEEPllNSB_3SumENSB_8EqualityElEE10hipError_tPvRmT2_T3_T4_T5_mT6_T7_P12ihipStream_tbENKUlT_T0_E_clISt17integral_constantIbLb0EESX_EEDaSS_ST_EUlSS_E_NS1_11comp_targetILNS1_3genE0ELNS1_11target_archE4294967295ELNS1_3gpuE0ELNS1_3repE0EEENS1_30default_config_static_selectorELNS0_4arch9wavefront6targetE0EEEvT1_, .Lfunc_end94-_ZN7rocprim17ROCPRIM_400000_NS6detail17trampoline_kernelINS0_14default_configENS1_27scan_by_key_config_selectorIllEEZZNS1_16scan_by_key_implILNS1_25lookback_scan_determinismE0ELb0ES3_PKlN6hipcub16HIPCUB_304000_NS21ConstantInputIteratorIllEEPllNSB_3SumENSB_8EqualityElEE10hipError_tPvRmT2_T3_T4_T5_mT6_T7_P12ihipStream_tbENKUlT_T0_E_clISt17integral_constantIbLb0EESX_EEDaSS_ST_EUlSS_E_NS1_11comp_targetILNS1_3genE0ELNS1_11target_archE4294967295ELNS1_3gpuE0ELNS1_3repE0EEENS1_30default_config_static_selectorELNS0_4arch9wavefront6targetE0EEEvT1_
                                        ; -- End function
	.set _ZN7rocprim17ROCPRIM_400000_NS6detail17trampoline_kernelINS0_14default_configENS1_27scan_by_key_config_selectorIllEEZZNS1_16scan_by_key_implILNS1_25lookback_scan_determinismE0ELb0ES3_PKlN6hipcub16HIPCUB_304000_NS21ConstantInputIteratorIllEEPllNSB_3SumENSB_8EqualityElEE10hipError_tPvRmT2_T3_T4_T5_mT6_T7_P12ihipStream_tbENKUlT_T0_E_clISt17integral_constantIbLb0EESX_EEDaSS_ST_EUlSS_E_NS1_11comp_targetILNS1_3genE0ELNS1_11target_archE4294967295ELNS1_3gpuE0ELNS1_3repE0EEENS1_30default_config_static_selectorELNS0_4arch9wavefront6targetE0EEEvT1_.num_vgpr, 110
	.set _ZN7rocprim17ROCPRIM_400000_NS6detail17trampoline_kernelINS0_14default_configENS1_27scan_by_key_config_selectorIllEEZZNS1_16scan_by_key_implILNS1_25lookback_scan_determinismE0ELb0ES3_PKlN6hipcub16HIPCUB_304000_NS21ConstantInputIteratorIllEEPllNSB_3SumENSB_8EqualityElEE10hipError_tPvRmT2_T3_T4_T5_mT6_T7_P12ihipStream_tbENKUlT_T0_E_clISt17integral_constantIbLb0EESX_EEDaSS_ST_EUlSS_E_NS1_11comp_targetILNS1_3genE0ELNS1_11target_archE4294967295ELNS1_3gpuE0ELNS1_3repE0EEENS1_30default_config_static_selectorELNS0_4arch9wavefront6targetE0EEEvT1_.num_agpr, 0
	.set _ZN7rocprim17ROCPRIM_400000_NS6detail17trampoline_kernelINS0_14default_configENS1_27scan_by_key_config_selectorIllEEZZNS1_16scan_by_key_implILNS1_25lookback_scan_determinismE0ELb0ES3_PKlN6hipcub16HIPCUB_304000_NS21ConstantInputIteratorIllEEPllNSB_3SumENSB_8EqualityElEE10hipError_tPvRmT2_T3_T4_T5_mT6_T7_P12ihipStream_tbENKUlT_T0_E_clISt17integral_constantIbLb0EESX_EEDaSS_ST_EUlSS_E_NS1_11comp_targetILNS1_3genE0ELNS1_11target_archE4294967295ELNS1_3gpuE0ELNS1_3repE0EEENS1_30default_config_static_selectorELNS0_4arch9wavefront6targetE0EEEvT1_.numbered_sgpr, 47
	.set _ZN7rocprim17ROCPRIM_400000_NS6detail17trampoline_kernelINS0_14default_configENS1_27scan_by_key_config_selectorIllEEZZNS1_16scan_by_key_implILNS1_25lookback_scan_determinismE0ELb0ES3_PKlN6hipcub16HIPCUB_304000_NS21ConstantInputIteratorIllEEPllNSB_3SumENSB_8EqualityElEE10hipError_tPvRmT2_T3_T4_T5_mT6_T7_P12ihipStream_tbENKUlT_T0_E_clISt17integral_constantIbLb0EESX_EEDaSS_ST_EUlSS_E_NS1_11comp_targetILNS1_3genE0ELNS1_11target_archE4294967295ELNS1_3gpuE0ELNS1_3repE0EEENS1_30default_config_static_selectorELNS0_4arch9wavefront6targetE0EEEvT1_.num_named_barrier, 0
	.set _ZN7rocprim17ROCPRIM_400000_NS6detail17trampoline_kernelINS0_14default_configENS1_27scan_by_key_config_selectorIllEEZZNS1_16scan_by_key_implILNS1_25lookback_scan_determinismE0ELb0ES3_PKlN6hipcub16HIPCUB_304000_NS21ConstantInputIteratorIllEEPllNSB_3SumENSB_8EqualityElEE10hipError_tPvRmT2_T3_T4_T5_mT6_T7_P12ihipStream_tbENKUlT_T0_E_clISt17integral_constantIbLb0EESX_EEDaSS_ST_EUlSS_E_NS1_11comp_targetILNS1_3genE0ELNS1_11target_archE4294967295ELNS1_3gpuE0ELNS1_3repE0EEENS1_30default_config_static_selectorELNS0_4arch9wavefront6targetE0EEEvT1_.private_seg_size, 0
	.set _ZN7rocprim17ROCPRIM_400000_NS6detail17trampoline_kernelINS0_14default_configENS1_27scan_by_key_config_selectorIllEEZZNS1_16scan_by_key_implILNS1_25lookback_scan_determinismE0ELb0ES3_PKlN6hipcub16HIPCUB_304000_NS21ConstantInputIteratorIllEEPllNSB_3SumENSB_8EqualityElEE10hipError_tPvRmT2_T3_T4_T5_mT6_T7_P12ihipStream_tbENKUlT_T0_E_clISt17integral_constantIbLb0EESX_EEDaSS_ST_EUlSS_E_NS1_11comp_targetILNS1_3genE0ELNS1_11target_archE4294967295ELNS1_3gpuE0ELNS1_3repE0EEENS1_30default_config_static_selectorELNS0_4arch9wavefront6targetE0EEEvT1_.uses_vcc, 1
	.set _ZN7rocprim17ROCPRIM_400000_NS6detail17trampoline_kernelINS0_14default_configENS1_27scan_by_key_config_selectorIllEEZZNS1_16scan_by_key_implILNS1_25lookback_scan_determinismE0ELb0ES3_PKlN6hipcub16HIPCUB_304000_NS21ConstantInputIteratorIllEEPllNSB_3SumENSB_8EqualityElEE10hipError_tPvRmT2_T3_T4_T5_mT6_T7_P12ihipStream_tbENKUlT_T0_E_clISt17integral_constantIbLb0EESX_EEDaSS_ST_EUlSS_E_NS1_11comp_targetILNS1_3genE0ELNS1_11target_archE4294967295ELNS1_3gpuE0ELNS1_3repE0EEENS1_30default_config_static_selectorELNS0_4arch9wavefront6targetE0EEEvT1_.uses_flat_scratch, 0
	.set _ZN7rocprim17ROCPRIM_400000_NS6detail17trampoline_kernelINS0_14default_configENS1_27scan_by_key_config_selectorIllEEZZNS1_16scan_by_key_implILNS1_25lookback_scan_determinismE0ELb0ES3_PKlN6hipcub16HIPCUB_304000_NS21ConstantInputIteratorIllEEPllNSB_3SumENSB_8EqualityElEE10hipError_tPvRmT2_T3_T4_T5_mT6_T7_P12ihipStream_tbENKUlT_T0_E_clISt17integral_constantIbLb0EESX_EEDaSS_ST_EUlSS_E_NS1_11comp_targetILNS1_3genE0ELNS1_11target_archE4294967295ELNS1_3gpuE0ELNS1_3repE0EEENS1_30default_config_static_selectorELNS0_4arch9wavefront6targetE0EEEvT1_.has_dyn_sized_stack, 0
	.set _ZN7rocprim17ROCPRIM_400000_NS6detail17trampoline_kernelINS0_14default_configENS1_27scan_by_key_config_selectorIllEEZZNS1_16scan_by_key_implILNS1_25lookback_scan_determinismE0ELb0ES3_PKlN6hipcub16HIPCUB_304000_NS21ConstantInputIteratorIllEEPllNSB_3SumENSB_8EqualityElEE10hipError_tPvRmT2_T3_T4_T5_mT6_T7_P12ihipStream_tbENKUlT_T0_E_clISt17integral_constantIbLb0EESX_EEDaSS_ST_EUlSS_E_NS1_11comp_targetILNS1_3genE0ELNS1_11target_archE4294967295ELNS1_3gpuE0ELNS1_3repE0EEENS1_30default_config_static_selectorELNS0_4arch9wavefront6targetE0EEEvT1_.has_recursion, 0
	.set _ZN7rocprim17ROCPRIM_400000_NS6detail17trampoline_kernelINS0_14default_configENS1_27scan_by_key_config_selectorIllEEZZNS1_16scan_by_key_implILNS1_25lookback_scan_determinismE0ELb0ES3_PKlN6hipcub16HIPCUB_304000_NS21ConstantInputIteratorIllEEPllNSB_3SumENSB_8EqualityElEE10hipError_tPvRmT2_T3_T4_T5_mT6_T7_P12ihipStream_tbENKUlT_T0_E_clISt17integral_constantIbLb0EESX_EEDaSS_ST_EUlSS_E_NS1_11comp_targetILNS1_3genE0ELNS1_11target_archE4294967295ELNS1_3gpuE0ELNS1_3repE0EEENS1_30default_config_static_selectorELNS0_4arch9wavefront6targetE0EEEvT1_.has_indirect_call, 0
	.section	.AMDGPU.csdata,"",@progbits
; Kernel info:
; codeLenInByte = 15032
; TotalNumSgprs: 49
; NumVgprs: 110
; ScratchSize: 0
; MemoryBound: 0
; FloatMode: 240
; IeeeMode: 1
; LDSByteSize: 32768 bytes/workgroup (compile time only)
; SGPRBlocks: 0
; VGPRBlocks: 6
; NumSGPRsForWavesPerEU: 49
; NumVGPRsForWavesPerEU: 110
; NamedBarCnt: 0
; Occupancy: 9
; WaveLimiterHint : 1
; COMPUTE_PGM_RSRC2:SCRATCH_EN: 0
; COMPUTE_PGM_RSRC2:USER_SGPR: 2
; COMPUTE_PGM_RSRC2:TRAP_HANDLER: 0
; COMPUTE_PGM_RSRC2:TGID_X_EN: 1
; COMPUTE_PGM_RSRC2:TGID_Y_EN: 0
; COMPUTE_PGM_RSRC2:TGID_Z_EN: 0
; COMPUTE_PGM_RSRC2:TIDIG_COMP_CNT: 0
	.section	.text._ZN7rocprim17ROCPRIM_400000_NS6detail17trampoline_kernelINS0_14default_configENS1_27scan_by_key_config_selectorIllEEZZNS1_16scan_by_key_implILNS1_25lookback_scan_determinismE0ELb0ES3_PKlN6hipcub16HIPCUB_304000_NS21ConstantInputIteratorIllEEPllNSB_3SumENSB_8EqualityElEE10hipError_tPvRmT2_T3_T4_T5_mT6_T7_P12ihipStream_tbENKUlT_T0_E_clISt17integral_constantIbLb0EESX_EEDaSS_ST_EUlSS_E_NS1_11comp_targetILNS1_3genE10ELNS1_11target_archE1201ELNS1_3gpuE5ELNS1_3repE0EEENS1_30default_config_static_selectorELNS0_4arch9wavefront6targetE0EEEvT1_,"axG",@progbits,_ZN7rocprim17ROCPRIM_400000_NS6detail17trampoline_kernelINS0_14default_configENS1_27scan_by_key_config_selectorIllEEZZNS1_16scan_by_key_implILNS1_25lookback_scan_determinismE0ELb0ES3_PKlN6hipcub16HIPCUB_304000_NS21ConstantInputIteratorIllEEPllNSB_3SumENSB_8EqualityElEE10hipError_tPvRmT2_T3_T4_T5_mT6_T7_P12ihipStream_tbENKUlT_T0_E_clISt17integral_constantIbLb0EESX_EEDaSS_ST_EUlSS_E_NS1_11comp_targetILNS1_3genE10ELNS1_11target_archE1201ELNS1_3gpuE5ELNS1_3repE0EEENS1_30default_config_static_selectorELNS0_4arch9wavefront6targetE0EEEvT1_,comdat
	.protected	_ZN7rocprim17ROCPRIM_400000_NS6detail17trampoline_kernelINS0_14default_configENS1_27scan_by_key_config_selectorIllEEZZNS1_16scan_by_key_implILNS1_25lookback_scan_determinismE0ELb0ES3_PKlN6hipcub16HIPCUB_304000_NS21ConstantInputIteratorIllEEPllNSB_3SumENSB_8EqualityElEE10hipError_tPvRmT2_T3_T4_T5_mT6_T7_P12ihipStream_tbENKUlT_T0_E_clISt17integral_constantIbLb0EESX_EEDaSS_ST_EUlSS_E_NS1_11comp_targetILNS1_3genE10ELNS1_11target_archE1201ELNS1_3gpuE5ELNS1_3repE0EEENS1_30default_config_static_selectorELNS0_4arch9wavefront6targetE0EEEvT1_ ; -- Begin function _ZN7rocprim17ROCPRIM_400000_NS6detail17trampoline_kernelINS0_14default_configENS1_27scan_by_key_config_selectorIllEEZZNS1_16scan_by_key_implILNS1_25lookback_scan_determinismE0ELb0ES3_PKlN6hipcub16HIPCUB_304000_NS21ConstantInputIteratorIllEEPllNSB_3SumENSB_8EqualityElEE10hipError_tPvRmT2_T3_T4_T5_mT6_T7_P12ihipStream_tbENKUlT_T0_E_clISt17integral_constantIbLb0EESX_EEDaSS_ST_EUlSS_E_NS1_11comp_targetILNS1_3genE10ELNS1_11target_archE1201ELNS1_3gpuE5ELNS1_3repE0EEENS1_30default_config_static_selectorELNS0_4arch9wavefront6targetE0EEEvT1_
	.globl	_ZN7rocprim17ROCPRIM_400000_NS6detail17trampoline_kernelINS0_14default_configENS1_27scan_by_key_config_selectorIllEEZZNS1_16scan_by_key_implILNS1_25lookback_scan_determinismE0ELb0ES3_PKlN6hipcub16HIPCUB_304000_NS21ConstantInputIteratorIllEEPllNSB_3SumENSB_8EqualityElEE10hipError_tPvRmT2_T3_T4_T5_mT6_T7_P12ihipStream_tbENKUlT_T0_E_clISt17integral_constantIbLb0EESX_EEDaSS_ST_EUlSS_E_NS1_11comp_targetILNS1_3genE10ELNS1_11target_archE1201ELNS1_3gpuE5ELNS1_3repE0EEENS1_30default_config_static_selectorELNS0_4arch9wavefront6targetE0EEEvT1_
	.p2align	8
	.type	_ZN7rocprim17ROCPRIM_400000_NS6detail17trampoline_kernelINS0_14default_configENS1_27scan_by_key_config_selectorIllEEZZNS1_16scan_by_key_implILNS1_25lookback_scan_determinismE0ELb0ES3_PKlN6hipcub16HIPCUB_304000_NS21ConstantInputIteratorIllEEPllNSB_3SumENSB_8EqualityElEE10hipError_tPvRmT2_T3_T4_T5_mT6_T7_P12ihipStream_tbENKUlT_T0_E_clISt17integral_constantIbLb0EESX_EEDaSS_ST_EUlSS_E_NS1_11comp_targetILNS1_3genE10ELNS1_11target_archE1201ELNS1_3gpuE5ELNS1_3repE0EEENS1_30default_config_static_selectorELNS0_4arch9wavefront6targetE0EEEvT1_,@function
_ZN7rocprim17ROCPRIM_400000_NS6detail17trampoline_kernelINS0_14default_configENS1_27scan_by_key_config_selectorIllEEZZNS1_16scan_by_key_implILNS1_25lookback_scan_determinismE0ELb0ES3_PKlN6hipcub16HIPCUB_304000_NS21ConstantInputIteratorIllEEPllNSB_3SumENSB_8EqualityElEE10hipError_tPvRmT2_T3_T4_T5_mT6_T7_P12ihipStream_tbENKUlT_T0_E_clISt17integral_constantIbLb0EESX_EEDaSS_ST_EUlSS_E_NS1_11comp_targetILNS1_3genE10ELNS1_11target_archE1201ELNS1_3gpuE5ELNS1_3repE0EEENS1_30default_config_static_selectorELNS0_4arch9wavefront6targetE0EEEvT1_: ; @_ZN7rocprim17ROCPRIM_400000_NS6detail17trampoline_kernelINS0_14default_configENS1_27scan_by_key_config_selectorIllEEZZNS1_16scan_by_key_implILNS1_25lookback_scan_determinismE0ELb0ES3_PKlN6hipcub16HIPCUB_304000_NS21ConstantInputIteratorIllEEPllNSB_3SumENSB_8EqualityElEE10hipError_tPvRmT2_T3_T4_T5_mT6_T7_P12ihipStream_tbENKUlT_T0_E_clISt17integral_constantIbLb0EESX_EEDaSS_ST_EUlSS_E_NS1_11comp_targetILNS1_3genE10ELNS1_11target_archE1201ELNS1_3gpuE5ELNS1_3repE0EEENS1_30default_config_static_selectorELNS0_4arch9wavefront6targetE0EEEvT1_
; %bb.0:
	.section	.rodata,"a",@progbits
	.p2align	6, 0x0
	.amdhsa_kernel _ZN7rocprim17ROCPRIM_400000_NS6detail17trampoline_kernelINS0_14default_configENS1_27scan_by_key_config_selectorIllEEZZNS1_16scan_by_key_implILNS1_25lookback_scan_determinismE0ELb0ES3_PKlN6hipcub16HIPCUB_304000_NS21ConstantInputIteratorIllEEPllNSB_3SumENSB_8EqualityElEE10hipError_tPvRmT2_T3_T4_T5_mT6_T7_P12ihipStream_tbENKUlT_T0_E_clISt17integral_constantIbLb0EESX_EEDaSS_ST_EUlSS_E_NS1_11comp_targetILNS1_3genE10ELNS1_11target_archE1201ELNS1_3gpuE5ELNS1_3repE0EEENS1_30default_config_static_selectorELNS0_4arch9wavefront6targetE0EEEvT1_
		.amdhsa_group_segment_fixed_size 0
		.amdhsa_private_segment_fixed_size 0
		.amdhsa_kernarg_size 144
		.amdhsa_user_sgpr_count 2
		.amdhsa_user_sgpr_dispatch_ptr 0
		.amdhsa_user_sgpr_queue_ptr 0
		.amdhsa_user_sgpr_kernarg_segment_ptr 1
		.amdhsa_user_sgpr_dispatch_id 0
		.amdhsa_user_sgpr_kernarg_preload_length 0
		.amdhsa_user_sgpr_kernarg_preload_offset 0
		.amdhsa_user_sgpr_private_segment_size 0
		.amdhsa_wavefront_size32 1
		.amdhsa_uses_dynamic_stack 0
		.amdhsa_enable_private_segment 0
		.amdhsa_system_sgpr_workgroup_id_x 1
		.amdhsa_system_sgpr_workgroup_id_y 0
		.amdhsa_system_sgpr_workgroup_id_z 0
		.amdhsa_system_sgpr_workgroup_info 0
		.amdhsa_system_vgpr_workitem_id 0
		.amdhsa_next_free_vgpr 1
		.amdhsa_next_free_sgpr 1
		.amdhsa_named_barrier_count 0
		.amdhsa_reserve_vcc 0
		.amdhsa_float_round_mode_32 0
		.amdhsa_float_round_mode_16_64 0
		.amdhsa_float_denorm_mode_32 3
		.amdhsa_float_denorm_mode_16_64 3
		.amdhsa_fp16_overflow 0
		.amdhsa_memory_ordered 1
		.amdhsa_forward_progress 1
		.amdhsa_inst_pref_size 0
		.amdhsa_round_robin_scheduling 0
		.amdhsa_exception_fp_ieee_invalid_op 0
		.amdhsa_exception_fp_denorm_src 0
		.amdhsa_exception_fp_ieee_div_zero 0
		.amdhsa_exception_fp_ieee_overflow 0
		.amdhsa_exception_fp_ieee_underflow 0
		.amdhsa_exception_fp_ieee_inexact 0
		.amdhsa_exception_int_div_zero 0
	.end_amdhsa_kernel
	.section	.text._ZN7rocprim17ROCPRIM_400000_NS6detail17trampoline_kernelINS0_14default_configENS1_27scan_by_key_config_selectorIllEEZZNS1_16scan_by_key_implILNS1_25lookback_scan_determinismE0ELb0ES3_PKlN6hipcub16HIPCUB_304000_NS21ConstantInputIteratorIllEEPllNSB_3SumENSB_8EqualityElEE10hipError_tPvRmT2_T3_T4_T5_mT6_T7_P12ihipStream_tbENKUlT_T0_E_clISt17integral_constantIbLb0EESX_EEDaSS_ST_EUlSS_E_NS1_11comp_targetILNS1_3genE10ELNS1_11target_archE1201ELNS1_3gpuE5ELNS1_3repE0EEENS1_30default_config_static_selectorELNS0_4arch9wavefront6targetE0EEEvT1_,"axG",@progbits,_ZN7rocprim17ROCPRIM_400000_NS6detail17trampoline_kernelINS0_14default_configENS1_27scan_by_key_config_selectorIllEEZZNS1_16scan_by_key_implILNS1_25lookback_scan_determinismE0ELb0ES3_PKlN6hipcub16HIPCUB_304000_NS21ConstantInputIteratorIllEEPllNSB_3SumENSB_8EqualityElEE10hipError_tPvRmT2_T3_T4_T5_mT6_T7_P12ihipStream_tbENKUlT_T0_E_clISt17integral_constantIbLb0EESX_EEDaSS_ST_EUlSS_E_NS1_11comp_targetILNS1_3genE10ELNS1_11target_archE1201ELNS1_3gpuE5ELNS1_3repE0EEENS1_30default_config_static_selectorELNS0_4arch9wavefront6targetE0EEEvT1_,comdat
.Lfunc_end95:
	.size	_ZN7rocprim17ROCPRIM_400000_NS6detail17trampoline_kernelINS0_14default_configENS1_27scan_by_key_config_selectorIllEEZZNS1_16scan_by_key_implILNS1_25lookback_scan_determinismE0ELb0ES3_PKlN6hipcub16HIPCUB_304000_NS21ConstantInputIteratorIllEEPllNSB_3SumENSB_8EqualityElEE10hipError_tPvRmT2_T3_T4_T5_mT6_T7_P12ihipStream_tbENKUlT_T0_E_clISt17integral_constantIbLb0EESX_EEDaSS_ST_EUlSS_E_NS1_11comp_targetILNS1_3genE10ELNS1_11target_archE1201ELNS1_3gpuE5ELNS1_3repE0EEENS1_30default_config_static_selectorELNS0_4arch9wavefront6targetE0EEEvT1_, .Lfunc_end95-_ZN7rocprim17ROCPRIM_400000_NS6detail17trampoline_kernelINS0_14default_configENS1_27scan_by_key_config_selectorIllEEZZNS1_16scan_by_key_implILNS1_25lookback_scan_determinismE0ELb0ES3_PKlN6hipcub16HIPCUB_304000_NS21ConstantInputIteratorIllEEPllNSB_3SumENSB_8EqualityElEE10hipError_tPvRmT2_T3_T4_T5_mT6_T7_P12ihipStream_tbENKUlT_T0_E_clISt17integral_constantIbLb0EESX_EEDaSS_ST_EUlSS_E_NS1_11comp_targetILNS1_3genE10ELNS1_11target_archE1201ELNS1_3gpuE5ELNS1_3repE0EEENS1_30default_config_static_selectorELNS0_4arch9wavefront6targetE0EEEvT1_
                                        ; -- End function
	.set _ZN7rocprim17ROCPRIM_400000_NS6detail17trampoline_kernelINS0_14default_configENS1_27scan_by_key_config_selectorIllEEZZNS1_16scan_by_key_implILNS1_25lookback_scan_determinismE0ELb0ES3_PKlN6hipcub16HIPCUB_304000_NS21ConstantInputIteratorIllEEPllNSB_3SumENSB_8EqualityElEE10hipError_tPvRmT2_T3_T4_T5_mT6_T7_P12ihipStream_tbENKUlT_T0_E_clISt17integral_constantIbLb0EESX_EEDaSS_ST_EUlSS_E_NS1_11comp_targetILNS1_3genE10ELNS1_11target_archE1201ELNS1_3gpuE5ELNS1_3repE0EEENS1_30default_config_static_selectorELNS0_4arch9wavefront6targetE0EEEvT1_.num_vgpr, 0
	.set _ZN7rocprim17ROCPRIM_400000_NS6detail17trampoline_kernelINS0_14default_configENS1_27scan_by_key_config_selectorIllEEZZNS1_16scan_by_key_implILNS1_25lookback_scan_determinismE0ELb0ES3_PKlN6hipcub16HIPCUB_304000_NS21ConstantInputIteratorIllEEPllNSB_3SumENSB_8EqualityElEE10hipError_tPvRmT2_T3_T4_T5_mT6_T7_P12ihipStream_tbENKUlT_T0_E_clISt17integral_constantIbLb0EESX_EEDaSS_ST_EUlSS_E_NS1_11comp_targetILNS1_3genE10ELNS1_11target_archE1201ELNS1_3gpuE5ELNS1_3repE0EEENS1_30default_config_static_selectorELNS0_4arch9wavefront6targetE0EEEvT1_.num_agpr, 0
	.set _ZN7rocprim17ROCPRIM_400000_NS6detail17trampoline_kernelINS0_14default_configENS1_27scan_by_key_config_selectorIllEEZZNS1_16scan_by_key_implILNS1_25lookback_scan_determinismE0ELb0ES3_PKlN6hipcub16HIPCUB_304000_NS21ConstantInputIteratorIllEEPllNSB_3SumENSB_8EqualityElEE10hipError_tPvRmT2_T3_T4_T5_mT6_T7_P12ihipStream_tbENKUlT_T0_E_clISt17integral_constantIbLb0EESX_EEDaSS_ST_EUlSS_E_NS1_11comp_targetILNS1_3genE10ELNS1_11target_archE1201ELNS1_3gpuE5ELNS1_3repE0EEENS1_30default_config_static_selectorELNS0_4arch9wavefront6targetE0EEEvT1_.numbered_sgpr, 0
	.set _ZN7rocprim17ROCPRIM_400000_NS6detail17trampoline_kernelINS0_14default_configENS1_27scan_by_key_config_selectorIllEEZZNS1_16scan_by_key_implILNS1_25lookback_scan_determinismE0ELb0ES3_PKlN6hipcub16HIPCUB_304000_NS21ConstantInputIteratorIllEEPllNSB_3SumENSB_8EqualityElEE10hipError_tPvRmT2_T3_T4_T5_mT6_T7_P12ihipStream_tbENKUlT_T0_E_clISt17integral_constantIbLb0EESX_EEDaSS_ST_EUlSS_E_NS1_11comp_targetILNS1_3genE10ELNS1_11target_archE1201ELNS1_3gpuE5ELNS1_3repE0EEENS1_30default_config_static_selectorELNS0_4arch9wavefront6targetE0EEEvT1_.num_named_barrier, 0
	.set _ZN7rocprim17ROCPRIM_400000_NS6detail17trampoline_kernelINS0_14default_configENS1_27scan_by_key_config_selectorIllEEZZNS1_16scan_by_key_implILNS1_25lookback_scan_determinismE0ELb0ES3_PKlN6hipcub16HIPCUB_304000_NS21ConstantInputIteratorIllEEPllNSB_3SumENSB_8EqualityElEE10hipError_tPvRmT2_T3_T4_T5_mT6_T7_P12ihipStream_tbENKUlT_T0_E_clISt17integral_constantIbLb0EESX_EEDaSS_ST_EUlSS_E_NS1_11comp_targetILNS1_3genE10ELNS1_11target_archE1201ELNS1_3gpuE5ELNS1_3repE0EEENS1_30default_config_static_selectorELNS0_4arch9wavefront6targetE0EEEvT1_.private_seg_size, 0
	.set _ZN7rocprim17ROCPRIM_400000_NS6detail17trampoline_kernelINS0_14default_configENS1_27scan_by_key_config_selectorIllEEZZNS1_16scan_by_key_implILNS1_25lookback_scan_determinismE0ELb0ES3_PKlN6hipcub16HIPCUB_304000_NS21ConstantInputIteratorIllEEPllNSB_3SumENSB_8EqualityElEE10hipError_tPvRmT2_T3_T4_T5_mT6_T7_P12ihipStream_tbENKUlT_T0_E_clISt17integral_constantIbLb0EESX_EEDaSS_ST_EUlSS_E_NS1_11comp_targetILNS1_3genE10ELNS1_11target_archE1201ELNS1_3gpuE5ELNS1_3repE0EEENS1_30default_config_static_selectorELNS0_4arch9wavefront6targetE0EEEvT1_.uses_vcc, 0
	.set _ZN7rocprim17ROCPRIM_400000_NS6detail17trampoline_kernelINS0_14default_configENS1_27scan_by_key_config_selectorIllEEZZNS1_16scan_by_key_implILNS1_25lookback_scan_determinismE0ELb0ES3_PKlN6hipcub16HIPCUB_304000_NS21ConstantInputIteratorIllEEPllNSB_3SumENSB_8EqualityElEE10hipError_tPvRmT2_T3_T4_T5_mT6_T7_P12ihipStream_tbENKUlT_T0_E_clISt17integral_constantIbLb0EESX_EEDaSS_ST_EUlSS_E_NS1_11comp_targetILNS1_3genE10ELNS1_11target_archE1201ELNS1_3gpuE5ELNS1_3repE0EEENS1_30default_config_static_selectorELNS0_4arch9wavefront6targetE0EEEvT1_.uses_flat_scratch, 0
	.set _ZN7rocprim17ROCPRIM_400000_NS6detail17trampoline_kernelINS0_14default_configENS1_27scan_by_key_config_selectorIllEEZZNS1_16scan_by_key_implILNS1_25lookback_scan_determinismE0ELb0ES3_PKlN6hipcub16HIPCUB_304000_NS21ConstantInputIteratorIllEEPllNSB_3SumENSB_8EqualityElEE10hipError_tPvRmT2_T3_T4_T5_mT6_T7_P12ihipStream_tbENKUlT_T0_E_clISt17integral_constantIbLb0EESX_EEDaSS_ST_EUlSS_E_NS1_11comp_targetILNS1_3genE10ELNS1_11target_archE1201ELNS1_3gpuE5ELNS1_3repE0EEENS1_30default_config_static_selectorELNS0_4arch9wavefront6targetE0EEEvT1_.has_dyn_sized_stack, 0
	.set _ZN7rocprim17ROCPRIM_400000_NS6detail17trampoline_kernelINS0_14default_configENS1_27scan_by_key_config_selectorIllEEZZNS1_16scan_by_key_implILNS1_25lookback_scan_determinismE0ELb0ES3_PKlN6hipcub16HIPCUB_304000_NS21ConstantInputIteratorIllEEPllNSB_3SumENSB_8EqualityElEE10hipError_tPvRmT2_T3_T4_T5_mT6_T7_P12ihipStream_tbENKUlT_T0_E_clISt17integral_constantIbLb0EESX_EEDaSS_ST_EUlSS_E_NS1_11comp_targetILNS1_3genE10ELNS1_11target_archE1201ELNS1_3gpuE5ELNS1_3repE0EEENS1_30default_config_static_selectorELNS0_4arch9wavefront6targetE0EEEvT1_.has_recursion, 0
	.set _ZN7rocprim17ROCPRIM_400000_NS6detail17trampoline_kernelINS0_14default_configENS1_27scan_by_key_config_selectorIllEEZZNS1_16scan_by_key_implILNS1_25lookback_scan_determinismE0ELb0ES3_PKlN6hipcub16HIPCUB_304000_NS21ConstantInputIteratorIllEEPllNSB_3SumENSB_8EqualityElEE10hipError_tPvRmT2_T3_T4_T5_mT6_T7_P12ihipStream_tbENKUlT_T0_E_clISt17integral_constantIbLb0EESX_EEDaSS_ST_EUlSS_E_NS1_11comp_targetILNS1_3genE10ELNS1_11target_archE1201ELNS1_3gpuE5ELNS1_3repE0EEENS1_30default_config_static_selectorELNS0_4arch9wavefront6targetE0EEEvT1_.has_indirect_call, 0
	.section	.AMDGPU.csdata,"",@progbits
; Kernel info:
; codeLenInByte = 0
; TotalNumSgprs: 0
; NumVgprs: 0
; ScratchSize: 0
; MemoryBound: 0
; FloatMode: 240
; IeeeMode: 1
; LDSByteSize: 0 bytes/workgroup (compile time only)
; SGPRBlocks: 0
; VGPRBlocks: 0
; NumSGPRsForWavesPerEU: 1
; NumVGPRsForWavesPerEU: 1
; NamedBarCnt: 0
; Occupancy: 16
; WaveLimiterHint : 0
; COMPUTE_PGM_RSRC2:SCRATCH_EN: 0
; COMPUTE_PGM_RSRC2:USER_SGPR: 2
; COMPUTE_PGM_RSRC2:TRAP_HANDLER: 0
; COMPUTE_PGM_RSRC2:TGID_X_EN: 1
; COMPUTE_PGM_RSRC2:TGID_Y_EN: 0
; COMPUTE_PGM_RSRC2:TGID_Z_EN: 0
; COMPUTE_PGM_RSRC2:TIDIG_COMP_CNT: 0
	.section	.text._ZN7rocprim17ROCPRIM_400000_NS6detail17trampoline_kernelINS0_14default_configENS1_27scan_by_key_config_selectorIllEEZZNS1_16scan_by_key_implILNS1_25lookback_scan_determinismE0ELb0ES3_PKlN6hipcub16HIPCUB_304000_NS21ConstantInputIteratorIllEEPllNSB_3SumENSB_8EqualityElEE10hipError_tPvRmT2_T3_T4_T5_mT6_T7_P12ihipStream_tbENKUlT_T0_E_clISt17integral_constantIbLb0EESX_EEDaSS_ST_EUlSS_E_NS1_11comp_targetILNS1_3genE5ELNS1_11target_archE942ELNS1_3gpuE9ELNS1_3repE0EEENS1_30default_config_static_selectorELNS0_4arch9wavefront6targetE0EEEvT1_,"axG",@progbits,_ZN7rocprim17ROCPRIM_400000_NS6detail17trampoline_kernelINS0_14default_configENS1_27scan_by_key_config_selectorIllEEZZNS1_16scan_by_key_implILNS1_25lookback_scan_determinismE0ELb0ES3_PKlN6hipcub16HIPCUB_304000_NS21ConstantInputIteratorIllEEPllNSB_3SumENSB_8EqualityElEE10hipError_tPvRmT2_T3_T4_T5_mT6_T7_P12ihipStream_tbENKUlT_T0_E_clISt17integral_constantIbLb0EESX_EEDaSS_ST_EUlSS_E_NS1_11comp_targetILNS1_3genE5ELNS1_11target_archE942ELNS1_3gpuE9ELNS1_3repE0EEENS1_30default_config_static_selectorELNS0_4arch9wavefront6targetE0EEEvT1_,comdat
	.protected	_ZN7rocprim17ROCPRIM_400000_NS6detail17trampoline_kernelINS0_14default_configENS1_27scan_by_key_config_selectorIllEEZZNS1_16scan_by_key_implILNS1_25lookback_scan_determinismE0ELb0ES3_PKlN6hipcub16HIPCUB_304000_NS21ConstantInputIteratorIllEEPllNSB_3SumENSB_8EqualityElEE10hipError_tPvRmT2_T3_T4_T5_mT6_T7_P12ihipStream_tbENKUlT_T0_E_clISt17integral_constantIbLb0EESX_EEDaSS_ST_EUlSS_E_NS1_11comp_targetILNS1_3genE5ELNS1_11target_archE942ELNS1_3gpuE9ELNS1_3repE0EEENS1_30default_config_static_selectorELNS0_4arch9wavefront6targetE0EEEvT1_ ; -- Begin function _ZN7rocprim17ROCPRIM_400000_NS6detail17trampoline_kernelINS0_14default_configENS1_27scan_by_key_config_selectorIllEEZZNS1_16scan_by_key_implILNS1_25lookback_scan_determinismE0ELb0ES3_PKlN6hipcub16HIPCUB_304000_NS21ConstantInputIteratorIllEEPllNSB_3SumENSB_8EqualityElEE10hipError_tPvRmT2_T3_T4_T5_mT6_T7_P12ihipStream_tbENKUlT_T0_E_clISt17integral_constantIbLb0EESX_EEDaSS_ST_EUlSS_E_NS1_11comp_targetILNS1_3genE5ELNS1_11target_archE942ELNS1_3gpuE9ELNS1_3repE0EEENS1_30default_config_static_selectorELNS0_4arch9wavefront6targetE0EEEvT1_
	.globl	_ZN7rocprim17ROCPRIM_400000_NS6detail17trampoline_kernelINS0_14default_configENS1_27scan_by_key_config_selectorIllEEZZNS1_16scan_by_key_implILNS1_25lookback_scan_determinismE0ELb0ES3_PKlN6hipcub16HIPCUB_304000_NS21ConstantInputIteratorIllEEPllNSB_3SumENSB_8EqualityElEE10hipError_tPvRmT2_T3_T4_T5_mT6_T7_P12ihipStream_tbENKUlT_T0_E_clISt17integral_constantIbLb0EESX_EEDaSS_ST_EUlSS_E_NS1_11comp_targetILNS1_3genE5ELNS1_11target_archE942ELNS1_3gpuE9ELNS1_3repE0EEENS1_30default_config_static_selectorELNS0_4arch9wavefront6targetE0EEEvT1_
	.p2align	8
	.type	_ZN7rocprim17ROCPRIM_400000_NS6detail17trampoline_kernelINS0_14default_configENS1_27scan_by_key_config_selectorIllEEZZNS1_16scan_by_key_implILNS1_25lookback_scan_determinismE0ELb0ES3_PKlN6hipcub16HIPCUB_304000_NS21ConstantInputIteratorIllEEPllNSB_3SumENSB_8EqualityElEE10hipError_tPvRmT2_T3_T4_T5_mT6_T7_P12ihipStream_tbENKUlT_T0_E_clISt17integral_constantIbLb0EESX_EEDaSS_ST_EUlSS_E_NS1_11comp_targetILNS1_3genE5ELNS1_11target_archE942ELNS1_3gpuE9ELNS1_3repE0EEENS1_30default_config_static_selectorELNS0_4arch9wavefront6targetE0EEEvT1_,@function
_ZN7rocprim17ROCPRIM_400000_NS6detail17trampoline_kernelINS0_14default_configENS1_27scan_by_key_config_selectorIllEEZZNS1_16scan_by_key_implILNS1_25lookback_scan_determinismE0ELb0ES3_PKlN6hipcub16HIPCUB_304000_NS21ConstantInputIteratorIllEEPllNSB_3SumENSB_8EqualityElEE10hipError_tPvRmT2_T3_T4_T5_mT6_T7_P12ihipStream_tbENKUlT_T0_E_clISt17integral_constantIbLb0EESX_EEDaSS_ST_EUlSS_E_NS1_11comp_targetILNS1_3genE5ELNS1_11target_archE942ELNS1_3gpuE9ELNS1_3repE0EEENS1_30default_config_static_selectorELNS0_4arch9wavefront6targetE0EEEvT1_: ; @_ZN7rocprim17ROCPRIM_400000_NS6detail17trampoline_kernelINS0_14default_configENS1_27scan_by_key_config_selectorIllEEZZNS1_16scan_by_key_implILNS1_25lookback_scan_determinismE0ELb0ES3_PKlN6hipcub16HIPCUB_304000_NS21ConstantInputIteratorIllEEPllNSB_3SumENSB_8EqualityElEE10hipError_tPvRmT2_T3_T4_T5_mT6_T7_P12ihipStream_tbENKUlT_T0_E_clISt17integral_constantIbLb0EESX_EEDaSS_ST_EUlSS_E_NS1_11comp_targetILNS1_3genE5ELNS1_11target_archE942ELNS1_3gpuE9ELNS1_3repE0EEENS1_30default_config_static_selectorELNS0_4arch9wavefront6targetE0EEEvT1_
; %bb.0:
	.section	.rodata,"a",@progbits
	.p2align	6, 0x0
	.amdhsa_kernel _ZN7rocprim17ROCPRIM_400000_NS6detail17trampoline_kernelINS0_14default_configENS1_27scan_by_key_config_selectorIllEEZZNS1_16scan_by_key_implILNS1_25lookback_scan_determinismE0ELb0ES3_PKlN6hipcub16HIPCUB_304000_NS21ConstantInputIteratorIllEEPllNSB_3SumENSB_8EqualityElEE10hipError_tPvRmT2_T3_T4_T5_mT6_T7_P12ihipStream_tbENKUlT_T0_E_clISt17integral_constantIbLb0EESX_EEDaSS_ST_EUlSS_E_NS1_11comp_targetILNS1_3genE5ELNS1_11target_archE942ELNS1_3gpuE9ELNS1_3repE0EEENS1_30default_config_static_selectorELNS0_4arch9wavefront6targetE0EEEvT1_
		.amdhsa_group_segment_fixed_size 0
		.amdhsa_private_segment_fixed_size 0
		.amdhsa_kernarg_size 144
		.amdhsa_user_sgpr_count 2
		.amdhsa_user_sgpr_dispatch_ptr 0
		.amdhsa_user_sgpr_queue_ptr 0
		.amdhsa_user_sgpr_kernarg_segment_ptr 1
		.amdhsa_user_sgpr_dispatch_id 0
		.amdhsa_user_sgpr_kernarg_preload_length 0
		.amdhsa_user_sgpr_kernarg_preload_offset 0
		.amdhsa_user_sgpr_private_segment_size 0
		.amdhsa_wavefront_size32 1
		.amdhsa_uses_dynamic_stack 0
		.amdhsa_enable_private_segment 0
		.amdhsa_system_sgpr_workgroup_id_x 1
		.amdhsa_system_sgpr_workgroup_id_y 0
		.amdhsa_system_sgpr_workgroup_id_z 0
		.amdhsa_system_sgpr_workgroup_info 0
		.amdhsa_system_vgpr_workitem_id 0
		.amdhsa_next_free_vgpr 1
		.amdhsa_next_free_sgpr 1
		.amdhsa_named_barrier_count 0
		.amdhsa_reserve_vcc 0
		.amdhsa_float_round_mode_32 0
		.amdhsa_float_round_mode_16_64 0
		.amdhsa_float_denorm_mode_32 3
		.amdhsa_float_denorm_mode_16_64 3
		.amdhsa_fp16_overflow 0
		.amdhsa_memory_ordered 1
		.amdhsa_forward_progress 1
		.amdhsa_inst_pref_size 0
		.amdhsa_round_robin_scheduling 0
		.amdhsa_exception_fp_ieee_invalid_op 0
		.amdhsa_exception_fp_denorm_src 0
		.amdhsa_exception_fp_ieee_div_zero 0
		.amdhsa_exception_fp_ieee_overflow 0
		.amdhsa_exception_fp_ieee_underflow 0
		.amdhsa_exception_fp_ieee_inexact 0
		.amdhsa_exception_int_div_zero 0
	.end_amdhsa_kernel
	.section	.text._ZN7rocprim17ROCPRIM_400000_NS6detail17trampoline_kernelINS0_14default_configENS1_27scan_by_key_config_selectorIllEEZZNS1_16scan_by_key_implILNS1_25lookback_scan_determinismE0ELb0ES3_PKlN6hipcub16HIPCUB_304000_NS21ConstantInputIteratorIllEEPllNSB_3SumENSB_8EqualityElEE10hipError_tPvRmT2_T3_T4_T5_mT6_T7_P12ihipStream_tbENKUlT_T0_E_clISt17integral_constantIbLb0EESX_EEDaSS_ST_EUlSS_E_NS1_11comp_targetILNS1_3genE5ELNS1_11target_archE942ELNS1_3gpuE9ELNS1_3repE0EEENS1_30default_config_static_selectorELNS0_4arch9wavefront6targetE0EEEvT1_,"axG",@progbits,_ZN7rocprim17ROCPRIM_400000_NS6detail17trampoline_kernelINS0_14default_configENS1_27scan_by_key_config_selectorIllEEZZNS1_16scan_by_key_implILNS1_25lookback_scan_determinismE0ELb0ES3_PKlN6hipcub16HIPCUB_304000_NS21ConstantInputIteratorIllEEPllNSB_3SumENSB_8EqualityElEE10hipError_tPvRmT2_T3_T4_T5_mT6_T7_P12ihipStream_tbENKUlT_T0_E_clISt17integral_constantIbLb0EESX_EEDaSS_ST_EUlSS_E_NS1_11comp_targetILNS1_3genE5ELNS1_11target_archE942ELNS1_3gpuE9ELNS1_3repE0EEENS1_30default_config_static_selectorELNS0_4arch9wavefront6targetE0EEEvT1_,comdat
.Lfunc_end96:
	.size	_ZN7rocprim17ROCPRIM_400000_NS6detail17trampoline_kernelINS0_14default_configENS1_27scan_by_key_config_selectorIllEEZZNS1_16scan_by_key_implILNS1_25lookback_scan_determinismE0ELb0ES3_PKlN6hipcub16HIPCUB_304000_NS21ConstantInputIteratorIllEEPllNSB_3SumENSB_8EqualityElEE10hipError_tPvRmT2_T3_T4_T5_mT6_T7_P12ihipStream_tbENKUlT_T0_E_clISt17integral_constantIbLb0EESX_EEDaSS_ST_EUlSS_E_NS1_11comp_targetILNS1_3genE5ELNS1_11target_archE942ELNS1_3gpuE9ELNS1_3repE0EEENS1_30default_config_static_selectorELNS0_4arch9wavefront6targetE0EEEvT1_, .Lfunc_end96-_ZN7rocprim17ROCPRIM_400000_NS6detail17trampoline_kernelINS0_14default_configENS1_27scan_by_key_config_selectorIllEEZZNS1_16scan_by_key_implILNS1_25lookback_scan_determinismE0ELb0ES3_PKlN6hipcub16HIPCUB_304000_NS21ConstantInputIteratorIllEEPllNSB_3SumENSB_8EqualityElEE10hipError_tPvRmT2_T3_T4_T5_mT6_T7_P12ihipStream_tbENKUlT_T0_E_clISt17integral_constantIbLb0EESX_EEDaSS_ST_EUlSS_E_NS1_11comp_targetILNS1_3genE5ELNS1_11target_archE942ELNS1_3gpuE9ELNS1_3repE0EEENS1_30default_config_static_selectorELNS0_4arch9wavefront6targetE0EEEvT1_
                                        ; -- End function
	.set _ZN7rocprim17ROCPRIM_400000_NS6detail17trampoline_kernelINS0_14default_configENS1_27scan_by_key_config_selectorIllEEZZNS1_16scan_by_key_implILNS1_25lookback_scan_determinismE0ELb0ES3_PKlN6hipcub16HIPCUB_304000_NS21ConstantInputIteratorIllEEPllNSB_3SumENSB_8EqualityElEE10hipError_tPvRmT2_T3_T4_T5_mT6_T7_P12ihipStream_tbENKUlT_T0_E_clISt17integral_constantIbLb0EESX_EEDaSS_ST_EUlSS_E_NS1_11comp_targetILNS1_3genE5ELNS1_11target_archE942ELNS1_3gpuE9ELNS1_3repE0EEENS1_30default_config_static_selectorELNS0_4arch9wavefront6targetE0EEEvT1_.num_vgpr, 0
	.set _ZN7rocprim17ROCPRIM_400000_NS6detail17trampoline_kernelINS0_14default_configENS1_27scan_by_key_config_selectorIllEEZZNS1_16scan_by_key_implILNS1_25lookback_scan_determinismE0ELb0ES3_PKlN6hipcub16HIPCUB_304000_NS21ConstantInputIteratorIllEEPllNSB_3SumENSB_8EqualityElEE10hipError_tPvRmT2_T3_T4_T5_mT6_T7_P12ihipStream_tbENKUlT_T0_E_clISt17integral_constantIbLb0EESX_EEDaSS_ST_EUlSS_E_NS1_11comp_targetILNS1_3genE5ELNS1_11target_archE942ELNS1_3gpuE9ELNS1_3repE0EEENS1_30default_config_static_selectorELNS0_4arch9wavefront6targetE0EEEvT1_.num_agpr, 0
	.set _ZN7rocprim17ROCPRIM_400000_NS6detail17trampoline_kernelINS0_14default_configENS1_27scan_by_key_config_selectorIllEEZZNS1_16scan_by_key_implILNS1_25lookback_scan_determinismE0ELb0ES3_PKlN6hipcub16HIPCUB_304000_NS21ConstantInputIteratorIllEEPllNSB_3SumENSB_8EqualityElEE10hipError_tPvRmT2_T3_T4_T5_mT6_T7_P12ihipStream_tbENKUlT_T0_E_clISt17integral_constantIbLb0EESX_EEDaSS_ST_EUlSS_E_NS1_11comp_targetILNS1_3genE5ELNS1_11target_archE942ELNS1_3gpuE9ELNS1_3repE0EEENS1_30default_config_static_selectorELNS0_4arch9wavefront6targetE0EEEvT1_.numbered_sgpr, 0
	.set _ZN7rocprim17ROCPRIM_400000_NS6detail17trampoline_kernelINS0_14default_configENS1_27scan_by_key_config_selectorIllEEZZNS1_16scan_by_key_implILNS1_25lookback_scan_determinismE0ELb0ES3_PKlN6hipcub16HIPCUB_304000_NS21ConstantInputIteratorIllEEPllNSB_3SumENSB_8EqualityElEE10hipError_tPvRmT2_T3_T4_T5_mT6_T7_P12ihipStream_tbENKUlT_T0_E_clISt17integral_constantIbLb0EESX_EEDaSS_ST_EUlSS_E_NS1_11comp_targetILNS1_3genE5ELNS1_11target_archE942ELNS1_3gpuE9ELNS1_3repE0EEENS1_30default_config_static_selectorELNS0_4arch9wavefront6targetE0EEEvT1_.num_named_barrier, 0
	.set _ZN7rocprim17ROCPRIM_400000_NS6detail17trampoline_kernelINS0_14default_configENS1_27scan_by_key_config_selectorIllEEZZNS1_16scan_by_key_implILNS1_25lookback_scan_determinismE0ELb0ES3_PKlN6hipcub16HIPCUB_304000_NS21ConstantInputIteratorIllEEPllNSB_3SumENSB_8EqualityElEE10hipError_tPvRmT2_T3_T4_T5_mT6_T7_P12ihipStream_tbENKUlT_T0_E_clISt17integral_constantIbLb0EESX_EEDaSS_ST_EUlSS_E_NS1_11comp_targetILNS1_3genE5ELNS1_11target_archE942ELNS1_3gpuE9ELNS1_3repE0EEENS1_30default_config_static_selectorELNS0_4arch9wavefront6targetE0EEEvT1_.private_seg_size, 0
	.set _ZN7rocprim17ROCPRIM_400000_NS6detail17trampoline_kernelINS0_14default_configENS1_27scan_by_key_config_selectorIllEEZZNS1_16scan_by_key_implILNS1_25lookback_scan_determinismE0ELb0ES3_PKlN6hipcub16HIPCUB_304000_NS21ConstantInputIteratorIllEEPllNSB_3SumENSB_8EqualityElEE10hipError_tPvRmT2_T3_T4_T5_mT6_T7_P12ihipStream_tbENKUlT_T0_E_clISt17integral_constantIbLb0EESX_EEDaSS_ST_EUlSS_E_NS1_11comp_targetILNS1_3genE5ELNS1_11target_archE942ELNS1_3gpuE9ELNS1_3repE0EEENS1_30default_config_static_selectorELNS0_4arch9wavefront6targetE0EEEvT1_.uses_vcc, 0
	.set _ZN7rocprim17ROCPRIM_400000_NS6detail17trampoline_kernelINS0_14default_configENS1_27scan_by_key_config_selectorIllEEZZNS1_16scan_by_key_implILNS1_25lookback_scan_determinismE0ELb0ES3_PKlN6hipcub16HIPCUB_304000_NS21ConstantInputIteratorIllEEPllNSB_3SumENSB_8EqualityElEE10hipError_tPvRmT2_T3_T4_T5_mT6_T7_P12ihipStream_tbENKUlT_T0_E_clISt17integral_constantIbLb0EESX_EEDaSS_ST_EUlSS_E_NS1_11comp_targetILNS1_3genE5ELNS1_11target_archE942ELNS1_3gpuE9ELNS1_3repE0EEENS1_30default_config_static_selectorELNS0_4arch9wavefront6targetE0EEEvT1_.uses_flat_scratch, 0
	.set _ZN7rocprim17ROCPRIM_400000_NS6detail17trampoline_kernelINS0_14default_configENS1_27scan_by_key_config_selectorIllEEZZNS1_16scan_by_key_implILNS1_25lookback_scan_determinismE0ELb0ES3_PKlN6hipcub16HIPCUB_304000_NS21ConstantInputIteratorIllEEPllNSB_3SumENSB_8EqualityElEE10hipError_tPvRmT2_T3_T4_T5_mT6_T7_P12ihipStream_tbENKUlT_T0_E_clISt17integral_constantIbLb0EESX_EEDaSS_ST_EUlSS_E_NS1_11comp_targetILNS1_3genE5ELNS1_11target_archE942ELNS1_3gpuE9ELNS1_3repE0EEENS1_30default_config_static_selectorELNS0_4arch9wavefront6targetE0EEEvT1_.has_dyn_sized_stack, 0
	.set _ZN7rocprim17ROCPRIM_400000_NS6detail17trampoline_kernelINS0_14default_configENS1_27scan_by_key_config_selectorIllEEZZNS1_16scan_by_key_implILNS1_25lookback_scan_determinismE0ELb0ES3_PKlN6hipcub16HIPCUB_304000_NS21ConstantInputIteratorIllEEPllNSB_3SumENSB_8EqualityElEE10hipError_tPvRmT2_T3_T4_T5_mT6_T7_P12ihipStream_tbENKUlT_T0_E_clISt17integral_constantIbLb0EESX_EEDaSS_ST_EUlSS_E_NS1_11comp_targetILNS1_3genE5ELNS1_11target_archE942ELNS1_3gpuE9ELNS1_3repE0EEENS1_30default_config_static_selectorELNS0_4arch9wavefront6targetE0EEEvT1_.has_recursion, 0
	.set _ZN7rocprim17ROCPRIM_400000_NS6detail17trampoline_kernelINS0_14default_configENS1_27scan_by_key_config_selectorIllEEZZNS1_16scan_by_key_implILNS1_25lookback_scan_determinismE0ELb0ES3_PKlN6hipcub16HIPCUB_304000_NS21ConstantInputIteratorIllEEPllNSB_3SumENSB_8EqualityElEE10hipError_tPvRmT2_T3_T4_T5_mT6_T7_P12ihipStream_tbENKUlT_T0_E_clISt17integral_constantIbLb0EESX_EEDaSS_ST_EUlSS_E_NS1_11comp_targetILNS1_3genE5ELNS1_11target_archE942ELNS1_3gpuE9ELNS1_3repE0EEENS1_30default_config_static_selectorELNS0_4arch9wavefront6targetE0EEEvT1_.has_indirect_call, 0
	.section	.AMDGPU.csdata,"",@progbits
; Kernel info:
; codeLenInByte = 0
; TotalNumSgprs: 0
; NumVgprs: 0
; ScratchSize: 0
; MemoryBound: 0
; FloatMode: 240
; IeeeMode: 1
; LDSByteSize: 0 bytes/workgroup (compile time only)
; SGPRBlocks: 0
; VGPRBlocks: 0
; NumSGPRsForWavesPerEU: 1
; NumVGPRsForWavesPerEU: 1
; NamedBarCnt: 0
; Occupancy: 16
; WaveLimiterHint : 0
; COMPUTE_PGM_RSRC2:SCRATCH_EN: 0
; COMPUTE_PGM_RSRC2:USER_SGPR: 2
; COMPUTE_PGM_RSRC2:TRAP_HANDLER: 0
; COMPUTE_PGM_RSRC2:TGID_X_EN: 1
; COMPUTE_PGM_RSRC2:TGID_Y_EN: 0
; COMPUTE_PGM_RSRC2:TGID_Z_EN: 0
; COMPUTE_PGM_RSRC2:TIDIG_COMP_CNT: 0
	.section	.text._ZN7rocprim17ROCPRIM_400000_NS6detail17trampoline_kernelINS0_14default_configENS1_27scan_by_key_config_selectorIllEEZZNS1_16scan_by_key_implILNS1_25lookback_scan_determinismE0ELb0ES3_PKlN6hipcub16HIPCUB_304000_NS21ConstantInputIteratorIllEEPllNSB_3SumENSB_8EqualityElEE10hipError_tPvRmT2_T3_T4_T5_mT6_T7_P12ihipStream_tbENKUlT_T0_E_clISt17integral_constantIbLb0EESX_EEDaSS_ST_EUlSS_E_NS1_11comp_targetILNS1_3genE4ELNS1_11target_archE910ELNS1_3gpuE8ELNS1_3repE0EEENS1_30default_config_static_selectorELNS0_4arch9wavefront6targetE0EEEvT1_,"axG",@progbits,_ZN7rocprim17ROCPRIM_400000_NS6detail17trampoline_kernelINS0_14default_configENS1_27scan_by_key_config_selectorIllEEZZNS1_16scan_by_key_implILNS1_25lookback_scan_determinismE0ELb0ES3_PKlN6hipcub16HIPCUB_304000_NS21ConstantInputIteratorIllEEPllNSB_3SumENSB_8EqualityElEE10hipError_tPvRmT2_T3_T4_T5_mT6_T7_P12ihipStream_tbENKUlT_T0_E_clISt17integral_constantIbLb0EESX_EEDaSS_ST_EUlSS_E_NS1_11comp_targetILNS1_3genE4ELNS1_11target_archE910ELNS1_3gpuE8ELNS1_3repE0EEENS1_30default_config_static_selectorELNS0_4arch9wavefront6targetE0EEEvT1_,comdat
	.protected	_ZN7rocprim17ROCPRIM_400000_NS6detail17trampoline_kernelINS0_14default_configENS1_27scan_by_key_config_selectorIllEEZZNS1_16scan_by_key_implILNS1_25lookback_scan_determinismE0ELb0ES3_PKlN6hipcub16HIPCUB_304000_NS21ConstantInputIteratorIllEEPllNSB_3SumENSB_8EqualityElEE10hipError_tPvRmT2_T3_T4_T5_mT6_T7_P12ihipStream_tbENKUlT_T0_E_clISt17integral_constantIbLb0EESX_EEDaSS_ST_EUlSS_E_NS1_11comp_targetILNS1_3genE4ELNS1_11target_archE910ELNS1_3gpuE8ELNS1_3repE0EEENS1_30default_config_static_selectorELNS0_4arch9wavefront6targetE0EEEvT1_ ; -- Begin function _ZN7rocprim17ROCPRIM_400000_NS6detail17trampoline_kernelINS0_14default_configENS1_27scan_by_key_config_selectorIllEEZZNS1_16scan_by_key_implILNS1_25lookback_scan_determinismE0ELb0ES3_PKlN6hipcub16HIPCUB_304000_NS21ConstantInputIteratorIllEEPllNSB_3SumENSB_8EqualityElEE10hipError_tPvRmT2_T3_T4_T5_mT6_T7_P12ihipStream_tbENKUlT_T0_E_clISt17integral_constantIbLb0EESX_EEDaSS_ST_EUlSS_E_NS1_11comp_targetILNS1_3genE4ELNS1_11target_archE910ELNS1_3gpuE8ELNS1_3repE0EEENS1_30default_config_static_selectorELNS0_4arch9wavefront6targetE0EEEvT1_
	.globl	_ZN7rocprim17ROCPRIM_400000_NS6detail17trampoline_kernelINS0_14default_configENS1_27scan_by_key_config_selectorIllEEZZNS1_16scan_by_key_implILNS1_25lookback_scan_determinismE0ELb0ES3_PKlN6hipcub16HIPCUB_304000_NS21ConstantInputIteratorIllEEPllNSB_3SumENSB_8EqualityElEE10hipError_tPvRmT2_T3_T4_T5_mT6_T7_P12ihipStream_tbENKUlT_T0_E_clISt17integral_constantIbLb0EESX_EEDaSS_ST_EUlSS_E_NS1_11comp_targetILNS1_3genE4ELNS1_11target_archE910ELNS1_3gpuE8ELNS1_3repE0EEENS1_30default_config_static_selectorELNS0_4arch9wavefront6targetE0EEEvT1_
	.p2align	8
	.type	_ZN7rocprim17ROCPRIM_400000_NS6detail17trampoline_kernelINS0_14default_configENS1_27scan_by_key_config_selectorIllEEZZNS1_16scan_by_key_implILNS1_25lookback_scan_determinismE0ELb0ES3_PKlN6hipcub16HIPCUB_304000_NS21ConstantInputIteratorIllEEPllNSB_3SumENSB_8EqualityElEE10hipError_tPvRmT2_T3_T4_T5_mT6_T7_P12ihipStream_tbENKUlT_T0_E_clISt17integral_constantIbLb0EESX_EEDaSS_ST_EUlSS_E_NS1_11comp_targetILNS1_3genE4ELNS1_11target_archE910ELNS1_3gpuE8ELNS1_3repE0EEENS1_30default_config_static_selectorELNS0_4arch9wavefront6targetE0EEEvT1_,@function
_ZN7rocprim17ROCPRIM_400000_NS6detail17trampoline_kernelINS0_14default_configENS1_27scan_by_key_config_selectorIllEEZZNS1_16scan_by_key_implILNS1_25lookback_scan_determinismE0ELb0ES3_PKlN6hipcub16HIPCUB_304000_NS21ConstantInputIteratorIllEEPllNSB_3SumENSB_8EqualityElEE10hipError_tPvRmT2_T3_T4_T5_mT6_T7_P12ihipStream_tbENKUlT_T0_E_clISt17integral_constantIbLb0EESX_EEDaSS_ST_EUlSS_E_NS1_11comp_targetILNS1_3genE4ELNS1_11target_archE910ELNS1_3gpuE8ELNS1_3repE0EEENS1_30default_config_static_selectorELNS0_4arch9wavefront6targetE0EEEvT1_: ; @_ZN7rocprim17ROCPRIM_400000_NS6detail17trampoline_kernelINS0_14default_configENS1_27scan_by_key_config_selectorIllEEZZNS1_16scan_by_key_implILNS1_25lookback_scan_determinismE0ELb0ES3_PKlN6hipcub16HIPCUB_304000_NS21ConstantInputIteratorIllEEPllNSB_3SumENSB_8EqualityElEE10hipError_tPvRmT2_T3_T4_T5_mT6_T7_P12ihipStream_tbENKUlT_T0_E_clISt17integral_constantIbLb0EESX_EEDaSS_ST_EUlSS_E_NS1_11comp_targetILNS1_3genE4ELNS1_11target_archE910ELNS1_3gpuE8ELNS1_3repE0EEENS1_30default_config_static_selectorELNS0_4arch9wavefront6targetE0EEEvT1_
; %bb.0:
	.section	.rodata,"a",@progbits
	.p2align	6, 0x0
	.amdhsa_kernel _ZN7rocprim17ROCPRIM_400000_NS6detail17trampoline_kernelINS0_14default_configENS1_27scan_by_key_config_selectorIllEEZZNS1_16scan_by_key_implILNS1_25lookback_scan_determinismE0ELb0ES3_PKlN6hipcub16HIPCUB_304000_NS21ConstantInputIteratorIllEEPllNSB_3SumENSB_8EqualityElEE10hipError_tPvRmT2_T3_T4_T5_mT6_T7_P12ihipStream_tbENKUlT_T0_E_clISt17integral_constantIbLb0EESX_EEDaSS_ST_EUlSS_E_NS1_11comp_targetILNS1_3genE4ELNS1_11target_archE910ELNS1_3gpuE8ELNS1_3repE0EEENS1_30default_config_static_selectorELNS0_4arch9wavefront6targetE0EEEvT1_
		.amdhsa_group_segment_fixed_size 0
		.amdhsa_private_segment_fixed_size 0
		.amdhsa_kernarg_size 144
		.amdhsa_user_sgpr_count 2
		.amdhsa_user_sgpr_dispatch_ptr 0
		.amdhsa_user_sgpr_queue_ptr 0
		.amdhsa_user_sgpr_kernarg_segment_ptr 1
		.amdhsa_user_sgpr_dispatch_id 0
		.amdhsa_user_sgpr_kernarg_preload_length 0
		.amdhsa_user_sgpr_kernarg_preload_offset 0
		.amdhsa_user_sgpr_private_segment_size 0
		.amdhsa_wavefront_size32 1
		.amdhsa_uses_dynamic_stack 0
		.amdhsa_enable_private_segment 0
		.amdhsa_system_sgpr_workgroup_id_x 1
		.amdhsa_system_sgpr_workgroup_id_y 0
		.amdhsa_system_sgpr_workgroup_id_z 0
		.amdhsa_system_sgpr_workgroup_info 0
		.amdhsa_system_vgpr_workitem_id 0
		.amdhsa_next_free_vgpr 1
		.amdhsa_next_free_sgpr 1
		.amdhsa_named_barrier_count 0
		.amdhsa_reserve_vcc 0
		.amdhsa_float_round_mode_32 0
		.amdhsa_float_round_mode_16_64 0
		.amdhsa_float_denorm_mode_32 3
		.amdhsa_float_denorm_mode_16_64 3
		.amdhsa_fp16_overflow 0
		.amdhsa_memory_ordered 1
		.amdhsa_forward_progress 1
		.amdhsa_inst_pref_size 0
		.amdhsa_round_robin_scheduling 0
		.amdhsa_exception_fp_ieee_invalid_op 0
		.amdhsa_exception_fp_denorm_src 0
		.amdhsa_exception_fp_ieee_div_zero 0
		.amdhsa_exception_fp_ieee_overflow 0
		.amdhsa_exception_fp_ieee_underflow 0
		.amdhsa_exception_fp_ieee_inexact 0
		.amdhsa_exception_int_div_zero 0
	.end_amdhsa_kernel
	.section	.text._ZN7rocprim17ROCPRIM_400000_NS6detail17trampoline_kernelINS0_14default_configENS1_27scan_by_key_config_selectorIllEEZZNS1_16scan_by_key_implILNS1_25lookback_scan_determinismE0ELb0ES3_PKlN6hipcub16HIPCUB_304000_NS21ConstantInputIteratorIllEEPllNSB_3SumENSB_8EqualityElEE10hipError_tPvRmT2_T3_T4_T5_mT6_T7_P12ihipStream_tbENKUlT_T0_E_clISt17integral_constantIbLb0EESX_EEDaSS_ST_EUlSS_E_NS1_11comp_targetILNS1_3genE4ELNS1_11target_archE910ELNS1_3gpuE8ELNS1_3repE0EEENS1_30default_config_static_selectorELNS0_4arch9wavefront6targetE0EEEvT1_,"axG",@progbits,_ZN7rocprim17ROCPRIM_400000_NS6detail17trampoline_kernelINS0_14default_configENS1_27scan_by_key_config_selectorIllEEZZNS1_16scan_by_key_implILNS1_25lookback_scan_determinismE0ELb0ES3_PKlN6hipcub16HIPCUB_304000_NS21ConstantInputIteratorIllEEPllNSB_3SumENSB_8EqualityElEE10hipError_tPvRmT2_T3_T4_T5_mT6_T7_P12ihipStream_tbENKUlT_T0_E_clISt17integral_constantIbLb0EESX_EEDaSS_ST_EUlSS_E_NS1_11comp_targetILNS1_3genE4ELNS1_11target_archE910ELNS1_3gpuE8ELNS1_3repE0EEENS1_30default_config_static_selectorELNS0_4arch9wavefront6targetE0EEEvT1_,comdat
.Lfunc_end97:
	.size	_ZN7rocprim17ROCPRIM_400000_NS6detail17trampoline_kernelINS0_14default_configENS1_27scan_by_key_config_selectorIllEEZZNS1_16scan_by_key_implILNS1_25lookback_scan_determinismE0ELb0ES3_PKlN6hipcub16HIPCUB_304000_NS21ConstantInputIteratorIllEEPllNSB_3SumENSB_8EqualityElEE10hipError_tPvRmT2_T3_T4_T5_mT6_T7_P12ihipStream_tbENKUlT_T0_E_clISt17integral_constantIbLb0EESX_EEDaSS_ST_EUlSS_E_NS1_11comp_targetILNS1_3genE4ELNS1_11target_archE910ELNS1_3gpuE8ELNS1_3repE0EEENS1_30default_config_static_selectorELNS0_4arch9wavefront6targetE0EEEvT1_, .Lfunc_end97-_ZN7rocprim17ROCPRIM_400000_NS6detail17trampoline_kernelINS0_14default_configENS1_27scan_by_key_config_selectorIllEEZZNS1_16scan_by_key_implILNS1_25lookback_scan_determinismE0ELb0ES3_PKlN6hipcub16HIPCUB_304000_NS21ConstantInputIteratorIllEEPllNSB_3SumENSB_8EqualityElEE10hipError_tPvRmT2_T3_T4_T5_mT6_T7_P12ihipStream_tbENKUlT_T0_E_clISt17integral_constantIbLb0EESX_EEDaSS_ST_EUlSS_E_NS1_11comp_targetILNS1_3genE4ELNS1_11target_archE910ELNS1_3gpuE8ELNS1_3repE0EEENS1_30default_config_static_selectorELNS0_4arch9wavefront6targetE0EEEvT1_
                                        ; -- End function
	.set _ZN7rocprim17ROCPRIM_400000_NS6detail17trampoline_kernelINS0_14default_configENS1_27scan_by_key_config_selectorIllEEZZNS1_16scan_by_key_implILNS1_25lookback_scan_determinismE0ELb0ES3_PKlN6hipcub16HIPCUB_304000_NS21ConstantInputIteratorIllEEPllNSB_3SumENSB_8EqualityElEE10hipError_tPvRmT2_T3_T4_T5_mT6_T7_P12ihipStream_tbENKUlT_T0_E_clISt17integral_constantIbLb0EESX_EEDaSS_ST_EUlSS_E_NS1_11comp_targetILNS1_3genE4ELNS1_11target_archE910ELNS1_3gpuE8ELNS1_3repE0EEENS1_30default_config_static_selectorELNS0_4arch9wavefront6targetE0EEEvT1_.num_vgpr, 0
	.set _ZN7rocprim17ROCPRIM_400000_NS6detail17trampoline_kernelINS0_14default_configENS1_27scan_by_key_config_selectorIllEEZZNS1_16scan_by_key_implILNS1_25lookback_scan_determinismE0ELb0ES3_PKlN6hipcub16HIPCUB_304000_NS21ConstantInputIteratorIllEEPllNSB_3SumENSB_8EqualityElEE10hipError_tPvRmT2_T3_T4_T5_mT6_T7_P12ihipStream_tbENKUlT_T0_E_clISt17integral_constantIbLb0EESX_EEDaSS_ST_EUlSS_E_NS1_11comp_targetILNS1_3genE4ELNS1_11target_archE910ELNS1_3gpuE8ELNS1_3repE0EEENS1_30default_config_static_selectorELNS0_4arch9wavefront6targetE0EEEvT1_.num_agpr, 0
	.set _ZN7rocprim17ROCPRIM_400000_NS6detail17trampoline_kernelINS0_14default_configENS1_27scan_by_key_config_selectorIllEEZZNS1_16scan_by_key_implILNS1_25lookback_scan_determinismE0ELb0ES3_PKlN6hipcub16HIPCUB_304000_NS21ConstantInputIteratorIllEEPllNSB_3SumENSB_8EqualityElEE10hipError_tPvRmT2_T3_T4_T5_mT6_T7_P12ihipStream_tbENKUlT_T0_E_clISt17integral_constantIbLb0EESX_EEDaSS_ST_EUlSS_E_NS1_11comp_targetILNS1_3genE4ELNS1_11target_archE910ELNS1_3gpuE8ELNS1_3repE0EEENS1_30default_config_static_selectorELNS0_4arch9wavefront6targetE0EEEvT1_.numbered_sgpr, 0
	.set _ZN7rocprim17ROCPRIM_400000_NS6detail17trampoline_kernelINS0_14default_configENS1_27scan_by_key_config_selectorIllEEZZNS1_16scan_by_key_implILNS1_25lookback_scan_determinismE0ELb0ES3_PKlN6hipcub16HIPCUB_304000_NS21ConstantInputIteratorIllEEPllNSB_3SumENSB_8EqualityElEE10hipError_tPvRmT2_T3_T4_T5_mT6_T7_P12ihipStream_tbENKUlT_T0_E_clISt17integral_constantIbLb0EESX_EEDaSS_ST_EUlSS_E_NS1_11comp_targetILNS1_3genE4ELNS1_11target_archE910ELNS1_3gpuE8ELNS1_3repE0EEENS1_30default_config_static_selectorELNS0_4arch9wavefront6targetE0EEEvT1_.num_named_barrier, 0
	.set _ZN7rocprim17ROCPRIM_400000_NS6detail17trampoline_kernelINS0_14default_configENS1_27scan_by_key_config_selectorIllEEZZNS1_16scan_by_key_implILNS1_25lookback_scan_determinismE0ELb0ES3_PKlN6hipcub16HIPCUB_304000_NS21ConstantInputIteratorIllEEPllNSB_3SumENSB_8EqualityElEE10hipError_tPvRmT2_T3_T4_T5_mT6_T7_P12ihipStream_tbENKUlT_T0_E_clISt17integral_constantIbLb0EESX_EEDaSS_ST_EUlSS_E_NS1_11comp_targetILNS1_3genE4ELNS1_11target_archE910ELNS1_3gpuE8ELNS1_3repE0EEENS1_30default_config_static_selectorELNS0_4arch9wavefront6targetE0EEEvT1_.private_seg_size, 0
	.set _ZN7rocprim17ROCPRIM_400000_NS6detail17trampoline_kernelINS0_14default_configENS1_27scan_by_key_config_selectorIllEEZZNS1_16scan_by_key_implILNS1_25lookback_scan_determinismE0ELb0ES3_PKlN6hipcub16HIPCUB_304000_NS21ConstantInputIteratorIllEEPllNSB_3SumENSB_8EqualityElEE10hipError_tPvRmT2_T3_T4_T5_mT6_T7_P12ihipStream_tbENKUlT_T0_E_clISt17integral_constantIbLb0EESX_EEDaSS_ST_EUlSS_E_NS1_11comp_targetILNS1_3genE4ELNS1_11target_archE910ELNS1_3gpuE8ELNS1_3repE0EEENS1_30default_config_static_selectorELNS0_4arch9wavefront6targetE0EEEvT1_.uses_vcc, 0
	.set _ZN7rocprim17ROCPRIM_400000_NS6detail17trampoline_kernelINS0_14default_configENS1_27scan_by_key_config_selectorIllEEZZNS1_16scan_by_key_implILNS1_25lookback_scan_determinismE0ELb0ES3_PKlN6hipcub16HIPCUB_304000_NS21ConstantInputIteratorIllEEPllNSB_3SumENSB_8EqualityElEE10hipError_tPvRmT2_T3_T4_T5_mT6_T7_P12ihipStream_tbENKUlT_T0_E_clISt17integral_constantIbLb0EESX_EEDaSS_ST_EUlSS_E_NS1_11comp_targetILNS1_3genE4ELNS1_11target_archE910ELNS1_3gpuE8ELNS1_3repE0EEENS1_30default_config_static_selectorELNS0_4arch9wavefront6targetE0EEEvT1_.uses_flat_scratch, 0
	.set _ZN7rocprim17ROCPRIM_400000_NS6detail17trampoline_kernelINS0_14default_configENS1_27scan_by_key_config_selectorIllEEZZNS1_16scan_by_key_implILNS1_25lookback_scan_determinismE0ELb0ES3_PKlN6hipcub16HIPCUB_304000_NS21ConstantInputIteratorIllEEPllNSB_3SumENSB_8EqualityElEE10hipError_tPvRmT2_T3_T4_T5_mT6_T7_P12ihipStream_tbENKUlT_T0_E_clISt17integral_constantIbLb0EESX_EEDaSS_ST_EUlSS_E_NS1_11comp_targetILNS1_3genE4ELNS1_11target_archE910ELNS1_3gpuE8ELNS1_3repE0EEENS1_30default_config_static_selectorELNS0_4arch9wavefront6targetE0EEEvT1_.has_dyn_sized_stack, 0
	.set _ZN7rocprim17ROCPRIM_400000_NS6detail17trampoline_kernelINS0_14default_configENS1_27scan_by_key_config_selectorIllEEZZNS1_16scan_by_key_implILNS1_25lookback_scan_determinismE0ELb0ES3_PKlN6hipcub16HIPCUB_304000_NS21ConstantInputIteratorIllEEPllNSB_3SumENSB_8EqualityElEE10hipError_tPvRmT2_T3_T4_T5_mT6_T7_P12ihipStream_tbENKUlT_T0_E_clISt17integral_constantIbLb0EESX_EEDaSS_ST_EUlSS_E_NS1_11comp_targetILNS1_3genE4ELNS1_11target_archE910ELNS1_3gpuE8ELNS1_3repE0EEENS1_30default_config_static_selectorELNS0_4arch9wavefront6targetE0EEEvT1_.has_recursion, 0
	.set _ZN7rocprim17ROCPRIM_400000_NS6detail17trampoline_kernelINS0_14default_configENS1_27scan_by_key_config_selectorIllEEZZNS1_16scan_by_key_implILNS1_25lookback_scan_determinismE0ELb0ES3_PKlN6hipcub16HIPCUB_304000_NS21ConstantInputIteratorIllEEPllNSB_3SumENSB_8EqualityElEE10hipError_tPvRmT2_T3_T4_T5_mT6_T7_P12ihipStream_tbENKUlT_T0_E_clISt17integral_constantIbLb0EESX_EEDaSS_ST_EUlSS_E_NS1_11comp_targetILNS1_3genE4ELNS1_11target_archE910ELNS1_3gpuE8ELNS1_3repE0EEENS1_30default_config_static_selectorELNS0_4arch9wavefront6targetE0EEEvT1_.has_indirect_call, 0
	.section	.AMDGPU.csdata,"",@progbits
; Kernel info:
; codeLenInByte = 0
; TotalNumSgprs: 0
; NumVgprs: 0
; ScratchSize: 0
; MemoryBound: 0
; FloatMode: 240
; IeeeMode: 1
; LDSByteSize: 0 bytes/workgroup (compile time only)
; SGPRBlocks: 0
; VGPRBlocks: 0
; NumSGPRsForWavesPerEU: 1
; NumVGPRsForWavesPerEU: 1
; NamedBarCnt: 0
; Occupancy: 16
; WaveLimiterHint : 0
; COMPUTE_PGM_RSRC2:SCRATCH_EN: 0
; COMPUTE_PGM_RSRC2:USER_SGPR: 2
; COMPUTE_PGM_RSRC2:TRAP_HANDLER: 0
; COMPUTE_PGM_RSRC2:TGID_X_EN: 1
; COMPUTE_PGM_RSRC2:TGID_Y_EN: 0
; COMPUTE_PGM_RSRC2:TGID_Z_EN: 0
; COMPUTE_PGM_RSRC2:TIDIG_COMP_CNT: 0
	.section	.text._ZN7rocprim17ROCPRIM_400000_NS6detail17trampoline_kernelINS0_14default_configENS1_27scan_by_key_config_selectorIllEEZZNS1_16scan_by_key_implILNS1_25lookback_scan_determinismE0ELb0ES3_PKlN6hipcub16HIPCUB_304000_NS21ConstantInputIteratorIllEEPllNSB_3SumENSB_8EqualityElEE10hipError_tPvRmT2_T3_T4_T5_mT6_T7_P12ihipStream_tbENKUlT_T0_E_clISt17integral_constantIbLb0EESX_EEDaSS_ST_EUlSS_E_NS1_11comp_targetILNS1_3genE3ELNS1_11target_archE908ELNS1_3gpuE7ELNS1_3repE0EEENS1_30default_config_static_selectorELNS0_4arch9wavefront6targetE0EEEvT1_,"axG",@progbits,_ZN7rocprim17ROCPRIM_400000_NS6detail17trampoline_kernelINS0_14default_configENS1_27scan_by_key_config_selectorIllEEZZNS1_16scan_by_key_implILNS1_25lookback_scan_determinismE0ELb0ES3_PKlN6hipcub16HIPCUB_304000_NS21ConstantInputIteratorIllEEPllNSB_3SumENSB_8EqualityElEE10hipError_tPvRmT2_T3_T4_T5_mT6_T7_P12ihipStream_tbENKUlT_T0_E_clISt17integral_constantIbLb0EESX_EEDaSS_ST_EUlSS_E_NS1_11comp_targetILNS1_3genE3ELNS1_11target_archE908ELNS1_3gpuE7ELNS1_3repE0EEENS1_30default_config_static_selectorELNS0_4arch9wavefront6targetE0EEEvT1_,comdat
	.protected	_ZN7rocprim17ROCPRIM_400000_NS6detail17trampoline_kernelINS0_14default_configENS1_27scan_by_key_config_selectorIllEEZZNS1_16scan_by_key_implILNS1_25lookback_scan_determinismE0ELb0ES3_PKlN6hipcub16HIPCUB_304000_NS21ConstantInputIteratorIllEEPllNSB_3SumENSB_8EqualityElEE10hipError_tPvRmT2_T3_T4_T5_mT6_T7_P12ihipStream_tbENKUlT_T0_E_clISt17integral_constantIbLb0EESX_EEDaSS_ST_EUlSS_E_NS1_11comp_targetILNS1_3genE3ELNS1_11target_archE908ELNS1_3gpuE7ELNS1_3repE0EEENS1_30default_config_static_selectorELNS0_4arch9wavefront6targetE0EEEvT1_ ; -- Begin function _ZN7rocprim17ROCPRIM_400000_NS6detail17trampoline_kernelINS0_14default_configENS1_27scan_by_key_config_selectorIllEEZZNS1_16scan_by_key_implILNS1_25lookback_scan_determinismE0ELb0ES3_PKlN6hipcub16HIPCUB_304000_NS21ConstantInputIteratorIllEEPllNSB_3SumENSB_8EqualityElEE10hipError_tPvRmT2_T3_T4_T5_mT6_T7_P12ihipStream_tbENKUlT_T0_E_clISt17integral_constantIbLb0EESX_EEDaSS_ST_EUlSS_E_NS1_11comp_targetILNS1_3genE3ELNS1_11target_archE908ELNS1_3gpuE7ELNS1_3repE0EEENS1_30default_config_static_selectorELNS0_4arch9wavefront6targetE0EEEvT1_
	.globl	_ZN7rocprim17ROCPRIM_400000_NS6detail17trampoline_kernelINS0_14default_configENS1_27scan_by_key_config_selectorIllEEZZNS1_16scan_by_key_implILNS1_25lookback_scan_determinismE0ELb0ES3_PKlN6hipcub16HIPCUB_304000_NS21ConstantInputIteratorIllEEPllNSB_3SumENSB_8EqualityElEE10hipError_tPvRmT2_T3_T4_T5_mT6_T7_P12ihipStream_tbENKUlT_T0_E_clISt17integral_constantIbLb0EESX_EEDaSS_ST_EUlSS_E_NS1_11comp_targetILNS1_3genE3ELNS1_11target_archE908ELNS1_3gpuE7ELNS1_3repE0EEENS1_30default_config_static_selectorELNS0_4arch9wavefront6targetE0EEEvT1_
	.p2align	8
	.type	_ZN7rocprim17ROCPRIM_400000_NS6detail17trampoline_kernelINS0_14default_configENS1_27scan_by_key_config_selectorIllEEZZNS1_16scan_by_key_implILNS1_25lookback_scan_determinismE0ELb0ES3_PKlN6hipcub16HIPCUB_304000_NS21ConstantInputIteratorIllEEPllNSB_3SumENSB_8EqualityElEE10hipError_tPvRmT2_T3_T4_T5_mT6_T7_P12ihipStream_tbENKUlT_T0_E_clISt17integral_constantIbLb0EESX_EEDaSS_ST_EUlSS_E_NS1_11comp_targetILNS1_3genE3ELNS1_11target_archE908ELNS1_3gpuE7ELNS1_3repE0EEENS1_30default_config_static_selectorELNS0_4arch9wavefront6targetE0EEEvT1_,@function
_ZN7rocprim17ROCPRIM_400000_NS6detail17trampoline_kernelINS0_14default_configENS1_27scan_by_key_config_selectorIllEEZZNS1_16scan_by_key_implILNS1_25lookback_scan_determinismE0ELb0ES3_PKlN6hipcub16HIPCUB_304000_NS21ConstantInputIteratorIllEEPllNSB_3SumENSB_8EqualityElEE10hipError_tPvRmT2_T3_T4_T5_mT6_T7_P12ihipStream_tbENKUlT_T0_E_clISt17integral_constantIbLb0EESX_EEDaSS_ST_EUlSS_E_NS1_11comp_targetILNS1_3genE3ELNS1_11target_archE908ELNS1_3gpuE7ELNS1_3repE0EEENS1_30default_config_static_selectorELNS0_4arch9wavefront6targetE0EEEvT1_: ; @_ZN7rocprim17ROCPRIM_400000_NS6detail17trampoline_kernelINS0_14default_configENS1_27scan_by_key_config_selectorIllEEZZNS1_16scan_by_key_implILNS1_25lookback_scan_determinismE0ELb0ES3_PKlN6hipcub16HIPCUB_304000_NS21ConstantInputIteratorIllEEPllNSB_3SumENSB_8EqualityElEE10hipError_tPvRmT2_T3_T4_T5_mT6_T7_P12ihipStream_tbENKUlT_T0_E_clISt17integral_constantIbLb0EESX_EEDaSS_ST_EUlSS_E_NS1_11comp_targetILNS1_3genE3ELNS1_11target_archE908ELNS1_3gpuE7ELNS1_3repE0EEENS1_30default_config_static_selectorELNS0_4arch9wavefront6targetE0EEEvT1_
; %bb.0:
	.section	.rodata,"a",@progbits
	.p2align	6, 0x0
	.amdhsa_kernel _ZN7rocprim17ROCPRIM_400000_NS6detail17trampoline_kernelINS0_14default_configENS1_27scan_by_key_config_selectorIllEEZZNS1_16scan_by_key_implILNS1_25lookback_scan_determinismE0ELb0ES3_PKlN6hipcub16HIPCUB_304000_NS21ConstantInputIteratorIllEEPllNSB_3SumENSB_8EqualityElEE10hipError_tPvRmT2_T3_T4_T5_mT6_T7_P12ihipStream_tbENKUlT_T0_E_clISt17integral_constantIbLb0EESX_EEDaSS_ST_EUlSS_E_NS1_11comp_targetILNS1_3genE3ELNS1_11target_archE908ELNS1_3gpuE7ELNS1_3repE0EEENS1_30default_config_static_selectorELNS0_4arch9wavefront6targetE0EEEvT1_
		.amdhsa_group_segment_fixed_size 0
		.amdhsa_private_segment_fixed_size 0
		.amdhsa_kernarg_size 144
		.amdhsa_user_sgpr_count 2
		.amdhsa_user_sgpr_dispatch_ptr 0
		.amdhsa_user_sgpr_queue_ptr 0
		.amdhsa_user_sgpr_kernarg_segment_ptr 1
		.amdhsa_user_sgpr_dispatch_id 0
		.amdhsa_user_sgpr_kernarg_preload_length 0
		.amdhsa_user_sgpr_kernarg_preload_offset 0
		.amdhsa_user_sgpr_private_segment_size 0
		.amdhsa_wavefront_size32 1
		.amdhsa_uses_dynamic_stack 0
		.amdhsa_enable_private_segment 0
		.amdhsa_system_sgpr_workgroup_id_x 1
		.amdhsa_system_sgpr_workgroup_id_y 0
		.amdhsa_system_sgpr_workgroup_id_z 0
		.amdhsa_system_sgpr_workgroup_info 0
		.amdhsa_system_vgpr_workitem_id 0
		.amdhsa_next_free_vgpr 1
		.amdhsa_next_free_sgpr 1
		.amdhsa_named_barrier_count 0
		.amdhsa_reserve_vcc 0
		.amdhsa_float_round_mode_32 0
		.amdhsa_float_round_mode_16_64 0
		.amdhsa_float_denorm_mode_32 3
		.amdhsa_float_denorm_mode_16_64 3
		.amdhsa_fp16_overflow 0
		.amdhsa_memory_ordered 1
		.amdhsa_forward_progress 1
		.amdhsa_inst_pref_size 0
		.amdhsa_round_robin_scheduling 0
		.amdhsa_exception_fp_ieee_invalid_op 0
		.amdhsa_exception_fp_denorm_src 0
		.amdhsa_exception_fp_ieee_div_zero 0
		.amdhsa_exception_fp_ieee_overflow 0
		.amdhsa_exception_fp_ieee_underflow 0
		.amdhsa_exception_fp_ieee_inexact 0
		.amdhsa_exception_int_div_zero 0
	.end_amdhsa_kernel
	.section	.text._ZN7rocprim17ROCPRIM_400000_NS6detail17trampoline_kernelINS0_14default_configENS1_27scan_by_key_config_selectorIllEEZZNS1_16scan_by_key_implILNS1_25lookback_scan_determinismE0ELb0ES3_PKlN6hipcub16HIPCUB_304000_NS21ConstantInputIteratorIllEEPllNSB_3SumENSB_8EqualityElEE10hipError_tPvRmT2_T3_T4_T5_mT6_T7_P12ihipStream_tbENKUlT_T0_E_clISt17integral_constantIbLb0EESX_EEDaSS_ST_EUlSS_E_NS1_11comp_targetILNS1_3genE3ELNS1_11target_archE908ELNS1_3gpuE7ELNS1_3repE0EEENS1_30default_config_static_selectorELNS0_4arch9wavefront6targetE0EEEvT1_,"axG",@progbits,_ZN7rocprim17ROCPRIM_400000_NS6detail17trampoline_kernelINS0_14default_configENS1_27scan_by_key_config_selectorIllEEZZNS1_16scan_by_key_implILNS1_25lookback_scan_determinismE0ELb0ES3_PKlN6hipcub16HIPCUB_304000_NS21ConstantInputIteratorIllEEPllNSB_3SumENSB_8EqualityElEE10hipError_tPvRmT2_T3_T4_T5_mT6_T7_P12ihipStream_tbENKUlT_T0_E_clISt17integral_constantIbLb0EESX_EEDaSS_ST_EUlSS_E_NS1_11comp_targetILNS1_3genE3ELNS1_11target_archE908ELNS1_3gpuE7ELNS1_3repE0EEENS1_30default_config_static_selectorELNS0_4arch9wavefront6targetE0EEEvT1_,comdat
.Lfunc_end98:
	.size	_ZN7rocprim17ROCPRIM_400000_NS6detail17trampoline_kernelINS0_14default_configENS1_27scan_by_key_config_selectorIllEEZZNS1_16scan_by_key_implILNS1_25lookback_scan_determinismE0ELb0ES3_PKlN6hipcub16HIPCUB_304000_NS21ConstantInputIteratorIllEEPllNSB_3SumENSB_8EqualityElEE10hipError_tPvRmT2_T3_T4_T5_mT6_T7_P12ihipStream_tbENKUlT_T0_E_clISt17integral_constantIbLb0EESX_EEDaSS_ST_EUlSS_E_NS1_11comp_targetILNS1_3genE3ELNS1_11target_archE908ELNS1_3gpuE7ELNS1_3repE0EEENS1_30default_config_static_selectorELNS0_4arch9wavefront6targetE0EEEvT1_, .Lfunc_end98-_ZN7rocprim17ROCPRIM_400000_NS6detail17trampoline_kernelINS0_14default_configENS1_27scan_by_key_config_selectorIllEEZZNS1_16scan_by_key_implILNS1_25lookback_scan_determinismE0ELb0ES3_PKlN6hipcub16HIPCUB_304000_NS21ConstantInputIteratorIllEEPllNSB_3SumENSB_8EqualityElEE10hipError_tPvRmT2_T3_T4_T5_mT6_T7_P12ihipStream_tbENKUlT_T0_E_clISt17integral_constantIbLb0EESX_EEDaSS_ST_EUlSS_E_NS1_11comp_targetILNS1_3genE3ELNS1_11target_archE908ELNS1_3gpuE7ELNS1_3repE0EEENS1_30default_config_static_selectorELNS0_4arch9wavefront6targetE0EEEvT1_
                                        ; -- End function
	.set _ZN7rocprim17ROCPRIM_400000_NS6detail17trampoline_kernelINS0_14default_configENS1_27scan_by_key_config_selectorIllEEZZNS1_16scan_by_key_implILNS1_25lookback_scan_determinismE0ELb0ES3_PKlN6hipcub16HIPCUB_304000_NS21ConstantInputIteratorIllEEPllNSB_3SumENSB_8EqualityElEE10hipError_tPvRmT2_T3_T4_T5_mT6_T7_P12ihipStream_tbENKUlT_T0_E_clISt17integral_constantIbLb0EESX_EEDaSS_ST_EUlSS_E_NS1_11comp_targetILNS1_3genE3ELNS1_11target_archE908ELNS1_3gpuE7ELNS1_3repE0EEENS1_30default_config_static_selectorELNS0_4arch9wavefront6targetE0EEEvT1_.num_vgpr, 0
	.set _ZN7rocprim17ROCPRIM_400000_NS6detail17trampoline_kernelINS0_14default_configENS1_27scan_by_key_config_selectorIllEEZZNS1_16scan_by_key_implILNS1_25lookback_scan_determinismE0ELb0ES3_PKlN6hipcub16HIPCUB_304000_NS21ConstantInputIteratorIllEEPllNSB_3SumENSB_8EqualityElEE10hipError_tPvRmT2_T3_T4_T5_mT6_T7_P12ihipStream_tbENKUlT_T0_E_clISt17integral_constantIbLb0EESX_EEDaSS_ST_EUlSS_E_NS1_11comp_targetILNS1_3genE3ELNS1_11target_archE908ELNS1_3gpuE7ELNS1_3repE0EEENS1_30default_config_static_selectorELNS0_4arch9wavefront6targetE0EEEvT1_.num_agpr, 0
	.set _ZN7rocprim17ROCPRIM_400000_NS6detail17trampoline_kernelINS0_14default_configENS1_27scan_by_key_config_selectorIllEEZZNS1_16scan_by_key_implILNS1_25lookback_scan_determinismE0ELb0ES3_PKlN6hipcub16HIPCUB_304000_NS21ConstantInputIteratorIllEEPllNSB_3SumENSB_8EqualityElEE10hipError_tPvRmT2_T3_T4_T5_mT6_T7_P12ihipStream_tbENKUlT_T0_E_clISt17integral_constantIbLb0EESX_EEDaSS_ST_EUlSS_E_NS1_11comp_targetILNS1_3genE3ELNS1_11target_archE908ELNS1_3gpuE7ELNS1_3repE0EEENS1_30default_config_static_selectorELNS0_4arch9wavefront6targetE0EEEvT1_.numbered_sgpr, 0
	.set _ZN7rocprim17ROCPRIM_400000_NS6detail17trampoline_kernelINS0_14default_configENS1_27scan_by_key_config_selectorIllEEZZNS1_16scan_by_key_implILNS1_25lookback_scan_determinismE0ELb0ES3_PKlN6hipcub16HIPCUB_304000_NS21ConstantInputIteratorIllEEPllNSB_3SumENSB_8EqualityElEE10hipError_tPvRmT2_T3_T4_T5_mT6_T7_P12ihipStream_tbENKUlT_T0_E_clISt17integral_constantIbLb0EESX_EEDaSS_ST_EUlSS_E_NS1_11comp_targetILNS1_3genE3ELNS1_11target_archE908ELNS1_3gpuE7ELNS1_3repE0EEENS1_30default_config_static_selectorELNS0_4arch9wavefront6targetE0EEEvT1_.num_named_barrier, 0
	.set _ZN7rocprim17ROCPRIM_400000_NS6detail17trampoline_kernelINS0_14default_configENS1_27scan_by_key_config_selectorIllEEZZNS1_16scan_by_key_implILNS1_25lookback_scan_determinismE0ELb0ES3_PKlN6hipcub16HIPCUB_304000_NS21ConstantInputIteratorIllEEPllNSB_3SumENSB_8EqualityElEE10hipError_tPvRmT2_T3_T4_T5_mT6_T7_P12ihipStream_tbENKUlT_T0_E_clISt17integral_constantIbLb0EESX_EEDaSS_ST_EUlSS_E_NS1_11comp_targetILNS1_3genE3ELNS1_11target_archE908ELNS1_3gpuE7ELNS1_3repE0EEENS1_30default_config_static_selectorELNS0_4arch9wavefront6targetE0EEEvT1_.private_seg_size, 0
	.set _ZN7rocprim17ROCPRIM_400000_NS6detail17trampoline_kernelINS0_14default_configENS1_27scan_by_key_config_selectorIllEEZZNS1_16scan_by_key_implILNS1_25lookback_scan_determinismE0ELb0ES3_PKlN6hipcub16HIPCUB_304000_NS21ConstantInputIteratorIllEEPllNSB_3SumENSB_8EqualityElEE10hipError_tPvRmT2_T3_T4_T5_mT6_T7_P12ihipStream_tbENKUlT_T0_E_clISt17integral_constantIbLb0EESX_EEDaSS_ST_EUlSS_E_NS1_11comp_targetILNS1_3genE3ELNS1_11target_archE908ELNS1_3gpuE7ELNS1_3repE0EEENS1_30default_config_static_selectorELNS0_4arch9wavefront6targetE0EEEvT1_.uses_vcc, 0
	.set _ZN7rocprim17ROCPRIM_400000_NS6detail17trampoline_kernelINS0_14default_configENS1_27scan_by_key_config_selectorIllEEZZNS1_16scan_by_key_implILNS1_25lookback_scan_determinismE0ELb0ES3_PKlN6hipcub16HIPCUB_304000_NS21ConstantInputIteratorIllEEPllNSB_3SumENSB_8EqualityElEE10hipError_tPvRmT2_T3_T4_T5_mT6_T7_P12ihipStream_tbENKUlT_T0_E_clISt17integral_constantIbLb0EESX_EEDaSS_ST_EUlSS_E_NS1_11comp_targetILNS1_3genE3ELNS1_11target_archE908ELNS1_3gpuE7ELNS1_3repE0EEENS1_30default_config_static_selectorELNS0_4arch9wavefront6targetE0EEEvT1_.uses_flat_scratch, 0
	.set _ZN7rocprim17ROCPRIM_400000_NS6detail17trampoline_kernelINS0_14default_configENS1_27scan_by_key_config_selectorIllEEZZNS1_16scan_by_key_implILNS1_25lookback_scan_determinismE0ELb0ES3_PKlN6hipcub16HIPCUB_304000_NS21ConstantInputIteratorIllEEPllNSB_3SumENSB_8EqualityElEE10hipError_tPvRmT2_T3_T4_T5_mT6_T7_P12ihipStream_tbENKUlT_T0_E_clISt17integral_constantIbLb0EESX_EEDaSS_ST_EUlSS_E_NS1_11comp_targetILNS1_3genE3ELNS1_11target_archE908ELNS1_3gpuE7ELNS1_3repE0EEENS1_30default_config_static_selectorELNS0_4arch9wavefront6targetE0EEEvT1_.has_dyn_sized_stack, 0
	.set _ZN7rocprim17ROCPRIM_400000_NS6detail17trampoline_kernelINS0_14default_configENS1_27scan_by_key_config_selectorIllEEZZNS1_16scan_by_key_implILNS1_25lookback_scan_determinismE0ELb0ES3_PKlN6hipcub16HIPCUB_304000_NS21ConstantInputIteratorIllEEPllNSB_3SumENSB_8EqualityElEE10hipError_tPvRmT2_T3_T4_T5_mT6_T7_P12ihipStream_tbENKUlT_T0_E_clISt17integral_constantIbLb0EESX_EEDaSS_ST_EUlSS_E_NS1_11comp_targetILNS1_3genE3ELNS1_11target_archE908ELNS1_3gpuE7ELNS1_3repE0EEENS1_30default_config_static_selectorELNS0_4arch9wavefront6targetE0EEEvT1_.has_recursion, 0
	.set _ZN7rocprim17ROCPRIM_400000_NS6detail17trampoline_kernelINS0_14default_configENS1_27scan_by_key_config_selectorIllEEZZNS1_16scan_by_key_implILNS1_25lookback_scan_determinismE0ELb0ES3_PKlN6hipcub16HIPCUB_304000_NS21ConstantInputIteratorIllEEPllNSB_3SumENSB_8EqualityElEE10hipError_tPvRmT2_T3_T4_T5_mT6_T7_P12ihipStream_tbENKUlT_T0_E_clISt17integral_constantIbLb0EESX_EEDaSS_ST_EUlSS_E_NS1_11comp_targetILNS1_3genE3ELNS1_11target_archE908ELNS1_3gpuE7ELNS1_3repE0EEENS1_30default_config_static_selectorELNS0_4arch9wavefront6targetE0EEEvT1_.has_indirect_call, 0
	.section	.AMDGPU.csdata,"",@progbits
; Kernel info:
; codeLenInByte = 0
; TotalNumSgprs: 0
; NumVgprs: 0
; ScratchSize: 0
; MemoryBound: 0
; FloatMode: 240
; IeeeMode: 1
; LDSByteSize: 0 bytes/workgroup (compile time only)
; SGPRBlocks: 0
; VGPRBlocks: 0
; NumSGPRsForWavesPerEU: 1
; NumVGPRsForWavesPerEU: 1
; NamedBarCnt: 0
; Occupancy: 16
; WaveLimiterHint : 0
; COMPUTE_PGM_RSRC2:SCRATCH_EN: 0
; COMPUTE_PGM_RSRC2:USER_SGPR: 2
; COMPUTE_PGM_RSRC2:TRAP_HANDLER: 0
; COMPUTE_PGM_RSRC2:TGID_X_EN: 1
; COMPUTE_PGM_RSRC2:TGID_Y_EN: 0
; COMPUTE_PGM_RSRC2:TGID_Z_EN: 0
; COMPUTE_PGM_RSRC2:TIDIG_COMP_CNT: 0
	.section	.text._ZN7rocprim17ROCPRIM_400000_NS6detail17trampoline_kernelINS0_14default_configENS1_27scan_by_key_config_selectorIllEEZZNS1_16scan_by_key_implILNS1_25lookback_scan_determinismE0ELb0ES3_PKlN6hipcub16HIPCUB_304000_NS21ConstantInputIteratorIllEEPllNSB_3SumENSB_8EqualityElEE10hipError_tPvRmT2_T3_T4_T5_mT6_T7_P12ihipStream_tbENKUlT_T0_E_clISt17integral_constantIbLb0EESX_EEDaSS_ST_EUlSS_E_NS1_11comp_targetILNS1_3genE2ELNS1_11target_archE906ELNS1_3gpuE6ELNS1_3repE0EEENS1_30default_config_static_selectorELNS0_4arch9wavefront6targetE0EEEvT1_,"axG",@progbits,_ZN7rocprim17ROCPRIM_400000_NS6detail17trampoline_kernelINS0_14default_configENS1_27scan_by_key_config_selectorIllEEZZNS1_16scan_by_key_implILNS1_25lookback_scan_determinismE0ELb0ES3_PKlN6hipcub16HIPCUB_304000_NS21ConstantInputIteratorIllEEPllNSB_3SumENSB_8EqualityElEE10hipError_tPvRmT2_T3_T4_T5_mT6_T7_P12ihipStream_tbENKUlT_T0_E_clISt17integral_constantIbLb0EESX_EEDaSS_ST_EUlSS_E_NS1_11comp_targetILNS1_3genE2ELNS1_11target_archE906ELNS1_3gpuE6ELNS1_3repE0EEENS1_30default_config_static_selectorELNS0_4arch9wavefront6targetE0EEEvT1_,comdat
	.protected	_ZN7rocprim17ROCPRIM_400000_NS6detail17trampoline_kernelINS0_14default_configENS1_27scan_by_key_config_selectorIllEEZZNS1_16scan_by_key_implILNS1_25lookback_scan_determinismE0ELb0ES3_PKlN6hipcub16HIPCUB_304000_NS21ConstantInputIteratorIllEEPllNSB_3SumENSB_8EqualityElEE10hipError_tPvRmT2_T3_T4_T5_mT6_T7_P12ihipStream_tbENKUlT_T0_E_clISt17integral_constantIbLb0EESX_EEDaSS_ST_EUlSS_E_NS1_11comp_targetILNS1_3genE2ELNS1_11target_archE906ELNS1_3gpuE6ELNS1_3repE0EEENS1_30default_config_static_selectorELNS0_4arch9wavefront6targetE0EEEvT1_ ; -- Begin function _ZN7rocprim17ROCPRIM_400000_NS6detail17trampoline_kernelINS0_14default_configENS1_27scan_by_key_config_selectorIllEEZZNS1_16scan_by_key_implILNS1_25lookback_scan_determinismE0ELb0ES3_PKlN6hipcub16HIPCUB_304000_NS21ConstantInputIteratorIllEEPllNSB_3SumENSB_8EqualityElEE10hipError_tPvRmT2_T3_T4_T5_mT6_T7_P12ihipStream_tbENKUlT_T0_E_clISt17integral_constantIbLb0EESX_EEDaSS_ST_EUlSS_E_NS1_11comp_targetILNS1_3genE2ELNS1_11target_archE906ELNS1_3gpuE6ELNS1_3repE0EEENS1_30default_config_static_selectorELNS0_4arch9wavefront6targetE0EEEvT1_
	.globl	_ZN7rocprim17ROCPRIM_400000_NS6detail17trampoline_kernelINS0_14default_configENS1_27scan_by_key_config_selectorIllEEZZNS1_16scan_by_key_implILNS1_25lookback_scan_determinismE0ELb0ES3_PKlN6hipcub16HIPCUB_304000_NS21ConstantInputIteratorIllEEPllNSB_3SumENSB_8EqualityElEE10hipError_tPvRmT2_T3_T4_T5_mT6_T7_P12ihipStream_tbENKUlT_T0_E_clISt17integral_constantIbLb0EESX_EEDaSS_ST_EUlSS_E_NS1_11comp_targetILNS1_3genE2ELNS1_11target_archE906ELNS1_3gpuE6ELNS1_3repE0EEENS1_30default_config_static_selectorELNS0_4arch9wavefront6targetE0EEEvT1_
	.p2align	8
	.type	_ZN7rocprim17ROCPRIM_400000_NS6detail17trampoline_kernelINS0_14default_configENS1_27scan_by_key_config_selectorIllEEZZNS1_16scan_by_key_implILNS1_25lookback_scan_determinismE0ELb0ES3_PKlN6hipcub16HIPCUB_304000_NS21ConstantInputIteratorIllEEPllNSB_3SumENSB_8EqualityElEE10hipError_tPvRmT2_T3_T4_T5_mT6_T7_P12ihipStream_tbENKUlT_T0_E_clISt17integral_constantIbLb0EESX_EEDaSS_ST_EUlSS_E_NS1_11comp_targetILNS1_3genE2ELNS1_11target_archE906ELNS1_3gpuE6ELNS1_3repE0EEENS1_30default_config_static_selectorELNS0_4arch9wavefront6targetE0EEEvT1_,@function
_ZN7rocprim17ROCPRIM_400000_NS6detail17trampoline_kernelINS0_14default_configENS1_27scan_by_key_config_selectorIllEEZZNS1_16scan_by_key_implILNS1_25lookback_scan_determinismE0ELb0ES3_PKlN6hipcub16HIPCUB_304000_NS21ConstantInputIteratorIllEEPllNSB_3SumENSB_8EqualityElEE10hipError_tPvRmT2_T3_T4_T5_mT6_T7_P12ihipStream_tbENKUlT_T0_E_clISt17integral_constantIbLb0EESX_EEDaSS_ST_EUlSS_E_NS1_11comp_targetILNS1_3genE2ELNS1_11target_archE906ELNS1_3gpuE6ELNS1_3repE0EEENS1_30default_config_static_selectorELNS0_4arch9wavefront6targetE0EEEvT1_: ; @_ZN7rocprim17ROCPRIM_400000_NS6detail17trampoline_kernelINS0_14default_configENS1_27scan_by_key_config_selectorIllEEZZNS1_16scan_by_key_implILNS1_25lookback_scan_determinismE0ELb0ES3_PKlN6hipcub16HIPCUB_304000_NS21ConstantInputIteratorIllEEPllNSB_3SumENSB_8EqualityElEE10hipError_tPvRmT2_T3_T4_T5_mT6_T7_P12ihipStream_tbENKUlT_T0_E_clISt17integral_constantIbLb0EESX_EEDaSS_ST_EUlSS_E_NS1_11comp_targetILNS1_3genE2ELNS1_11target_archE906ELNS1_3gpuE6ELNS1_3repE0EEENS1_30default_config_static_selectorELNS0_4arch9wavefront6targetE0EEEvT1_
; %bb.0:
	.section	.rodata,"a",@progbits
	.p2align	6, 0x0
	.amdhsa_kernel _ZN7rocprim17ROCPRIM_400000_NS6detail17trampoline_kernelINS0_14default_configENS1_27scan_by_key_config_selectorIllEEZZNS1_16scan_by_key_implILNS1_25lookback_scan_determinismE0ELb0ES3_PKlN6hipcub16HIPCUB_304000_NS21ConstantInputIteratorIllEEPllNSB_3SumENSB_8EqualityElEE10hipError_tPvRmT2_T3_T4_T5_mT6_T7_P12ihipStream_tbENKUlT_T0_E_clISt17integral_constantIbLb0EESX_EEDaSS_ST_EUlSS_E_NS1_11comp_targetILNS1_3genE2ELNS1_11target_archE906ELNS1_3gpuE6ELNS1_3repE0EEENS1_30default_config_static_selectorELNS0_4arch9wavefront6targetE0EEEvT1_
		.amdhsa_group_segment_fixed_size 0
		.amdhsa_private_segment_fixed_size 0
		.amdhsa_kernarg_size 144
		.amdhsa_user_sgpr_count 2
		.amdhsa_user_sgpr_dispatch_ptr 0
		.amdhsa_user_sgpr_queue_ptr 0
		.amdhsa_user_sgpr_kernarg_segment_ptr 1
		.amdhsa_user_sgpr_dispatch_id 0
		.amdhsa_user_sgpr_kernarg_preload_length 0
		.amdhsa_user_sgpr_kernarg_preload_offset 0
		.amdhsa_user_sgpr_private_segment_size 0
		.amdhsa_wavefront_size32 1
		.amdhsa_uses_dynamic_stack 0
		.amdhsa_enable_private_segment 0
		.amdhsa_system_sgpr_workgroup_id_x 1
		.amdhsa_system_sgpr_workgroup_id_y 0
		.amdhsa_system_sgpr_workgroup_id_z 0
		.amdhsa_system_sgpr_workgroup_info 0
		.amdhsa_system_vgpr_workitem_id 0
		.amdhsa_next_free_vgpr 1
		.amdhsa_next_free_sgpr 1
		.amdhsa_named_barrier_count 0
		.amdhsa_reserve_vcc 0
		.amdhsa_float_round_mode_32 0
		.amdhsa_float_round_mode_16_64 0
		.amdhsa_float_denorm_mode_32 3
		.amdhsa_float_denorm_mode_16_64 3
		.amdhsa_fp16_overflow 0
		.amdhsa_memory_ordered 1
		.amdhsa_forward_progress 1
		.amdhsa_inst_pref_size 0
		.amdhsa_round_robin_scheduling 0
		.amdhsa_exception_fp_ieee_invalid_op 0
		.amdhsa_exception_fp_denorm_src 0
		.amdhsa_exception_fp_ieee_div_zero 0
		.amdhsa_exception_fp_ieee_overflow 0
		.amdhsa_exception_fp_ieee_underflow 0
		.amdhsa_exception_fp_ieee_inexact 0
		.amdhsa_exception_int_div_zero 0
	.end_amdhsa_kernel
	.section	.text._ZN7rocprim17ROCPRIM_400000_NS6detail17trampoline_kernelINS0_14default_configENS1_27scan_by_key_config_selectorIllEEZZNS1_16scan_by_key_implILNS1_25lookback_scan_determinismE0ELb0ES3_PKlN6hipcub16HIPCUB_304000_NS21ConstantInputIteratorIllEEPllNSB_3SumENSB_8EqualityElEE10hipError_tPvRmT2_T3_T4_T5_mT6_T7_P12ihipStream_tbENKUlT_T0_E_clISt17integral_constantIbLb0EESX_EEDaSS_ST_EUlSS_E_NS1_11comp_targetILNS1_3genE2ELNS1_11target_archE906ELNS1_3gpuE6ELNS1_3repE0EEENS1_30default_config_static_selectorELNS0_4arch9wavefront6targetE0EEEvT1_,"axG",@progbits,_ZN7rocprim17ROCPRIM_400000_NS6detail17trampoline_kernelINS0_14default_configENS1_27scan_by_key_config_selectorIllEEZZNS1_16scan_by_key_implILNS1_25lookback_scan_determinismE0ELb0ES3_PKlN6hipcub16HIPCUB_304000_NS21ConstantInputIteratorIllEEPllNSB_3SumENSB_8EqualityElEE10hipError_tPvRmT2_T3_T4_T5_mT6_T7_P12ihipStream_tbENKUlT_T0_E_clISt17integral_constantIbLb0EESX_EEDaSS_ST_EUlSS_E_NS1_11comp_targetILNS1_3genE2ELNS1_11target_archE906ELNS1_3gpuE6ELNS1_3repE0EEENS1_30default_config_static_selectorELNS0_4arch9wavefront6targetE0EEEvT1_,comdat
.Lfunc_end99:
	.size	_ZN7rocprim17ROCPRIM_400000_NS6detail17trampoline_kernelINS0_14default_configENS1_27scan_by_key_config_selectorIllEEZZNS1_16scan_by_key_implILNS1_25lookback_scan_determinismE0ELb0ES3_PKlN6hipcub16HIPCUB_304000_NS21ConstantInputIteratorIllEEPllNSB_3SumENSB_8EqualityElEE10hipError_tPvRmT2_T3_T4_T5_mT6_T7_P12ihipStream_tbENKUlT_T0_E_clISt17integral_constantIbLb0EESX_EEDaSS_ST_EUlSS_E_NS1_11comp_targetILNS1_3genE2ELNS1_11target_archE906ELNS1_3gpuE6ELNS1_3repE0EEENS1_30default_config_static_selectorELNS0_4arch9wavefront6targetE0EEEvT1_, .Lfunc_end99-_ZN7rocprim17ROCPRIM_400000_NS6detail17trampoline_kernelINS0_14default_configENS1_27scan_by_key_config_selectorIllEEZZNS1_16scan_by_key_implILNS1_25lookback_scan_determinismE0ELb0ES3_PKlN6hipcub16HIPCUB_304000_NS21ConstantInputIteratorIllEEPllNSB_3SumENSB_8EqualityElEE10hipError_tPvRmT2_T3_T4_T5_mT6_T7_P12ihipStream_tbENKUlT_T0_E_clISt17integral_constantIbLb0EESX_EEDaSS_ST_EUlSS_E_NS1_11comp_targetILNS1_3genE2ELNS1_11target_archE906ELNS1_3gpuE6ELNS1_3repE0EEENS1_30default_config_static_selectorELNS0_4arch9wavefront6targetE0EEEvT1_
                                        ; -- End function
	.set _ZN7rocprim17ROCPRIM_400000_NS6detail17trampoline_kernelINS0_14default_configENS1_27scan_by_key_config_selectorIllEEZZNS1_16scan_by_key_implILNS1_25lookback_scan_determinismE0ELb0ES3_PKlN6hipcub16HIPCUB_304000_NS21ConstantInputIteratorIllEEPllNSB_3SumENSB_8EqualityElEE10hipError_tPvRmT2_T3_T4_T5_mT6_T7_P12ihipStream_tbENKUlT_T0_E_clISt17integral_constantIbLb0EESX_EEDaSS_ST_EUlSS_E_NS1_11comp_targetILNS1_3genE2ELNS1_11target_archE906ELNS1_3gpuE6ELNS1_3repE0EEENS1_30default_config_static_selectorELNS0_4arch9wavefront6targetE0EEEvT1_.num_vgpr, 0
	.set _ZN7rocprim17ROCPRIM_400000_NS6detail17trampoline_kernelINS0_14default_configENS1_27scan_by_key_config_selectorIllEEZZNS1_16scan_by_key_implILNS1_25lookback_scan_determinismE0ELb0ES3_PKlN6hipcub16HIPCUB_304000_NS21ConstantInputIteratorIllEEPllNSB_3SumENSB_8EqualityElEE10hipError_tPvRmT2_T3_T4_T5_mT6_T7_P12ihipStream_tbENKUlT_T0_E_clISt17integral_constantIbLb0EESX_EEDaSS_ST_EUlSS_E_NS1_11comp_targetILNS1_3genE2ELNS1_11target_archE906ELNS1_3gpuE6ELNS1_3repE0EEENS1_30default_config_static_selectorELNS0_4arch9wavefront6targetE0EEEvT1_.num_agpr, 0
	.set _ZN7rocprim17ROCPRIM_400000_NS6detail17trampoline_kernelINS0_14default_configENS1_27scan_by_key_config_selectorIllEEZZNS1_16scan_by_key_implILNS1_25lookback_scan_determinismE0ELb0ES3_PKlN6hipcub16HIPCUB_304000_NS21ConstantInputIteratorIllEEPllNSB_3SumENSB_8EqualityElEE10hipError_tPvRmT2_T3_T4_T5_mT6_T7_P12ihipStream_tbENKUlT_T0_E_clISt17integral_constantIbLb0EESX_EEDaSS_ST_EUlSS_E_NS1_11comp_targetILNS1_3genE2ELNS1_11target_archE906ELNS1_3gpuE6ELNS1_3repE0EEENS1_30default_config_static_selectorELNS0_4arch9wavefront6targetE0EEEvT1_.numbered_sgpr, 0
	.set _ZN7rocprim17ROCPRIM_400000_NS6detail17trampoline_kernelINS0_14default_configENS1_27scan_by_key_config_selectorIllEEZZNS1_16scan_by_key_implILNS1_25lookback_scan_determinismE0ELb0ES3_PKlN6hipcub16HIPCUB_304000_NS21ConstantInputIteratorIllEEPllNSB_3SumENSB_8EqualityElEE10hipError_tPvRmT2_T3_T4_T5_mT6_T7_P12ihipStream_tbENKUlT_T0_E_clISt17integral_constantIbLb0EESX_EEDaSS_ST_EUlSS_E_NS1_11comp_targetILNS1_3genE2ELNS1_11target_archE906ELNS1_3gpuE6ELNS1_3repE0EEENS1_30default_config_static_selectorELNS0_4arch9wavefront6targetE0EEEvT1_.num_named_barrier, 0
	.set _ZN7rocprim17ROCPRIM_400000_NS6detail17trampoline_kernelINS0_14default_configENS1_27scan_by_key_config_selectorIllEEZZNS1_16scan_by_key_implILNS1_25lookback_scan_determinismE0ELb0ES3_PKlN6hipcub16HIPCUB_304000_NS21ConstantInputIteratorIllEEPllNSB_3SumENSB_8EqualityElEE10hipError_tPvRmT2_T3_T4_T5_mT6_T7_P12ihipStream_tbENKUlT_T0_E_clISt17integral_constantIbLb0EESX_EEDaSS_ST_EUlSS_E_NS1_11comp_targetILNS1_3genE2ELNS1_11target_archE906ELNS1_3gpuE6ELNS1_3repE0EEENS1_30default_config_static_selectorELNS0_4arch9wavefront6targetE0EEEvT1_.private_seg_size, 0
	.set _ZN7rocprim17ROCPRIM_400000_NS6detail17trampoline_kernelINS0_14default_configENS1_27scan_by_key_config_selectorIllEEZZNS1_16scan_by_key_implILNS1_25lookback_scan_determinismE0ELb0ES3_PKlN6hipcub16HIPCUB_304000_NS21ConstantInputIteratorIllEEPllNSB_3SumENSB_8EqualityElEE10hipError_tPvRmT2_T3_T4_T5_mT6_T7_P12ihipStream_tbENKUlT_T0_E_clISt17integral_constantIbLb0EESX_EEDaSS_ST_EUlSS_E_NS1_11comp_targetILNS1_3genE2ELNS1_11target_archE906ELNS1_3gpuE6ELNS1_3repE0EEENS1_30default_config_static_selectorELNS0_4arch9wavefront6targetE0EEEvT1_.uses_vcc, 0
	.set _ZN7rocprim17ROCPRIM_400000_NS6detail17trampoline_kernelINS0_14default_configENS1_27scan_by_key_config_selectorIllEEZZNS1_16scan_by_key_implILNS1_25lookback_scan_determinismE0ELb0ES3_PKlN6hipcub16HIPCUB_304000_NS21ConstantInputIteratorIllEEPllNSB_3SumENSB_8EqualityElEE10hipError_tPvRmT2_T3_T4_T5_mT6_T7_P12ihipStream_tbENKUlT_T0_E_clISt17integral_constantIbLb0EESX_EEDaSS_ST_EUlSS_E_NS1_11comp_targetILNS1_3genE2ELNS1_11target_archE906ELNS1_3gpuE6ELNS1_3repE0EEENS1_30default_config_static_selectorELNS0_4arch9wavefront6targetE0EEEvT1_.uses_flat_scratch, 0
	.set _ZN7rocprim17ROCPRIM_400000_NS6detail17trampoline_kernelINS0_14default_configENS1_27scan_by_key_config_selectorIllEEZZNS1_16scan_by_key_implILNS1_25lookback_scan_determinismE0ELb0ES3_PKlN6hipcub16HIPCUB_304000_NS21ConstantInputIteratorIllEEPllNSB_3SumENSB_8EqualityElEE10hipError_tPvRmT2_T3_T4_T5_mT6_T7_P12ihipStream_tbENKUlT_T0_E_clISt17integral_constantIbLb0EESX_EEDaSS_ST_EUlSS_E_NS1_11comp_targetILNS1_3genE2ELNS1_11target_archE906ELNS1_3gpuE6ELNS1_3repE0EEENS1_30default_config_static_selectorELNS0_4arch9wavefront6targetE0EEEvT1_.has_dyn_sized_stack, 0
	.set _ZN7rocprim17ROCPRIM_400000_NS6detail17trampoline_kernelINS0_14default_configENS1_27scan_by_key_config_selectorIllEEZZNS1_16scan_by_key_implILNS1_25lookback_scan_determinismE0ELb0ES3_PKlN6hipcub16HIPCUB_304000_NS21ConstantInputIteratorIllEEPllNSB_3SumENSB_8EqualityElEE10hipError_tPvRmT2_T3_T4_T5_mT6_T7_P12ihipStream_tbENKUlT_T0_E_clISt17integral_constantIbLb0EESX_EEDaSS_ST_EUlSS_E_NS1_11comp_targetILNS1_3genE2ELNS1_11target_archE906ELNS1_3gpuE6ELNS1_3repE0EEENS1_30default_config_static_selectorELNS0_4arch9wavefront6targetE0EEEvT1_.has_recursion, 0
	.set _ZN7rocprim17ROCPRIM_400000_NS6detail17trampoline_kernelINS0_14default_configENS1_27scan_by_key_config_selectorIllEEZZNS1_16scan_by_key_implILNS1_25lookback_scan_determinismE0ELb0ES3_PKlN6hipcub16HIPCUB_304000_NS21ConstantInputIteratorIllEEPllNSB_3SumENSB_8EqualityElEE10hipError_tPvRmT2_T3_T4_T5_mT6_T7_P12ihipStream_tbENKUlT_T0_E_clISt17integral_constantIbLb0EESX_EEDaSS_ST_EUlSS_E_NS1_11comp_targetILNS1_3genE2ELNS1_11target_archE906ELNS1_3gpuE6ELNS1_3repE0EEENS1_30default_config_static_selectorELNS0_4arch9wavefront6targetE0EEEvT1_.has_indirect_call, 0
	.section	.AMDGPU.csdata,"",@progbits
; Kernel info:
; codeLenInByte = 0
; TotalNumSgprs: 0
; NumVgprs: 0
; ScratchSize: 0
; MemoryBound: 0
; FloatMode: 240
; IeeeMode: 1
; LDSByteSize: 0 bytes/workgroup (compile time only)
; SGPRBlocks: 0
; VGPRBlocks: 0
; NumSGPRsForWavesPerEU: 1
; NumVGPRsForWavesPerEU: 1
; NamedBarCnt: 0
; Occupancy: 16
; WaveLimiterHint : 0
; COMPUTE_PGM_RSRC2:SCRATCH_EN: 0
; COMPUTE_PGM_RSRC2:USER_SGPR: 2
; COMPUTE_PGM_RSRC2:TRAP_HANDLER: 0
; COMPUTE_PGM_RSRC2:TGID_X_EN: 1
; COMPUTE_PGM_RSRC2:TGID_Y_EN: 0
; COMPUTE_PGM_RSRC2:TGID_Z_EN: 0
; COMPUTE_PGM_RSRC2:TIDIG_COMP_CNT: 0
	.section	.text._ZN7rocprim17ROCPRIM_400000_NS6detail17trampoline_kernelINS0_14default_configENS1_27scan_by_key_config_selectorIllEEZZNS1_16scan_by_key_implILNS1_25lookback_scan_determinismE0ELb0ES3_PKlN6hipcub16HIPCUB_304000_NS21ConstantInputIteratorIllEEPllNSB_3SumENSB_8EqualityElEE10hipError_tPvRmT2_T3_T4_T5_mT6_T7_P12ihipStream_tbENKUlT_T0_E_clISt17integral_constantIbLb0EESX_EEDaSS_ST_EUlSS_E_NS1_11comp_targetILNS1_3genE10ELNS1_11target_archE1200ELNS1_3gpuE4ELNS1_3repE0EEENS1_30default_config_static_selectorELNS0_4arch9wavefront6targetE0EEEvT1_,"axG",@progbits,_ZN7rocprim17ROCPRIM_400000_NS6detail17trampoline_kernelINS0_14default_configENS1_27scan_by_key_config_selectorIllEEZZNS1_16scan_by_key_implILNS1_25lookback_scan_determinismE0ELb0ES3_PKlN6hipcub16HIPCUB_304000_NS21ConstantInputIteratorIllEEPllNSB_3SumENSB_8EqualityElEE10hipError_tPvRmT2_T3_T4_T5_mT6_T7_P12ihipStream_tbENKUlT_T0_E_clISt17integral_constantIbLb0EESX_EEDaSS_ST_EUlSS_E_NS1_11comp_targetILNS1_3genE10ELNS1_11target_archE1200ELNS1_3gpuE4ELNS1_3repE0EEENS1_30default_config_static_selectorELNS0_4arch9wavefront6targetE0EEEvT1_,comdat
	.protected	_ZN7rocprim17ROCPRIM_400000_NS6detail17trampoline_kernelINS0_14default_configENS1_27scan_by_key_config_selectorIllEEZZNS1_16scan_by_key_implILNS1_25lookback_scan_determinismE0ELb0ES3_PKlN6hipcub16HIPCUB_304000_NS21ConstantInputIteratorIllEEPllNSB_3SumENSB_8EqualityElEE10hipError_tPvRmT2_T3_T4_T5_mT6_T7_P12ihipStream_tbENKUlT_T0_E_clISt17integral_constantIbLb0EESX_EEDaSS_ST_EUlSS_E_NS1_11comp_targetILNS1_3genE10ELNS1_11target_archE1200ELNS1_3gpuE4ELNS1_3repE0EEENS1_30default_config_static_selectorELNS0_4arch9wavefront6targetE0EEEvT1_ ; -- Begin function _ZN7rocprim17ROCPRIM_400000_NS6detail17trampoline_kernelINS0_14default_configENS1_27scan_by_key_config_selectorIllEEZZNS1_16scan_by_key_implILNS1_25lookback_scan_determinismE0ELb0ES3_PKlN6hipcub16HIPCUB_304000_NS21ConstantInputIteratorIllEEPllNSB_3SumENSB_8EqualityElEE10hipError_tPvRmT2_T3_T4_T5_mT6_T7_P12ihipStream_tbENKUlT_T0_E_clISt17integral_constantIbLb0EESX_EEDaSS_ST_EUlSS_E_NS1_11comp_targetILNS1_3genE10ELNS1_11target_archE1200ELNS1_3gpuE4ELNS1_3repE0EEENS1_30default_config_static_selectorELNS0_4arch9wavefront6targetE0EEEvT1_
	.globl	_ZN7rocprim17ROCPRIM_400000_NS6detail17trampoline_kernelINS0_14default_configENS1_27scan_by_key_config_selectorIllEEZZNS1_16scan_by_key_implILNS1_25lookback_scan_determinismE0ELb0ES3_PKlN6hipcub16HIPCUB_304000_NS21ConstantInputIteratorIllEEPllNSB_3SumENSB_8EqualityElEE10hipError_tPvRmT2_T3_T4_T5_mT6_T7_P12ihipStream_tbENKUlT_T0_E_clISt17integral_constantIbLb0EESX_EEDaSS_ST_EUlSS_E_NS1_11comp_targetILNS1_3genE10ELNS1_11target_archE1200ELNS1_3gpuE4ELNS1_3repE0EEENS1_30default_config_static_selectorELNS0_4arch9wavefront6targetE0EEEvT1_
	.p2align	8
	.type	_ZN7rocprim17ROCPRIM_400000_NS6detail17trampoline_kernelINS0_14default_configENS1_27scan_by_key_config_selectorIllEEZZNS1_16scan_by_key_implILNS1_25lookback_scan_determinismE0ELb0ES3_PKlN6hipcub16HIPCUB_304000_NS21ConstantInputIteratorIllEEPllNSB_3SumENSB_8EqualityElEE10hipError_tPvRmT2_T3_T4_T5_mT6_T7_P12ihipStream_tbENKUlT_T0_E_clISt17integral_constantIbLb0EESX_EEDaSS_ST_EUlSS_E_NS1_11comp_targetILNS1_3genE10ELNS1_11target_archE1200ELNS1_3gpuE4ELNS1_3repE0EEENS1_30default_config_static_selectorELNS0_4arch9wavefront6targetE0EEEvT1_,@function
_ZN7rocprim17ROCPRIM_400000_NS6detail17trampoline_kernelINS0_14default_configENS1_27scan_by_key_config_selectorIllEEZZNS1_16scan_by_key_implILNS1_25lookback_scan_determinismE0ELb0ES3_PKlN6hipcub16HIPCUB_304000_NS21ConstantInputIteratorIllEEPllNSB_3SumENSB_8EqualityElEE10hipError_tPvRmT2_T3_T4_T5_mT6_T7_P12ihipStream_tbENKUlT_T0_E_clISt17integral_constantIbLb0EESX_EEDaSS_ST_EUlSS_E_NS1_11comp_targetILNS1_3genE10ELNS1_11target_archE1200ELNS1_3gpuE4ELNS1_3repE0EEENS1_30default_config_static_selectorELNS0_4arch9wavefront6targetE0EEEvT1_: ; @_ZN7rocprim17ROCPRIM_400000_NS6detail17trampoline_kernelINS0_14default_configENS1_27scan_by_key_config_selectorIllEEZZNS1_16scan_by_key_implILNS1_25lookback_scan_determinismE0ELb0ES3_PKlN6hipcub16HIPCUB_304000_NS21ConstantInputIteratorIllEEPllNSB_3SumENSB_8EqualityElEE10hipError_tPvRmT2_T3_T4_T5_mT6_T7_P12ihipStream_tbENKUlT_T0_E_clISt17integral_constantIbLb0EESX_EEDaSS_ST_EUlSS_E_NS1_11comp_targetILNS1_3genE10ELNS1_11target_archE1200ELNS1_3gpuE4ELNS1_3repE0EEENS1_30default_config_static_selectorELNS0_4arch9wavefront6targetE0EEEvT1_
; %bb.0:
	.section	.rodata,"a",@progbits
	.p2align	6, 0x0
	.amdhsa_kernel _ZN7rocprim17ROCPRIM_400000_NS6detail17trampoline_kernelINS0_14default_configENS1_27scan_by_key_config_selectorIllEEZZNS1_16scan_by_key_implILNS1_25lookback_scan_determinismE0ELb0ES3_PKlN6hipcub16HIPCUB_304000_NS21ConstantInputIteratorIllEEPllNSB_3SumENSB_8EqualityElEE10hipError_tPvRmT2_T3_T4_T5_mT6_T7_P12ihipStream_tbENKUlT_T0_E_clISt17integral_constantIbLb0EESX_EEDaSS_ST_EUlSS_E_NS1_11comp_targetILNS1_3genE10ELNS1_11target_archE1200ELNS1_3gpuE4ELNS1_3repE0EEENS1_30default_config_static_selectorELNS0_4arch9wavefront6targetE0EEEvT1_
		.amdhsa_group_segment_fixed_size 0
		.amdhsa_private_segment_fixed_size 0
		.amdhsa_kernarg_size 144
		.amdhsa_user_sgpr_count 2
		.amdhsa_user_sgpr_dispatch_ptr 0
		.amdhsa_user_sgpr_queue_ptr 0
		.amdhsa_user_sgpr_kernarg_segment_ptr 1
		.amdhsa_user_sgpr_dispatch_id 0
		.amdhsa_user_sgpr_kernarg_preload_length 0
		.amdhsa_user_sgpr_kernarg_preload_offset 0
		.amdhsa_user_sgpr_private_segment_size 0
		.amdhsa_wavefront_size32 1
		.amdhsa_uses_dynamic_stack 0
		.amdhsa_enable_private_segment 0
		.amdhsa_system_sgpr_workgroup_id_x 1
		.amdhsa_system_sgpr_workgroup_id_y 0
		.amdhsa_system_sgpr_workgroup_id_z 0
		.amdhsa_system_sgpr_workgroup_info 0
		.amdhsa_system_vgpr_workitem_id 0
		.amdhsa_next_free_vgpr 1
		.amdhsa_next_free_sgpr 1
		.amdhsa_named_barrier_count 0
		.amdhsa_reserve_vcc 0
		.amdhsa_float_round_mode_32 0
		.amdhsa_float_round_mode_16_64 0
		.amdhsa_float_denorm_mode_32 3
		.amdhsa_float_denorm_mode_16_64 3
		.amdhsa_fp16_overflow 0
		.amdhsa_memory_ordered 1
		.amdhsa_forward_progress 1
		.amdhsa_inst_pref_size 0
		.amdhsa_round_robin_scheduling 0
		.amdhsa_exception_fp_ieee_invalid_op 0
		.amdhsa_exception_fp_denorm_src 0
		.amdhsa_exception_fp_ieee_div_zero 0
		.amdhsa_exception_fp_ieee_overflow 0
		.amdhsa_exception_fp_ieee_underflow 0
		.amdhsa_exception_fp_ieee_inexact 0
		.amdhsa_exception_int_div_zero 0
	.end_amdhsa_kernel
	.section	.text._ZN7rocprim17ROCPRIM_400000_NS6detail17trampoline_kernelINS0_14default_configENS1_27scan_by_key_config_selectorIllEEZZNS1_16scan_by_key_implILNS1_25lookback_scan_determinismE0ELb0ES3_PKlN6hipcub16HIPCUB_304000_NS21ConstantInputIteratorIllEEPllNSB_3SumENSB_8EqualityElEE10hipError_tPvRmT2_T3_T4_T5_mT6_T7_P12ihipStream_tbENKUlT_T0_E_clISt17integral_constantIbLb0EESX_EEDaSS_ST_EUlSS_E_NS1_11comp_targetILNS1_3genE10ELNS1_11target_archE1200ELNS1_3gpuE4ELNS1_3repE0EEENS1_30default_config_static_selectorELNS0_4arch9wavefront6targetE0EEEvT1_,"axG",@progbits,_ZN7rocprim17ROCPRIM_400000_NS6detail17trampoline_kernelINS0_14default_configENS1_27scan_by_key_config_selectorIllEEZZNS1_16scan_by_key_implILNS1_25lookback_scan_determinismE0ELb0ES3_PKlN6hipcub16HIPCUB_304000_NS21ConstantInputIteratorIllEEPllNSB_3SumENSB_8EqualityElEE10hipError_tPvRmT2_T3_T4_T5_mT6_T7_P12ihipStream_tbENKUlT_T0_E_clISt17integral_constantIbLb0EESX_EEDaSS_ST_EUlSS_E_NS1_11comp_targetILNS1_3genE10ELNS1_11target_archE1200ELNS1_3gpuE4ELNS1_3repE0EEENS1_30default_config_static_selectorELNS0_4arch9wavefront6targetE0EEEvT1_,comdat
.Lfunc_end100:
	.size	_ZN7rocprim17ROCPRIM_400000_NS6detail17trampoline_kernelINS0_14default_configENS1_27scan_by_key_config_selectorIllEEZZNS1_16scan_by_key_implILNS1_25lookback_scan_determinismE0ELb0ES3_PKlN6hipcub16HIPCUB_304000_NS21ConstantInputIteratorIllEEPllNSB_3SumENSB_8EqualityElEE10hipError_tPvRmT2_T3_T4_T5_mT6_T7_P12ihipStream_tbENKUlT_T0_E_clISt17integral_constantIbLb0EESX_EEDaSS_ST_EUlSS_E_NS1_11comp_targetILNS1_3genE10ELNS1_11target_archE1200ELNS1_3gpuE4ELNS1_3repE0EEENS1_30default_config_static_selectorELNS0_4arch9wavefront6targetE0EEEvT1_, .Lfunc_end100-_ZN7rocprim17ROCPRIM_400000_NS6detail17trampoline_kernelINS0_14default_configENS1_27scan_by_key_config_selectorIllEEZZNS1_16scan_by_key_implILNS1_25lookback_scan_determinismE0ELb0ES3_PKlN6hipcub16HIPCUB_304000_NS21ConstantInputIteratorIllEEPllNSB_3SumENSB_8EqualityElEE10hipError_tPvRmT2_T3_T4_T5_mT6_T7_P12ihipStream_tbENKUlT_T0_E_clISt17integral_constantIbLb0EESX_EEDaSS_ST_EUlSS_E_NS1_11comp_targetILNS1_3genE10ELNS1_11target_archE1200ELNS1_3gpuE4ELNS1_3repE0EEENS1_30default_config_static_selectorELNS0_4arch9wavefront6targetE0EEEvT1_
                                        ; -- End function
	.set _ZN7rocprim17ROCPRIM_400000_NS6detail17trampoline_kernelINS0_14default_configENS1_27scan_by_key_config_selectorIllEEZZNS1_16scan_by_key_implILNS1_25lookback_scan_determinismE0ELb0ES3_PKlN6hipcub16HIPCUB_304000_NS21ConstantInputIteratorIllEEPllNSB_3SumENSB_8EqualityElEE10hipError_tPvRmT2_T3_T4_T5_mT6_T7_P12ihipStream_tbENKUlT_T0_E_clISt17integral_constantIbLb0EESX_EEDaSS_ST_EUlSS_E_NS1_11comp_targetILNS1_3genE10ELNS1_11target_archE1200ELNS1_3gpuE4ELNS1_3repE0EEENS1_30default_config_static_selectorELNS0_4arch9wavefront6targetE0EEEvT1_.num_vgpr, 0
	.set _ZN7rocprim17ROCPRIM_400000_NS6detail17trampoline_kernelINS0_14default_configENS1_27scan_by_key_config_selectorIllEEZZNS1_16scan_by_key_implILNS1_25lookback_scan_determinismE0ELb0ES3_PKlN6hipcub16HIPCUB_304000_NS21ConstantInputIteratorIllEEPllNSB_3SumENSB_8EqualityElEE10hipError_tPvRmT2_T3_T4_T5_mT6_T7_P12ihipStream_tbENKUlT_T0_E_clISt17integral_constantIbLb0EESX_EEDaSS_ST_EUlSS_E_NS1_11comp_targetILNS1_3genE10ELNS1_11target_archE1200ELNS1_3gpuE4ELNS1_3repE0EEENS1_30default_config_static_selectorELNS0_4arch9wavefront6targetE0EEEvT1_.num_agpr, 0
	.set _ZN7rocprim17ROCPRIM_400000_NS6detail17trampoline_kernelINS0_14default_configENS1_27scan_by_key_config_selectorIllEEZZNS1_16scan_by_key_implILNS1_25lookback_scan_determinismE0ELb0ES3_PKlN6hipcub16HIPCUB_304000_NS21ConstantInputIteratorIllEEPllNSB_3SumENSB_8EqualityElEE10hipError_tPvRmT2_T3_T4_T5_mT6_T7_P12ihipStream_tbENKUlT_T0_E_clISt17integral_constantIbLb0EESX_EEDaSS_ST_EUlSS_E_NS1_11comp_targetILNS1_3genE10ELNS1_11target_archE1200ELNS1_3gpuE4ELNS1_3repE0EEENS1_30default_config_static_selectorELNS0_4arch9wavefront6targetE0EEEvT1_.numbered_sgpr, 0
	.set _ZN7rocprim17ROCPRIM_400000_NS6detail17trampoline_kernelINS0_14default_configENS1_27scan_by_key_config_selectorIllEEZZNS1_16scan_by_key_implILNS1_25lookback_scan_determinismE0ELb0ES3_PKlN6hipcub16HIPCUB_304000_NS21ConstantInputIteratorIllEEPllNSB_3SumENSB_8EqualityElEE10hipError_tPvRmT2_T3_T4_T5_mT6_T7_P12ihipStream_tbENKUlT_T0_E_clISt17integral_constantIbLb0EESX_EEDaSS_ST_EUlSS_E_NS1_11comp_targetILNS1_3genE10ELNS1_11target_archE1200ELNS1_3gpuE4ELNS1_3repE0EEENS1_30default_config_static_selectorELNS0_4arch9wavefront6targetE0EEEvT1_.num_named_barrier, 0
	.set _ZN7rocprim17ROCPRIM_400000_NS6detail17trampoline_kernelINS0_14default_configENS1_27scan_by_key_config_selectorIllEEZZNS1_16scan_by_key_implILNS1_25lookback_scan_determinismE0ELb0ES3_PKlN6hipcub16HIPCUB_304000_NS21ConstantInputIteratorIllEEPllNSB_3SumENSB_8EqualityElEE10hipError_tPvRmT2_T3_T4_T5_mT6_T7_P12ihipStream_tbENKUlT_T0_E_clISt17integral_constantIbLb0EESX_EEDaSS_ST_EUlSS_E_NS1_11comp_targetILNS1_3genE10ELNS1_11target_archE1200ELNS1_3gpuE4ELNS1_3repE0EEENS1_30default_config_static_selectorELNS0_4arch9wavefront6targetE0EEEvT1_.private_seg_size, 0
	.set _ZN7rocprim17ROCPRIM_400000_NS6detail17trampoline_kernelINS0_14default_configENS1_27scan_by_key_config_selectorIllEEZZNS1_16scan_by_key_implILNS1_25lookback_scan_determinismE0ELb0ES3_PKlN6hipcub16HIPCUB_304000_NS21ConstantInputIteratorIllEEPllNSB_3SumENSB_8EqualityElEE10hipError_tPvRmT2_T3_T4_T5_mT6_T7_P12ihipStream_tbENKUlT_T0_E_clISt17integral_constantIbLb0EESX_EEDaSS_ST_EUlSS_E_NS1_11comp_targetILNS1_3genE10ELNS1_11target_archE1200ELNS1_3gpuE4ELNS1_3repE0EEENS1_30default_config_static_selectorELNS0_4arch9wavefront6targetE0EEEvT1_.uses_vcc, 0
	.set _ZN7rocprim17ROCPRIM_400000_NS6detail17trampoline_kernelINS0_14default_configENS1_27scan_by_key_config_selectorIllEEZZNS1_16scan_by_key_implILNS1_25lookback_scan_determinismE0ELb0ES3_PKlN6hipcub16HIPCUB_304000_NS21ConstantInputIteratorIllEEPllNSB_3SumENSB_8EqualityElEE10hipError_tPvRmT2_T3_T4_T5_mT6_T7_P12ihipStream_tbENKUlT_T0_E_clISt17integral_constantIbLb0EESX_EEDaSS_ST_EUlSS_E_NS1_11comp_targetILNS1_3genE10ELNS1_11target_archE1200ELNS1_3gpuE4ELNS1_3repE0EEENS1_30default_config_static_selectorELNS0_4arch9wavefront6targetE0EEEvT1_.uses_flat_scratch, 0
	.set _ZN7rocprim17ROCPRIM_400000_NS6detail17trampoline_kernelINS0_14default_configENS1_27scan_by_key_config_selectorIllEEZZNS1_16scan_by_key_implILNS1_25lookback_scan_determinismE0ELb0ES3_PKlN6hipcub16HIPCUB_304000_NS21ConstantInputIteratorIllEEPllNSB_3SumENSB_8EqualityElEE10hipError_tPvRmT2_T3_T4_T5_mT6_T7_P12ihipStream_tbENKUlT_T0_E_clISt17integral_constantIbLb0EESX_EEDaSS_ST_EUlSS_E_NS1_11comp_targetILNS1_3genE10ELNS1_11target_archE1200ELNS1_3gpuE4ELNS1_3repE0EEENS1_30default_config_static_selectorELNS0_4arch9wavefront6targetE0EEEvT1_.has_dyn_sized_stack, 0
	.set _ZN7rocprim17ROCPRIM_400000_NS6detail17trampoline_kernelINS0_14default_configENS1_27scan_by_key_config_selectorIllEEZZNS1_16scan_by_key_implILNS1_25lookback_scan_determinismE0ELb0ES3_PKlN6hipcub16HIPCUB_304000_NS21ConstantInputIteratorIllEEPllNSB_3SumENSB_8EqualityElEE10hipError_tPvRmT2_T3_T4_T5_mT6_T7_P12ihipStream_tbENKUlT_T0_E_clISt17integral_constantIbLb0EESX_EEDaSS_ST_EUlSS_E_NS1_11comp_targetILNS1_3genE10ELNS1_11target_archE1200ELNS1_3gpuE4ELNS1_3repE0EEENS1_30default_config_static_selectorELNS0_4arch9wavefront6targetE0EEEvT1_.has_recursion, 0
	.set _ZN7rocprim17ROCPRIM_400000_NS6detail17trampoline_kernelINS0_14default_configENS1_27scan_by_key_config_selectorIllEEZZNS1_16scan_by_key_implILNS1_25lookback_scan_determinismE0ELb0ES3_PKlN6hipcub16HIPCUB_304000_NS21ConstantInputIteratorIllEEPllNSB_3SumENSB_8EqualityElEE10hipError_tPvRmT2_T3_T4_T5_mT6_T7_P12ihipStream_tbENKUlT_T0_E_clISt17integral_constantIbLb0EESX_EEDaSS_ST_EUlSS_E_NS1_11comp_targetILNS1_3genE10ELNS1_11target_archE1200ELNS1_3gpuE4ELNS1_3repE0EEENS1_30default_config_static_selectorELNS0_4arch9wavefront6targetE0EEEvT1_.has_indirect_call, 0
	.section	.AMDGPU.csdata,"",@progbits
; Kernel info:
; codeLenInByte = 0
; TotalNumSgprs: 0
; NumVgprs: 0
; ScratchSize: 0
; MemoryBound: 0
; FloatMode: 240
; IeeeMode: 1
; LDSByteSize: 0 bytes/workgroup (compile time only)
; SGPRBlocks: 0
; VGPRBlocks: 0
; NumSGPRsForWavesPerEU: 1
; NumVGPRsForWavesPerEU: 1
; NamedBarCnt: 0
; Occupancy: 16
; WaveLimiterHint : 0
; COMPUTE_PGM_RSRC2:SCRATCH_EN: 0
; COMPUTE_PGM_RSRC2:USER_SGPR: 2
; COMPUTE_PGM_RSRC2:TRAP_HANDLER: 0
; COMPUTE_PGM_RSRC2:TGID_X_EN: 1
; COMPUTE_PGM_RSRC2:TGID_Y_EN: 0
; COMPUTE_PGM_RSRC2:TGID_Z_EN: 0
; COMPUTE_PGM_RSRC2:TIDIG_COMP_CNT: 0
	.section	.text._ZN7rocprim17ROCPRIM_400000_NS6detail17trampoline_kernelINS0_14default_configENS1_27scan_by_key_config_selectorIllEEZZNS1_16scan_by_key_implILNS1_25lookback_scan_determinismE0ELb0ES3_PKlN6hipcub16HIPCUB_304000_NS21ConstantInputIteratorIllEEPllNSB_3SumENSB_8EqualityElEE10hipError_tPvRmT2_T3_T4_T5_mT6_T7_P12ihipStream_tbENKUlT_T0_E_clISt17integral_constantIbLb0EESX_EEDaSS_ST_EUlSS_E_NS1_11comp_targetILNS1_3genE9ELNS1_11target_archE1100ELNS1_3gpuE3ELNS1_3repE0EEENS1_30default_config_static_selectorELNS0_4arch9wavefront6targetE0EEEvT1_,"axG",@progbits,_ZN7rocprim17ROCPRIM_400000_NS6detail17trampoline_kernelINS0_14default_configENS1_27scan_by_key_config_selectorIllEEZZNS1_16scan_by_key_implILNS1_25lookback_scan_determinismE0ELb0ES3_PKlN6hipcub16HIPCUB_304000_NS21ConstantInputIteratorIllEEPllNSB_3SumENSB_8EqualityElEE10hipError_tPvRmT2_T3_T4_T5_mT6_T7_P12ihipStream_tbENKUlT_T0_E_clISt17integral_constantIbLb0EESX_EEDaSS_ST_EUlSS_E_NS1_11comp_targetILNS1_3genE9ELNS1_11target_archE1100ELNS1_3gpuE3ELNS1_3repE0EEENS1_30default_config_static_selectorELNS0_4arch9wavefront6targetE0EEEvT1_,comdat
	.protected	_ZN7rocprim17ROCPRIM_400000_NS6detail17trampoline_kernelINS0_14default_configENS1_27scan_by_key_config_selectorIllEEZZNS1_16scan_by_key_implILNS1_25lookback_scan_determinismE0ELb0ES3_PKlN6hipcub16HIPCUB_304000_NS21ConstantInputIteratorIllEEPllNSB_3SumENSB_8EqualityElEE10hipError_tPvRmT2_T3_T4_T5_mT6_T7_P12ihipStream_tbENKUlT_T0_E_clISt17integral_constantIbLb0EESX_EEDaSS_ST_EUlSS_E_NS1_11comp_targetILNS1_3genE9ELNS1_11target_archE1100ELNS1_3gpuE3ELNS1_3repE0EEENS1_30default_config_static_selectorELNS0_4arch9wavefront6targetE0EEEvT1_ ; -- Begin function _ZN7rocprim17ROCPRIM_400000_NS6detail17trampoline_kernelINS0_14default_configENS1_27scan_by_key_config_selectorIllEEZZNS1_16scan_by_key_implILNS1_25lookback_scan_determinismE0ELb0ES3_PKlN6hipcub16HIPCUB_304000_NS21ConstantInputIteratorIllEEPllNSB_3SumENSB_8EqualityElEE10hipError_tPvRmT2_T3_T4_T5_mT6_T7_P12ihipStream_tbENKUlT_T0_E_clISt17integral_constantIbLb0EESX_EEDaSS_ST_EUlSS_E_NS1_11comp_targetILNS1_3genE9ELNS1_11target_archE1100ELNS1_3gpuE3ELNS1_3repE0EEENS1_30default_config_static_selectorELNS0_4arch9wavefront6targetE0EEEvT1_
	.globl	_ZN7rocprim17ROCPRIM_400000_NS6detail17trampoline_kernelINS0_14default_configENS1_27scan_by_key_config_selectorIllEEZZNS1_16scan_by_key_implILNS1_25lookback_scan_determinismE0ELb0ES3_PKlN6hipcub16HIPCUB_304000_NS21ConstantInputIteratorIllEEPllNSB_3SumENSB_8EqualityElEE10hipError_tPvRmT2_T3_T4_T5_mT6_T7_P12ihipStream_tbENKUlT_T0_E_clISt17integral_constantIbLb0EESX_EEDaSS_ST_EUlSS_E_NS1_11comp_targetILNS1_3genE9ELNS1_11target_archE1100ELNS1_3gpuE3ELNS1_3repE0EEENS1_30default_config_static_selectorELNS0_4arch9wavefront6targetE0EEEvT1_
	.p2align	8
	.type	_ZN7rocprim17ROCPRIM_400000_NS6detail17trampoline_kernelINS0_14default_configENS1_27scan_by_key_config_selectorIllEEZZNS1_16scan_by_key_implILNS1_25lookback_scan_determinismE0ELb0ES3_PKlN6hipcub16HIPCUB_304000_NS21ConstantInputIteratorIllEEPllNSB_3SumENSB_8EqualityElEE10hipError_tPvRmT2_T3_T4_T5_mT6_T7_P12ihipStream_tbENKUlT_T0_E_clISt17integral_constantIbLb0EESX_EEDaSS_ST_EUlSS_E_NS1_11comp_targetILNS1_3genE9ELNS1_11target_archE1100ELNS1_3gpuE3ELNS1_3repE0EEENS1_30default_config_static_selectorELNS0_4arch9wavefront6targetE0EEEvT1_,@function
_ZN7rocprim17ROCPRIM_400000_NS6detail17trampoline_kernelINS0_14default_configENS1_27scan_by_key_config_selectorIllEEZZNS1_16scan_by_key_implILNS1_25lookback_scan_determinismE0ELb0ES3_PKlN6hipcub16HIPCUB_304000_NS21ConstantInputIteratorIllEEPllNSB_3SumENSB_8EqualityElEE10hipError_tPvRmT2_T3_T4_T5_mT6_T7_P12ihipStream_tbENKUlT_T0_E_clISt17integral_constantIbLb0EESX_EEDaSS_ST_EUlSS_E_NS1_11comp_targetILNS1_3genE9ELNS1_11target_archE1100ELNS1_3gpuE3ELNS1_3repE0EEENS1_30default_config_static_selectorELNS0_4arch9wavefront6targetE0EEEvT1_: ; @_ZN7rocprim17ROCPRIM_400000_NS6detail17trampoline_kernelINS0_14default_configENS1_27scan_by_key_config_selectorIllEEZZNS1_16scan_by_key_implILNS1_25lookback_scan_determinismE0ELb0ES3_PKlN6hipcub16HIPCUB_304000_NS21ConstantInputIteratorIllEEPllNSB_3SumENSB_8EqualityElEE10hipError_tPvRmT2_T3_T4_T5_mT6_T7_P12ihipStream_tbENKUlT_T0_E_clISt17integral_constantIbLb0EESX_EEDaSS_ST_EUlSS_E_NS1_11comp_targetILNS1_3genE9ELNS1_11target_archE1100ELNS1_3gpuE3ELNS1_3repE0EEENS1_30default_config_static_selectorELNS0_4arch9wavefront6targetE0EEEvT1_
; %bb.0:
	.section	.rodata,"a",@progbits
	.p2align	6, 0x0
	.amdhsa_kernel _ZN7rocprim17ROCPRIM_400000_NS6detail17trampoline_kernelINS0_14default_configENS1_27scan_by_key_config_selectorIllEEZZNS1_16scan_by_key_implILNS1_25lookback_scan_determinismE0ELb0ES3_PKlN6hipcub16HIPCUB_304000_NS21ConstantInputIteratorIllEEPllNSB_3SumENSB_8EqualityElEE10hipError_tPvRmT2_T3_T4_T5_mT6_T7_P12ihipStream_tbENKUlT_T0_E_clISt17integral_constantIbLb0EESX_EEDaSS_ST_EUlSS_E_NS1_11comp_targetILNS1_3genE9ELNS1_11target_archE1100ELNS1_3gpuE3ELNS1_3repE0EEENS1_30default_config_static_selectorELNS0_4arch9wavefront6targetE0EEEvT1_
		.amdhsa_group_segment_fixed_size 0
		.amdhsa_private_segment_fixed_size 0
		.amdhsa_kernarg_size 144
		.amdhsa_user_sgpr_count 2
		.amdhsa_user_sgpr_dispatch_ptr 0
		.amdhsa_user_sgpr_queue_ptr 0
		.amdhsa_user_sgpr_kernarg_segment_ptr 1
		.amdhsa_user_sgpr_dispatch_id 0
		.amdhsa_user_sgpr_kernarg_preload_length 0
		.amdhsa_user_sgpr_kernarg_preload_offset 0
		.amdhsa_user_sgpr_private_segment_size 0
		.amdhsa_wavefront_size32 1
		.amdhsa_uses_dynamic_stack 0
		.amdhsa_enable_private_segment 0
		.amdhsa_system_sgpr_workgroup_id_x 1
		.amdhsa_system_sgpr_workgroup_id_y 0
		.amdhsa_system_sgpr_workgroup_id_z 0
		.amdhsa_system_sgpr_workgroup_info 0
		.amdhsa_system_vgpr_workitem_id 0
		.amdhsa_next_free_vgpr 1
		.amdhsa_next_free_sgpr 1
		.amdhsa_named_barrier_count 0
		.amdhsa_reserve_vcc 0
		.amdhsa_float_round_mode_32 0
		.amdhsa_float_round_mode_16_64 0
		.amdhsa_float_denorm_mode_32 3
		.amdhsa_float_denorm_mode_16_64 3
		.amdhsa_fp16_overflow 0
		.amdhsa_memory_ordered 1
		.amdhsa_forward_progress 1
		.amdhsa_inst_pref_size 0
		.amdhsa_round_robin_scheduling 0
		.amdhsa_exception_fp_ieee_invalid_op 0
		.amdhsa_exception_fp_denorm_src 0
		.amdhsa_exception_fp_ieee_div_zero 0
		.amdhsa_exception_fp_ieee_overflow 0
		.amdhsa_exception_fp_ieee_underflow 0
		.amdhsa_exception_fp_ieee_inexact 0
		.amdhsa_exception_int_div_zero 0
	.end_amdhsa_kernel
	.section	.text._ZN7rocprim17ROCPRIM_400000_NS6detail17trampoline_kernelINS0_14default_configENS1_27scan_by_key_config_selectorIllEEZZNS1_16scan_by_key_implILNS1_25lookback_scan_determinismE0ELb0ES3_PKlN6hipcub16HIPCUB_304000_NS21ConstantInputIteratorIllEEPllNSB_3SumENSB_8EqualityElEE10hipError_tPvRmT2_T3_T4_T5_mT6_T7_P12ihipStream_tbENKUlT_T0_E_clISt17integral_constantIbLb0EESX_EEDaSS_ST_EUlSS_E_NS1_11comp_targetILNS1_3genE9ELNS1_11target_archE1100ELNS1_3gpuE3ELNS1_3repE0EEENS1_30default_config_static_selectorELNS0_4arch9wavefront6targetE0EEEvT1_,"axG",@progbits,_ZN7rocprim17ROCPRIM_400000_NS6detail17trampoline_kernelINS0_14default_configENS1_27scan_by_key_config_selectorIllEEZZNS1_16scan_by_key_implILNS1_25lookback_scan_determinismE0ELb0ES3_PKlN6hipcub16HIPCUB_304000_NS21ConstantInputIteratorIllEEPllNSB_3SumENSB_8EqualityElEE10hipError_tPvRmT2_T3_T4_T5_mT6_T7_P12ihipStream_tbENKUlT_T0_E_clISt17integral_constantIbLb0EESX_EEDaSS_ST_EUlSS_E_NS1_11comp_targetILNS1_3genE9ELNS1_11target_archE1100ELNS1_3gpuE3ELNS1_3repE0EEENS1_30default_config_static_selectorELNS0_4arch9wavefront6targetE0EEEvT1_,comdat
.Lfunc_end101:
	.size	_ZN7rocprim17ROCPRIM_400000_NS6detail17trampoline_kernelINS0_14default_configENS1_27scan_by_key_config_selectorIllEEZZNS1_16scan_by_key_implILNS1_25lookback_scan_determinismE0ELb0ES3_PKlN6hipcub16HIPCUB_304000_NS21ConstantInputIteratorIllEEPllNSB_3SumENSB_8EqualityElEE10hipError_tPvRmT2_T3_T4_T5_mT6_T7_P12ihipStream_tbENKUlT_T0_E_clISt17integral_constantIbLb0EESX_EEDaSS_ST_EUlSS_E_NS1_11comp_targetILNS1_3genE9ELNS1_11target_archE1100ELNS1_3gpuE3ELNS1_3repE0EEENS1_30default_config_static_selectorELNS0_4arch9wavefront6targetE0EEEvT1_, .Lfunc_end101-_ZN7rocprim17ROCPRIM_400000_NS6detail17trampoline_kernelINS0_14default_configENS1_27scan_by_key_config_selectorIllEEZZNS1_16scan_by_key_implILNS1_25lookback_scan_determinismE0ELb0ES3_PKlN6hipcub16HIPCUB_304000_NS21ConstantInputIteratorIllEEPllNSB_3SumENSB_8EqualityElEE10hipError_tPvRmT2_T3_T4_T5_mT6_T7_P12ihipStream_tbENKUlT_T0_E_clISt17integral_constantIbLb0EESX_EEDaSS_ST_EUlSS_E_NS1_11comp_targetILNS1_3genE9ELNS1_11target_archE1100ELNS1_3gpuE3ELNS1_3repE0EEENS1_30default_config_static_selectorELNS0_4arch9wavefront6targetE0EEEvT1_
                                        ; -- End function
	.set _ZN7rocprim17ROCPRIM_400000_NS6detail17trampoline_kernelINS0_14default_configENS1_27scan_by_key_config_selectorIllEEZZNS1_16scan_by_key_implILNS1_25lookback_scan_determinismE0ELb0ES3_PKlN6hipcub16HIPCUB_304000_NS21ConstantInputIteratorIllEEPllNSB_3SumENSB_8EqualityElEE10hipError_tPvRmT2_T3_T4_T5_mT6_T7_P12ihipStream_tbENKUlT_T0_E_clISt17integral_constantIbLb0EESX_EEDaSS_ST_EUlSS_E_NS1_11comp_targetILNS1_3genE9ELNS1_11target_archE1100ELNS1_3gpuE3ELNS1_3repE0EEENS1_30default_config_static_selectorELNS0_4arch9wavefront6targetE0EEEvT1_.num_vgpr, 0
	.set _ZN7rocprim17ROCPRIM_400000_NS6detail17trampoline_kernelINS0_14default_configENS1_27scan_by_key_config_selectorIllEEZZNS1_16scan_by_key_implILNS1_25lookback_scan_determinismE0ELb0ES3_PKlN6hipcub16HIPCUB_304000_NS21ConstantInputIteratorIllEEPllNSB_3SumENSB_8EqualityElEE10hipError_tPvRmT2_T3_T4_T5_mT6_T7_P12ihipStream_tbENKUlT_T0_E_clISt17integral_constantIbLb0EESX_EEDaSS_ST_EUlSS_E_NS1_11comp_targetILNS1_3genE9ELNS1_11target_archE1100ELNS1_3gpuE3ELNS1_3repE0EEENS1_30default_config_static_selectorELNS0_4arch9wavefront6targetE0EEEvT1_.num_agpr, 0
	.set _ZN7rocprim17ROCPRIM_400000_NS6detail17trampoline_kernelINS0_14default_configENS1_27scan_by_key_config_selectorIllEEZZNS1_16scan_by_key_implILNS1_25lookback_scan_determinismE0ELb0ES3_PKlN6hipcub16HIPCUB_304000_NS21ConstantInputIteratorIllEEPllNSB_3SumENSB_8EqualityElEE10hipError_tPvRmT2_T3_T4_T5_mT6_T7_P12ihipStream_tbENKUlT_T0_E_clISt17integral_constantIbLb0EESX_EEDaSS_ST_EUlSS_E_NS1_11comp_targetILNS1_3genE9ELNS1_11target_archE1100ELNS1_3gpuE3ELNS1_3repE0EEENS1_30default_config_static_selectorELNS0_4arch9wavefront6targetE0EEEvT1_.numbered_sgpr, 0
	.set _ZN7rocprim17ROCPRIM_400000_NS6detail17trampoline_kernelINS0_14default_configENS1_27scan_by_key_config_selectorIllEEZZNS1_16scan_by_key_implILNS1_25lookback_scan_determinismE0ELb0ES3_PKlN6hipcub16HIPCUB_304000_NS21ConstantInputIteratorIllEEPllNSB_3SumENSB_8EqualityElEE10hipError_tPvRmT2_T3_T4_T5_mT6_T7_P12ihipStream_tbENKUlT_T0_E_clISt17integral_constantIbLb0EESX_EEDaSS_ST_EUlSS_E_NS1_11comp_targetILNS1_3genE9ELNS1_11target_archE1100ELNS1_3gpuE3ELNS1_3repE0EEENS1_30default_config_static_selectorELNS0_4arch9wavefront6targetE0EEEvT1_.num_named_barrier, 0
	.set _ZN7rocprim17ROCPRIM_400000_NS6detail17trampoline_kernelINS0_14default_configENS1_27scan_by_key_config_selectorIllEEZZNS1_16scan_by_key_implILNS1_25lookback_scan_determinismE0ELb0ES3_PKlN6hipcub16HIPCUB_304000_NS21ConstantInputIteratorIllEEPllNSB_3SumENSB_8EqualityElEE10hipError_tPvRmT2_T3_T4_T5_mT6_T7_P12ihipStream_tbENKUlT_T0_E_clISt17integral_constantIbLb0EESX_EEDaSS_ST_EUlSS_E_NS1_11comp_targetILNS1_3genE9ELNS1_11target_archE1100ELNS1_3gpuE3ELNS1_3repE0EEENS1_30default_config_static_selectorELNS0_4arch9wavefront6targetE0EEEvT1_.private_seg_size, 0
	.set _ZN7rocprim17ROCPRIM_400000_NS6detail17trampoline_kernelINS0_14default_configENS1_27scan_by_key_config_selectorIllEEZZNS1_16scan_by_key_implILNS1_25lookback_scan_determinismE0ELb0ES3_PKlN6hipcub16HIPCUB_304000_NS21ConstantInputIteratorIllEEPllNSB_3SumENSB_8EqualityElEE10hipError_tPvRmT2_T3_T4_T5_mT6_T7_P12ihipStream_tbENKUlT_T0_E_clISt17integral_constantIbLb0EESX_EEDaSS_ST_EUlSS_E_NS1_11comp_targetILNS1_3genE9ELNS1_11target_archE1100ELNS1_3gpuE3ELNS1_3repE0EEENS1_30default_config_static_selectorELNS0_4arch9wavefront6targetE0EEEvT1_.uses_vcc, 0
	.set _ZN7rocprim17ROCPRIM_400000_NS6detail17trampoline_kernelINS0_14default_configENS1_27scan_by_key_config_selectorIllEEZZNS1_16scan_by_key_implILNS1_25lookback_scan_determinismE0ELb0ES3_PKlN6hipcub16HIPCUB_304000_NS21ConstantInputIteratorIllEEPllNSB_3SumENSB_8EqualityElEE10hipError_tPvRmT2_T3_T4_T5_mT6_T7_P12ihipStream_tbENKUlT_T0_E_clISt17integral_constantIbLb0EESX_EEDaSS_ST_EUlSS_E_NS1_11comp_targetILNS1_3genE9ELNS1_11target_archE1100ELNS1_3gpuE3ELNS1_3repE0EEENS1_30default_config_static_selectorELNS0_4arch9wavefront6targetE0EEEvT1_.uses_flat_scratch, 0
	.set _ZN7rocprim17ROCPRIM_400000_NS6detail17trampoline_kernelINS0_14default_configENS1_27scan_by_key_config_selectorIllEEZZNS1_16scan_by_key_implILNS1_25lookback_scan_determinismE0ELb0ES3_PKlN6hipcub16HIPCUB_304000_NS21ConstantInputIteratorIllEEPllNSB_3SumENSB_8EqualityElEE10hipError_tPvRmT2_T3_T4_T5_mT6_T7_P12ihipStream_tbENKUlT_T0_E_clISt17integral_constantIbLb0EESX_EEDaSS_ST_EUlSS_E_NS1_11comp_targetILNS1_3genE9ELNS1_11target_archE1100ELNS1_3gpuE3ELNS1_3repE0EEENS1_30default_config_static_selectorELNS0_4arch9wavefront6targetE0EEEvT1_.has_dyn_sized_stack, 0
	.set _ZN7rocprim17ROCPRIM_400000_NS6detail17trampoline_kernelINS0_14default_configENS1_27scan_by_key_config_selectorIllEEZZNS1_16scan_by_key_implILNS1_25lookback_scan_determinismE0ELb0ES3_PKlN6hipcub16HIPCUB_304000_NS21ConstantInputIteratorIllEEPllNSB_3SumENSB_8EqualityElEE10hipError_tPvRmT2_T3_T4_T5_mT6_T7_P12ihipStream_tbENKUlT_T0_E_clISt17integral_constantIbLb0EESX_EEDaSS_ST_EUlSS_E_NS1_11comp_targetILNS1_3genE9ELNS1_11target_archE1100ELNS1_3gpuE3ELNS1_3repE0EEENS1_30default_config_static_selectorELNS0_4arch9wavefront6targetE0EEEvT1_.has_recursion, 0
	.set _ZN7rocprim17ROCPRIM_400000_NS6detail17trampoline_kernelINS0_14default_configENS1_27scan_by_key_config_selectorIllEEZZNS1_16scan_by_key_implILNS1_25lookback_scan_determinismE0ELb0ES3_PKlN6hipcub16HIPCUB_304000_NS21ConstantInputIteratorIllEEPllNSB_3SumENSB_8EqualityElEE10hipError_tPvRmT2_T3_T4_T5_mT6_T7_P12ihipStream_tbENKUlT_T0_E_clISt17integral_constantIbLb0EESX_EEDaSS_ST_EUlSS_E_NS1_11comp_targetILNS1_3genE9ELNS1_11target_archE1100ELNS1_3gpuE3ELNS1_3repE0EEENS1_30default_config_static_selectorELNS0_4arch9wavefront6targetE0EEEvT1_.has_indirect_call, 0
	.section	.AMDGPU.csdata,"",@progbits
; Kernel info:
; codeLenInByte = 0
; TotalNumSgprs: 0
; NumVgprs: 0
; ScratchSize: 0
; MemoryBound: 0
; FloatMode: 240
; IeeeMode: 1
; LDSByteSize: 0 bytes/workgroup (compile time only)
; SGPRBlocks: 0
; VGPRBlocks: 0
; NumSGPRsForWavesPerEU: 1
; NumVGPRsForWavesPerEU: 1
; NamedBarCnt: 0
; Occupancy: 16
; WaveLimiterHint : 0
; COMPUTE_PGM_RSRC2:SCRATCH_EN: 0
; COMPUTE_PGM_RSRC2:USER_SGPR: 2
; COMPUTE_PGM_RSRC2:TRAP_HANDLER: 0
; COMPUTE_PGM_RSRC2:TGID_X_EN: 1
; COMPUTE_PGM_RSRC2:TGID_Y_EN: 0
; COMPUTE_PGM_RSRC2:TGID_Z_EN: 0
; COMPUTE_PGM_RSRC2:TIDIG_COMP_CNT: 0
	.section	.text._ZN7rocprim17ROCPRIM_400000_NS6detail17trampoline_kernelINS0_14default_configENS1_27scan_by_key_config_selectorIllEEZZNS1_16scan_by_key_implILNS1_25lookback_scan_determinismE0ELb0ES3_PKlN6hipcub16HIPCUB_304000_NS21ConstantInputIteratorIllEEPllNSB_3SumENSB_8EqualityElEE10hipError_tPvRmT2_T3_T4_T5_mT6_T7_P12ihipStream_tbENKUlT_T0_E_clISt17integral_constantIbLb0EESX_EEDaSS_ST_EUlSS_E_NS1_11comp_targetILNS1_3genE8ELNS1_11target_archE1030ELNS1_3gpuE2ELNS1_3repE0EEENS1_30default_config_static_selectorELNS0_4arch9wavefront6targetE0EEEvT1_,"axG",@progbits,_ZN7rocprim17ROCPRIM_400000_NS6detail17trampoline_kernelINS0_14default_configENS1_27scan_by_key_config_selectorIllEEZZNS1_16scan_by_key_implILNS1_25lookback_scan_determinismE0ELb0ES3_PKlN6hipcub16HIPCUB_304000_NS21ConstantInputIteratorIllEEPllNSB_3SumENSB_8EqualityElEE10hipError_tPvRmT2_T3_T4_T5_mT6_T7_P12ihipStream_tbENKUlT_T0_E_clISt17integral_constantIbLb0EESX_EEDaSS_ST_EUlSS_E_NS1_11comp_targetILNS1_3genE8ELNS1_11target_archE1030ELNS1_3gpuE2ELNS1_3repE0EEENS1_30default_config_static_selectorELNS0_4arch9wavefront6targetE0EEEvT1_,comdat
	.protected	_ZN7rocprim17ROCPRIM_400000_NS6detail17trampoline_kernelINS0_14default_configENS1_27scan_by_key_config_selectorIllEEZZNS1_16scan_by_key_implILNS1_25lookback_scan_determinismE0ELb0ES3_PKlN6hipcub16HIPCUB_304000_NS21ConstantInputIteratorIllEEPllNSB_3SumENSB_8EqualityElEE10hipError_tPvRmT2_T3_T4_T5_mT6_T7_P12ihipStream_tbENKUlT_T0_E_clISt17integral_constantIbLb0EESX_EEDaSS_ST_EUlSS_E_NS1_11comp_targetILNS1_3genE8ELNS1_11target_archE1030ELNS1_3gpuE2ELNS1_3repE0EEENS1_30default_config_static_selectorELNS0_4arch9wavefront6targetE0EEEvT1_ ; -- Begin function _ZN7rocprim17ROCPRIM_400000_NS6detail17trampoline_kernelINS0_14default_configENS1_27scan_by_key_config_selectorIllEEZZNS1_16scan_by_key_implILNS1_25lookback_scan_determinismE0ELb0ES3_PKlN6hipcub16HIPCUB_304000_NS21ConstantInputIteratorIllEEPllNSB_3SumENSB_8EqualityElEE10hipError_tPvRmT2_T3_T4_T5_mT6_T7_P12ihipStream_tbENKUlT_T0_E_clISt17integral_constantIbLb0EESX_EEDaSS_ST_EUlSS_E_NS1_11comp_targetILNS1_3genE8ELNS1_11target_archE1030ELNS1_3gpuE2ELNS1_3repE0EEENS1_30default_config_static_selectorELNS0_4arch9wavefront6targetE0EEEvT1_
	.globl	_ZN7rocprim17ROCPRIM_400000_NS6detail17trampoline_kernelINS0_14default_configENS1_27scan_by_key_config_selectorIllEEZZNS1_16scan_by_key_implILNS1_25lookback_scan_determinismE0ELb0ES3_PKlN6hipcub16HIPCUB_304000_NS21ConstantInputIteratorIllEEPllNSB_3SumENSB_8EqualityElEE10hipError_tPvRmT2_T3_T4_T5_mT6_T7_P12ihipStream_tbENKUlT_T0_E_clISt17integral_constantIbLb0EESX_EEDaSS_ST_EUlSS_E_NS1_11comp_targetILNS1_3genE8ELNS1_11target_archE1030ELNS1_3gpuE2ELNS1_3repE0EEENS1_30default_config_static_selectorELNS0_4arch9wavefront6targetE0EEEvT1_
	.p2align	8
	.type	_ZN7rocprim17ROCPRIM_400000_NS6detail17trampoline_kernelINS0_14default_configENS1_27scan_by_key_config_selectorIllEEZZNS1_16scan_by_key_implILNS1_25lookback_scan_determinismE0ELb0ES3_PKlN6hipcub16HIPCUB_304000_NS21ConstantInputIteratorIllEEPllNSB_3SumENSB_8EqualityElEE10hipError_tPvRmT2_T3_T4_T5_mT6_T7_P12ihipStream_tbENKUlT_T0_E_clISt17integral_constantIbLb0EESX_EEDaSS_ST_EUlSS_E_NS1_11comp_targetILNS1_3genE8ELNS1_11target_archE1030ELNS1_3gpuE2ELNS1_3repE0EEENS1_30default_config_static_selectorELNS0_4arch9wavefront6targetE0EEEvT1_,@function
_ZN7rocprim17ROCPRIM_400000_NS6detail17trampoline_kernelINS0_14default_configENS1_27scan_by_key_config_selectorIllEEZZNS1_16scan_by_key_implILNS1_25lookback_scan_determinismE0ELb0ES3_PKlN6hipcub16HIPCUB_304000_NS21ConstantInputIteratorIllEEPllNSB_3SumENSB_8EqualityElEE10hipError_tPvRmT2_T3_T4_T5_mT6_T7_P12ihipStream_tbENKUlT_T0_E_clISt17integral_constantIbLb0EESX_EEDaSS_ST_EUlSS_E_NS1_11comp_targetILNS1_3genE8ELNS1_11target_archE1030ELNS1_3gpuE2ELNS1_3repE0EEENS1_30default_config_static_selectorELNS0_4arch9wavefront6targetE0EEEvT1_: ; @_ZN7rocprim17ROCPRIM_400000_NS6detail17trampoline_kernelINS0_14default_configENS1_27scan_by_key_config_selectorIllEEZZNS1_16scan_by_key_implILNS1_25lookback_scan_determinismE0ELb0ES3_PKlN6hipcub16HIPCUB_304000_NS21ConstantInputIteratorIllEEPllNSB_3SumENSB_8EqualityElEE10hipError_tPvRmT2_T3_T4_T5_mT6_T7_P12ihipStream_tbENKUlT_T0_E_clISt17integral_constantIbLb0EESX_EEDaSS_ST_EUlSS_E_NS1_11comp_targetILNS1_3genE8ELNS1_11target_archE1030ELNS1_3gpuE2ELNS1_3repE0EEENS1_30default_config_static_selectorELNS0_4arch9wavefront6targetE0EEEvT1_
; %bb.0:
	.section	.rodata,"a",@progbits
	.p2align	6, 0x0
	.amdhsa_kernel _ZN7rocprim17ROCPRIM_400000_NS6detail17trampoline_kernelINS0_14default_configENS1_27scan_by_key_config_selectorIllEEZZNS1_16scan_by_key_implILNS1_25lookback_scan_determinismE0ELb0ES3_PKlN6hipcub16HIPCUB_304000_NS21ConstantInputIteratorIllEEPllNSB_3SumENSB_8EqualityElEE10hipError_tPvRmT2_T3_T4_T5_mT6_T7_P12ihipStream_tbENKUlT_T0_E_clISt17integral_constantIbLb0EESX_EEDaSS_ST_EUlSS_E_NS1_11comp_targetILNS1_3genE8ELNS1_11target_archE1030ELNS1_3gpuE2ELNS1_3repE0EEENS1_30default_config_static_selectorELNS0_4arch9wavefront6targetE0EEEvT1_
		.amdhsa_group_segment_fixed_size 0
		.amdhsa_private_segment_fixed_size 0
		.amdhsa_kernarg_size 144
		.amdhsa_user_sgpr_count 2
		.amdhsa_user_sgpr_dispatch_ptr 0
		.amdhsa_user_sgpr_queue_ptr 0
		.amdhsa_user_sgpr_kernarg_segment_ptr 1
		.amdhsa_user_sgpr_dispatch_id 0
		.amdhsa_user_sgpr_kernarg_preload_length 0
		.amdhsa_user_sgpr_kernarg_preload_offset 0
		.amdhsa_user_sgpr_private_segment_size 0
		.amdhsa_wavefront_size32 1
		.amdhsa_uses_dynamic_stack 0
		.amdhsa_enable_private_segment 0
		.amdhsa_system_sgpr_workgroup_id_x 1
		.amdhsa_system_sgpr_workgroup_id_y 0
		.amdhsa_system_sgpr_workgroup_id_z 0
		.amdhsa_system_sgpr_workgroup_info 0
		.amdhsa_system_vgpr_workitem_id 0
		.amdhsa_next_free_vgpr 1
		.amdhsa_next_free_sgpr 1
		.amdhsa_named_barrier_count 0
		.amdhsa_reserve_vcc 0
		.amdhsa_float_round_mode_32 0
		.amdhsa_float_round_mode_16_64 0
		.amdhsa_float_denorm_mode_32 3
		.amdhsa_float_denorm_mode_16_64 3
		.amdhsa_fp16_overflow 0
		.amdhsa_memory_ordered 1
		.amdhsa_forward_progress 1
		.amdhsa_inst_pref_size 0
		.amdhsa_round_robin_scheduling 0
		.amdhsa_exception_fp_ieee_invalid_op 0
		.amdhsa_exception_fp_denorm_src 0
		.amdhsa_exception_fp_ieee_div_zero 0
		.amdhsa_exception_fp_ieee_overflow 0
		.amdhsa_exception_fp_ieee_underflow 0
		.amdhsa_exception_fp_ieee_inexact 0
		.amdhsa_exception_int_div_zero 0
	.end_amdhsa_kernel
	.section	.text._ZN7rocprim17ROCPRIM_400000_NS6detail17trampoline_kernelINS0_14default_configENS1_27scan_by_key_config_selectorIllEEZZNS1_16scan_by_key_implILNS1_25lookback_scan_determinismE0ELb0ES3_PKlN6hipcub16HIPCUB_304000_NS21ConstantInputIteratorIllEEPllNSB_3SumENSB_8EqualityElEE10hipError_tPvRmT2_T3_T4_T5_mT6_T7_P12ihipStream_tbENKUlT_T0_E_clISt17integral_constantIbLb0EESX_EEDaSS_ST_EUlSS_E_NS1_11comp_targetILNS1_3genE8ELNS1_11target_archE1030ELNS1_3gpuE2ELNS1_3repE0EEENS1_30default_config_static_selectorELNS0_4arch9wavefront6targetE0EEEvT1_,"axG",@progbits,_ZN7rocprim17ROCPRIM_400000_NS6detail17trampoline_kernelINS0_14default_configENS1_27scan_by_key_config_selectorIllEEZZNS1_16scan_by_key_implILNS1_25lookback_scan_determinismE0ELb0ES3_PKlN6hipcub16HIPCUB_304000_NS21ConstantInputIteratorIllEEPllNSB_3SumENSB_8EqualityElEE10hipError_tPvRmT2_T3_T4_T5_mT6_T7_P12ihipStream_tbENKUlT_T0_E_clISt17integral_constantIbLb0EESX_EEDaSS_ST_EUlSS_E_NS1_11comp_targetILNS1_3genE8ELNS1_11target_archE1030ELNS1_3gpuE2ELNS1_3repE0EEENS1_30default_config_static_selectorELNS0_4arch9wavefront6targetE0EEEvT1_,comdat
.Lfunc_end102:
	.size	_ZN7rocprim17ROCPRIM_400000_NS6detail17trampoline_kernelINS0_14default_configENS1_27scan_by_key_config_selectorIllEEZZNS1_16scan_by_key_implILNS1_25lookback_scan_determinismE0ELb0ES3_PKlN6hipcub16HIPCUB_304000_NS21ConstantInputIteratorIllEEPllNSB_3SumENSB_8EqualityElEE10hipError_tPvRmT2_T3_T4_T5_mT6_T7_P12ihipStream_tbENKUlT_T0_E_clISt17integral_constantIbLb0EESX_EEDaSS_ST_EUlSS_E_NS1_11comp_targetILNS1_3genE8ELNS1_11target_archE1030ELNS1_3gpuE2ELNS1_3repE0EEENS1_30default_config_static_selectorELNS0_4arch9wavefront6targetE0EEEvT1_, .Lfunc_end102-_ZN7rocprim17ROCPRIM_400000_NS6detail17trampoline_kernelINS0_14default_configENS1_27scan_by_key_config_selectorIllEEZZNS1_16scan_by_key_implILNS1_25lookback_scan_determinismE0ELb0ES3_PKlN6hipcub16HIPCUB_304000_NS21ConstantInputIteratorIllEEPllNSB_3SumENSB_8EqualityElEE10hipError_tPvRmT2_T3_T4_T5_mT6_T7_P12ihipStream_tbENKUlT_T0_E_clISt17integral_constantIbLb0EESX_EEDaSS_ST_EUlSS_E_NS1_11comp_targetILNS1_3genE8ELNS1_11target_archE1030ELNS1_3gpuE2ELNS1_3repE0EEENS1_30default_config_static_selectorELNS0_4arch9wavefront6targetE0EEEvT1_
                                        ; -- End function
	.set _ZN7rocprim17ROCPRIM_400000_NS6detail17trampoline_kernelINS0_14default_configENS1_27scan_by_key_config_selectorIllEEZZNS1_16scan_by_key_implILNS1_25lookback_scan_determinismE0ELb0ES3_PKlN6hipcub16HIPCUB_304000_NS21ConstantInputIteratorIllEEPllNSB_3SumENSB_8EqualityElEE10hipError_tPvRmT2_T3_T4_T5_mT6_T7_P12ihipStream_tbENKUlT_T0_E_clISt17integral_constantIbLb0EESX_EEDaSS_ST_EUlSS_E_NS1_11comp_targetILNS1_3genE8ELNS1_11target_archE1030ELNS1_3gpuE2ELNS1_3repE0EEENS1_30default_config_static_selectorELNS0_4arch9wavefront6targetE0EEEvT1_.num_vgpr, 0
	.set _ZN7rocprim17ROCPRIM_400000_NS6detail17trampoline_kernelINS0_14default_configENS1_27scan_by_key_config_selectorIllEEZZNS1_16scan_by_key_implILNS1_25lookback_scan_determinismE0ELb0ES3_PKlN6hipcub16HIPCUB_304000_NS21ConstantInputIteratorIllEEPllNSB_3SumENSB_8EqualityElEE10hipError_tPvRmT2_T3_T4_T5_mT6_T7_P12ihipStream_tbENKUlT_T0_E_clISt17integral_constantIbLb0EESX_EEDaSS_ST_EUlSS_E_NS1_11comp_targetILNS1_3genE8ELNS1_11target_archE1030ELNS1_3gpuE2ELNS1_3repE0EEENS1_30default_config_static_selectorELNS0_4arch9wavefront6targetE0EEEvT1_.num_agpr, 0
	.set _ZN7rocprim17ROCPRIM_400000_NS6detail17trampoline_kernelINS0_14default_configENS1_27scan_by_key_config_selectorIllEEZZNS1_16scan_by_key_implILNS1_25lookback_scan_determinismE0ELb0ES3_PKlN6hipcub16HIPCUB_304000_NS21ConstantInputIteratorIllEEPllNSB_3SumENSB_8EqualityElEE10hipError_tPvRmT2_T3_T4_T5_mT6_T7_P12ihipStream_tbENKUlT_T0_E_clISt17integral_constantIbLb0EESX_EEDaSS_ST_EUlSS_E_NS1_11comp_targetILNS1_3genE8ELNS1_11target_archE1030ELNS1_3gpuE2ELNS1_3repE0EEENS1_30default_config_static_selectorELNS0_4arch9wavefront6targetE0EEEvT1_.numbered_sgpr, 0
	.set _ZN7rocprim17ROCPRIM_400000_NS6detail17trampoline_kernelINS0_14default_configENS1_27scan_by_key_config_selectorIllEEZZNS1_16scan_by_key_implILNS1_25lookback_scan_determinismE0ELb0ES3_PKlN6hipcub16HIPCUB_304000_NS21ConstantInputIteratorIllEEPllNSB_3SumENSB_8EqualityElEE10hipError_tPvRmT2_T3_T4_T5_mT6_T7_P12ihipStream_tbENKUlT_T0_E_clISt17integral_constantIbLb0EESX_EEDaSS_ST_EUlSS_E_NS1_11comp_targetILNS1_3genE8ELNS1_11target_archE1030ELNS1_3gpuE2ELNS1_3repE0EEENS1_30default_config_static_selectorELNS0_4arch9wavefront6targetE0EEEvT1_.num_named_barrier, 0
	.set _ZN7rocprim17ROCPRIM_400000_NS6detail17trampoline_kernelINS0_14default_configENS1_27scan_by_key_config_selectorIllEEZZNS1_16scan_by_key_implILNS1_25lookback_scan_determinismE0ELb0ES3_PKlN6hipcub16HIPCUB_304000_NS21ConstantInputIteratorIllEEPllNSB_3SumENSB_8EqualityElEE10hipError_tPvRmT2_T3_T4_T5_mT6_T7_P12ihipStream_tbENKUlT_T0_E_clISt17integral_constantIbLb0EESX_EEDaSS_ST_EUlSS_E_NS1_11comp_targetILNS1_3genE8ELNS1_11target_archE1030ELNS1_3gpuE2ELNS1_3repE0EEENS1_30default_config_static_selectorELNS0_4arch9wavefront6targetE0EEEvT1_.private_seg_size, 0
	.set _ZN7rocprim17ROCPRIM_400000_NS6detail17trampoline_kernelINS0_14default_configENS1_27scan_by_key_config_selectorIllEEZZNS1_16scan_by_key_implILNS1_25lookback_scan_determinismE0ELb0ES3_PKlN6hipcub16HIPCUB_304000_NS21ConstantInputIteratorIllEEPllNSB_3SumENSB_8EqualityElEE10hipError_tPvRmT2_T3_T4_T5_mT6_T7_P12ihipStream_tbENKUlT_T0_E_clISt17integral_constantIbLb0EESX_EEDaSS_ST_EUlSS_E_NS1_11comp_targetILNS1_3genE8ELNS1_11target_archE1030ELNS1_3gpuE2ELNS1_3repE0EEENS1_30default_config_static_selectorELNS0_4arch9wavefront6targetE0EEEvT1_.uses_vcc, 0
	.set _ZN7rocprim17ROCPRIM_400000_NS6detail17trampoline_kernelINS0_14default_configENS1_27scan_by_key_config_selectorIllEEZZNS1_16scan_by_key_implILNS1_25lookback_scan_determinismE0ELb0ES3_PKlN6hipcub16HIPCUB_304000_NS21ConstantInputIteratorIllEEPllNSB_3SumENSB_8EqualityElEE10hipError_tPvRmT2_T3_T4_T5_mT6_T7_P12ihipStream_tbENKUlT_T0_E_clISt17integral_constantIbLb0EESX_EEDaSS_ST_EUlSS_E_NS1_11comp_targetILNS1_3genE8ELNS1_11target_archE1030ELNS1_3gpuE2ELNS1_3repE0EEENS1_30default_config_static_selectorELNS0_4arch9wavefront6targetE0EEEvT1_.uses_flat_scratch, 0
	.set _ZN7rocprim17ROCPRIM_400000_NS6detail17trampoline_kernelINS0_14default_configENS1_27scan_by_key_config_selectorIllEEZZNS1_16scan_by_key_implILNS1_25lookback_scan_determinismE0ELb0ES3_PKlN6hipcub16HIPCUB_304000_NS21ConstantInputIteratorIllEEPllNSB_3SumENSB_8EqualityElEE10hipError_tPvRmT2_T3_T4_T5_mT6_T7_P12ihipStream_tbENKUlT_T0_E_clISt17integral_constantIbLb0EESX_EEDaSS_ST_EUlSS_E_NS1_11comp_targetILNS1_3genE8ELNS1_11target_archE1030ELNS1_3gpuE2ELNS1_3repE0EEENS1_30default_config_static_selectorELNS0_4arch9wavefront6targetE0EEEvT1_.has_dyn_sized_stack, 0
	.set _ZN7rocprim17ROCPRIM_400000_NS6detail17trampoline_kernelINS0_14default_configENS1_27scan_by_key_config_selectorIllEEZZNS1_16scan_by_key_implILNS1_25lookback_scan_determinismE0ELb0ES3_PKlN6hipcub16HIPCUB_304000_NS21ConstantInputIteratorIllEEPllNSB_3SumENSB_8EqualityElEE10hipError_tPvRmT2_T3_T4_T5_mT6_T7_P12ihipStream_tbENKUlT_T0_E_clISt17integral_constantIbLb0EESX_EEDaSS_ST_EUlSS_E_NS1_11comp_targetILNS1_3genE8ELNS1_11target_archE1030ELNS1_3gpuE2ELNS1_3repE0EEENS1_30default_config_static_selectorELNS0_4arch9wavefront6targetE0EEEvT1_.has_recursion, 0
	.set _ZN7rocprim17ROCPRIM_400000_NS6detail17trampoline_kernelINS0_14default_configENS1_27scan_by_key_config_selectorIllEEZZNS1_16scan_by_key_implILNS1_25lookback_scan_determinismE0ELb0ES3_PKlN6hipcub16HIPCUB_304000_NS21ConstantInputIteratorIllEEPllNSB_3SumENSB_8EqualityElEE10hipError_tPvRmT2_T3_T4_T5_mT6_T7_P12ihipStream_tbENKUlT_T0_E_clISt17integral_constantIbLb0EESX_EEDaSS_ST_EUlSS_E_NS1_11comp_targetILNS1_3genE8ELNS1_11target_archE1030ELNS1_3gpuE2ELNS1_3repE0EEENS1_30default_config_static_selectorELNS0_4arch9wavefront6targetE0EEEvT1_.has_indirect_call, 0
	.section	.AMDGPU.csdata,"",@progbits
; Kernel info:
; codeLenInByte = 0
; TotalNumSgprs: 0
; NumVgprs: 0
; ScratchSize: 0
; MemoryBound: 0
; FloatMode: 240
; IeeeMode: 1
; LDSByteSize: 0 bytes/workgroup (compile time only)
; SGPRBlocks: 0
; VGPRBlocks: 0
; NumSGPRsForWavesPerEU: 1
; NumVGPRsForWavesPerEU: 1
; NamedBarCnt: 0
; Occupancy: 16
; WaveLimiterHint : 0
; COMPUTE_PGM_RSRC2:SCRATCH_EN: 0
; COMPUTE_PGM_RSRC2:USER_SGPR: 2
; COMPUTE_PGM_RSRC2:TRAP_HANDLER: 0
; COMPUTE_PGM_RSRC2:TGID_X_EN: 1
; COMPUTE_PGM_RSRC2:TGID_Y_EN: 0
; COMPUTE_PGM_RSRC2:TGID_Z_EN: 0
; COMPUTE_PGM_RSRC2:TIDIG_COMP_CNT: 0
	.section	.text._ZN7rocprim17ROCPRIM_400000_NS6detail30init_device_scan_by_key_kernelINS1_19lookback_scan_stateINS0_5tupleIJlbEEELb1ELb0EEEPKljNS1_16block_id_wrapperIjLb1EEEEEvT_jjPNSB_10value_typeET0_PNSt15iterator_traitsISE_E10value_typeEmT1_T2_,"axG",@progbits,_ZN7rocprim17ROCPRIM_400000_NS6detail30init_device_scan_by_key_kernelINS1_19lookback_scan_stateINS0_5tupleIJlbEEELb1ELb0EEEPKljNS1_16block_id_wrapperIjLb1EEEEEvT_jjPNSB_10value_typeET0_PNSt15iterator_traitsISE_E10value_typeEmT1_T2_,comdat
	.protected	_ZN7rocprim17ROCPRIM_400000_NS6detail30init_device_scan_by_key_kernelINS1_19lookback_scan_stateINS0_5tupleIJlbEEELb1ELb0EEEPKljNS1_16block_id_wrapperIjLb1EEEEEvT_jjPNSB_10value_typeET0_PNSt15iterator_traitsISE_E10value_typeEmT1_T2_ ; -- Begin function _ZN7rocprim17ROCPRIM_400000_NS6detail30init_device_scan_by_key_kernelINS1_19lookback_scan_stateINS0_5tupleIJlbEEELb1ELb0EEEPKljNS1_16block_id_wrapperIjLb1EEEEEvT_jjPNSB_10value_typeET0_PNSt15iterator_traitsISE_E10value_typeEmT1_T2_
	.globl	_ZN7rocprim17ROCPRIM_400000_NS6detail30init_device_scan_by_key_kernelINS1_19lookback_scan_stateINS0_5tupleIJlbEEELb1ELb0EEEPKljNS1_16block_id_wrapperIjLb1EEEEEvT_jjPNSB_10value_typeET0_PNSt15iterator_traitsISE_E10value_typeEmT1_T2_
	.p2align	8
	.type	_ZN7rocprim17ROCPRIM_400000_NS6detail30init_device_scan_by_key_kernelINS1_19lookback_scan_stateINS0_5tupleIJlbEEELb1ELb0EEEPKljNS1_16block_id_wrapperIjLb1EEEEEvT_jjPNSB_10value_typeET0_PNSt15iterator_traitsISE_E10value_typeEmT1_T2_,@function
_ZN7rocprim17ROCPRIM_400000_NS6detail30init_device_scan_by_key_kernelINS1_19lookback_scan_stateINS0_5tupleIJlbEEELb1ELb0EEEPKljNS1_16block_id_wrapperIjLb1EEEEEvT_jjPNSB_10value_typeET0_PNSt15iterator_traitsISE_E10value_typeEmT1_T2_: ; @_ZN7rocprim17ROCPRIM_400000_NS6detail30init_device_scan_by_key_kernelINS1_19lookback_scan_stateINS0_5tupleIJlbEEELb1ELb0EEEPKljNS1_16block_id_wrapperIjLb1EEEEEvT_jjPNSB_10value_typeET0_PNSt15iterator_traitsISE_E10value_typeEmT1_T2_
; %bb.0:
	s_clause 0x2
	s_load_b32 s2, s[0:1], 0x5c
	s_load_b32 s18, s[0:1], 0x50
	s_load_b256 s[4:11], s[0:1], 0x10
	s_bfe_u32 s3, ttmp6, 0x4000c
	s_and_b32 s12, ttmp6, 15
	s_add_co_i32 s3, s3, 1
	s_getreg_b32 s13, hwreg(HW_REG_IB_STS2, 6, 4)
	s_mul_i32 s3, ttmp9, s3
	s_delay_alu instid0(SALU_CYCLE_1)
	s_add_co_i32 s12, s12, s3
	s_wait_kmcnt 0x0
	s_and_b32 s19, s2, 0xffff
	s_cmp_eq_u32 s13, 0
	s_cselect_b32 s2, ttmp9, s12
	s_cmp_eq_u64 s[8:9], 0
	v_mad_u32 v0, s2, s19, v0
	s_cbranch_scc1 .LBB103_9
; %bb.1:
	s_cmp_lt_u32 s7, s6
	s_mov_b32 s20, exec_lo
	s_cselect_b32 s2, s7, 0
	s_delay_alu instid0(VALU_DEP_1) | instid1(SALU_CYCLE_1)
	v_cmpx_eq_u32_e64 s2, v0
	s_cbranch_execz .LBB103_8
; %bb.2:
	s_add_co_i32 s2, s7, 32
	s_load_b128 s[12:15], s[0:1], 0x0
	v_mov_b32_e32 v1, s2
	s_mov_b32 s3, 0
	global_load_u8 v1, v1, s[4:5] scope:SCOPE_DEV
	s_wait_loadcnt 0x0
	v_and_b32_e32 v2, 0xffff, v1
	v_readfirstlane_b32 s21, v1
	s_delay_alu instid0(VALU_DEP_2)
	v_cmp_ne_u32_e32 vcc_lo, 0, v2
	s_cbranch_vccnz .LBB103_7
; %bb.3:
	v_mov_b32_e32 v1, 0
	s_add_nc_u64 s[16:17], s[4:5], s[2:3]
	s_mov_b32 s7, 1
.LBB103_4:                              ; =>This Loop Header: Depth=1
                                        ;     Child Loop BB103_5 Depth 2
	s_delay_alu instid0(SALU_CYCLE_1)
	s_mov_b32 s21, s7
.LBB103_5:                              ;   Parent Loop BB103_4 Depth=1
                                        ; =>  This Inner Loop Header: Depth=2
	s_delay_alu instid0(SALU_CYCLE_1)
	s_add_co_i32 s21, s21, -1
	s_sleep 1
	s_cmp_eq_u32 s21, 0
	s_cbranch_scc0 .LBB103_5
; %bb.6:                                ;   in Loop: Header=BB103_4 Depth=1
	global_load_u8 v2, v1, s[16:17] scope:SCOPE_DEV
	s_cmp_lt_u32 s7, 32
	s_cselect_b32 s21, -1, 0
	s_delay_alu instid0(SALU_CYCLE_1) | instskip(SKIP_4) | instid1(VALU_DEP_2)
	s_cmp_lg_u32 s21, 0
	s_add_co_ci_u32 s7, s7, 0
	s_wait_loadcnt 0x0
	v_and_b32_e32 v3, 0xffff, v2
	v_readfirstlane_b32 s21, v2
	v_cmp_ne_u32_e32 vcc_lo, 0, v3
	s_cbranch_vccz .LBB103_4
.LBB103_7:
	s_and_b32 s7, 0xffff, s21
	v_mov_b32_e32 v1, 0
	s_cmp_eq_u32 s7, 1
	global_wb scope:SCOPE_DEV
	s_wait_storecnt 0x0
	global_inv scope:SCOPE_DEV
	s_wait_kmcnt 0x0
	s_cselect_b32 s13, s13, s15
	s_cselect_b32 s12, s12, s14
	s_lshl_b64 s[2:3], s[2:3], 4
	s_delay_alu instid0(SALU_CYCLE_1)
	s_add_nc_u64 s[2:3], s[12:13], s[2:3]
	s_clause 0x1
	global_load_b64 v[2:3], v1, s[2:3]
	global_load_u8 v4, v1, s[2:3] offset:8
	s_wait_loadcnt 0x1
	global_store_b64 v1, v[2:3], s[8:9]
	s_wait_loadcnt 0x0
	global_store_b8 v1, v4, s[8:9] offset:8
.LBB103_8:
	s_wait_xcnt 0x0
	s_or_b32 exec_lo, exec_lo, s20
.LBB103_9:
	s_delay_alu instid0(SALU_CYCLE_1) | instskip(NEXT) | instid1(VALU_DEP_1)
	s_mov_b32 s2, exec_lo
	v_cmpx_eq_u32_e32 0, v0
	s_cbranch_execz .LBB103_11
; %bb.10:
	s_load_b64 s[8:9], s[0:1], 0x48
	v_mov_b32_e32 v1, 0
	s_wait_kmcnt 0x0
	global_store_b32 v1, v1, s[8:9]
.LBB103_11:
	s_wait_xcnt 0x0
	s_or_b32 exec_lo, exec_lo, s2
	s_delay_alu instid0(SALU_CYCLE_1)
	s_mov_b32 s2, exec_lo
	v_cmpx_gt_u32_e64 s6, v0
	s_cbranch_execz .LBB103_13
; %bb.12:
	v_dual_mov_b32 v2, 0 :: v_dual_add_nc_u32 v1, 32, v0
	global_store_b8 v1, v2, s[4:5]
.LBB103_13:
	s_wait_xcnt 0x0
	s_or_b32 exec_lo, exec_lo, s2
	v_mov_b32_e32 v1, 0
	s_mov_b32 s2, exec_lo
	v_cmpx_gt_u32_e32 32, v0
	s_cbranch_execz .LBB103_15
; %bb.14:
	s_delay_alu instid0(VALU_DEP_2)
	v_add_nc_u64_e32 v[2:3], s[4:5], v[0:1]
	v_mov_b32_e32 v4, 0xff
	global_store_b8 v[2:3], v4, off
.LBB103_15:
	s_wait_xcnt 0x0
	s_or_b32 exec_lo, exec_lo, s2
	s_load_b64 s[2:3], s[0:1], 0x38
	s_mov_b32 s4, exec_lo
	s_wait_kmcnt 0x0
	v_cmpx_gt_u64_e64 s[2:3], v[0:1]
	s_cbranch_execz .LBB103_18
; %bb.16:
	s_clause 0x1
	s_load_b32 s4, s[0:1], 0x40
	s_load_b64 s[6:7], s[0:1], 0x30
	s_mov_b32 s5, 0
	s_wait_xcnt 0x0
	s_mul_i32 s0, s18, s19
	s_mov_b32 s9, s5
	s_mov_b32 s1, s5
	s_wait_kmcnt 0x0
	v_mul_u64_e32 v[2:3], s[4:5], v[0:1]
	s_add_co_i32 s8, s4, -1
	v_lshl_add_u64 v[4:5], v[0:1], 3, s[6:7]
	s_lshl_b64 s[8:9], s[8:9], 3
	s_delay_alu instid0(SALU_CYCLE_1) | instskip(SKIP_1) | instid1(SALU_CYCLE_1)
	s_add_nc_u64 s[8:9], s[10:11], s[8:9]
	s_mul_u64 s[10:11], s[4:5], s[0:1]
	s_lshl_b64 s[6:7], s[10:11], 3
	s_delay_alu instid0(VALU_DEP_2)
	v_lshl_add_u64 v[2:3], v[2:3], 3, s[8:9]
	s_lshl_b64 s[8:9], s[0:1], 3
.LBB103_17:                             ; =>This Inner Loop Header: Depth=1
	global_load_b64 v[6:7], v[2:3], off
	v_add_nc_u64_e32 v[0:1], s[0:1], v[0:1]
	s_wait_xcnt 0x0
	v_add_nc_u64_e32 v[2:3], s[6:7], v[2:3]
	s_delay_alu instid0(VALU_DEP_2)
	v_cmp_le_u64_e32 vcc_lo, s[2:3], v[0:1]
	s_or_b32 s5, vcc_lo, s5
	s_wait_loadcnt 0x0
	global_store_b64 v[4:5], v[6:7], off
	s_wait_xcnt 0x0
	v_add_nc_u64_e32 v[4:5], s[8:9], v[4:5]
	s_and_not1_b32 exec_lo, exec_lo, s5
	s_cbranch_execnz .LBB103_17
.LBB103_18:
	s_endpgm
	.section	.rodata,"a",@progbits
	.p2align	6, 0x0
	.amdhsa_kernel _ZN7rocprim17ROCPRIM_400000_NS6detail30init_device_scan_by_key_kernelINS1_19lookback_scan_stateINS0_5tupleIJlbEEELb1ELb0EEEPKljNS1_16block_id_wrapperIjLb1EEEEEvT_jjPNSB_10value_typeET0_PNSt15iterator_traitsISE_E10value_typeEmT1_T2_
		.amdhsa_group_segment_fixed_size 0
		.amdhsa_private_segment_fixed_size 0
		.amdhsa_kernarg_size 336
		.amdhsa_user_sgpr_count 2
		.amdhsa_user_sgpr_dispatch_ptr 0
		.amdhsa_user_sgpr_queue_ptr 0
		.amdhsa_user_sgpr_kernarg_segment_ptr 1
		.amdhsa_user_sgpr_dispatch_id 0
		.amdhsa_user_sgpr_kernarg_preload_length 0
		.amdhsa_user_sgpr_kernarg_preload_offset 0
		.amdhsa_user_sgpr_private_segment_size 0
		.amdhsa_wavefront_size32 1
		.amdhsa_uses_dynamic_stack 0
		.amdhsa_enable_private_segment 0
		.amdhsa_system_sgpr_workgroup_id_x 1
		.amdhsa_system_sgpr_workgroup_id_y 0
		.amdhsa_system_sgpr_workgroup_id_z 0
		.amdhsa_system_sgpr_workgroup_info 0
		.amdhsa_system_vgpr_workitem_id 0
		.amdhsa_next_free_vgpr 8
		.amdhsa_next_free_sgpr 22
		.amdhsa_named_barrier_count 0
		.amdhsa_reserve_vcc 1
		.amdhsa_float_round_mode_32 0
		.amdhsa_float_round_mode_16_64 0
		.amdhsa_float_denorm_mode_32 3
		.amdhsa_float_denorm_mode_16_64 3
		.amdhsa_fp16_overflow 0
		.amdhsa_memory_ordered 1
		.amdhsa_forward_progress 1
		.amdhsa_inst_pref_size 6
		.amdhsa_round_robin_scheduling 0
		.amdhsa_exception_fp_ieee_invalid_op 0
		.amdhsa_exception_fp_denorm_src 0
		.amdhsa_exception_fp_ieee_div_zero 0
		.amdhsa_exception_fp_ieee_overflow 0
		.amdhsa_exception_fp_ieee_underflow 0
		.amdhsa_exception_fp_ieee_inexact 0
		.amdhsa_exception_int_div_zero 0
	.end_amdhsa_kernel
	.section	.text._ZN7rocprim17ROCPRIM_400000_NS6detail30init_device_scan_by_key_kernelINS1_19lookback_scan_stateINS0_5tupleIJlbEEELb1ELb0EEEPKljNS1_16block_id_wrapperIjLb1EEEEEvT_jjPNSB_10value_typeET0_PNSt15iterator_traitsISE_E10value_typeEmT1_T2_,"axG",@progbits,_ZN7rocprim17ROCPRIM_400000_NS6detail30init_device_scan_by_key_kernelINS1_19lookback_scan_stateINS0_5tupleIJlbEEELb1ELb0EEEPKljNS1_16block_id_wrapperIjLb1EEEEEvT_jjPNSB_10value_typeET0_PNSt15iterator_traitsISE_E10value_typeEmT1_T2_,comdat
.Lfunc_end103:
	.size	_ZN7rocprim17ROCPRIM_400000_NS6detail30init_device_scan_by_key_kernelINS1_19lookback_scan_stateINS0_5tupleIJlbEEELb1ELb0EEEPKljNS1_16block_id_wrapperIjLb1EEEEEvT_jjPNSB_10value_typeET0_PNSt15iterator_traitsISE_E10value_typeEmT1_T2_, .Lfunc_end103-_ZN7rocprim17ROCPRIM_400000_NS6detail30init_device_scan_by_key_kernelINS1_19lookback_scan_stateINS0_5tupleIJlbEEELb1ELb0EEEPKljNS1_16block_id_wrapperIjLb1EEEEEvT_jjPNSB_10value_typeET0_PNSt15iterator_traitsISE_E10value_typeEmT1_T2_
                                        ; -- End function
	.set _ZN7rocprim17ROCPRIM_400000_NS6detail30init_device_scan_by_key_kernelINS1_19lookback_scan_stateINS0_5tupleIJlbEEELb1ELb0EEEPKljNS1_16block_id_wrapperIjLb1EEEEEvT_jjPNSB_10value_typeET0_PNSt15iterator_traitsISE_E10value_typeEmT1_T2_.num_vgpr, 8
	.set _ZN7rocprim17ROCPRIM_400000_NS6detail30init_device_scan_by_key_kernelINS1_19lookback_scan_stateINS0_5tupleIJlbEEELb1ELb0EEEPKljNS1_16block_id_wrapperIjLb1EEEEEvT_jjPNSB_10value_typeET0_PNSt15iterator_traitsISE_E10value_typeEmT1_T2_.num_agpr, 0
	.set _ZN7rocprim17ROCPRIM_400000_NS6detail30init_device_scan_by_key_kernelINS1_19lookback_scan_stateINS0_5tupleIJlbEEELb1ELb0EEEPKljNS1_16block_id_wrapperIjLb1EEEEEvT_jjPNSB_10value_typeET0_PNSt15iterator_traitsISE_E10value_typeEmT1_T2_.numbered_sgpr, 22
	.set _ZN7rocprim17ROCPRIM_400000_NS6detail30init_device_scan_by_key_kernelINS1_19lookback_scan_stateINS0_5tupleIJlbEEELb1ELb0EEEPKljNS1_16block_id_wrapperIjLb1EEEEEvT_jjPNSB_10value_typeET0_PNSt15iterator_traitsISE_E10value_typeEmT1_T2_.num_named_barrier, 0
	.set _ZN7rocprim17ROCPRIM_400000_NS6detail30init_device_scan_by_key_kernelINS1_19lookback_scan_stateINS0_5tupleIJlbEEELb1ELb0EEEPKljNS1_16block_id_wrapperIjLb1EEEEEvT_jjPNSB_10value_typeET0_PNSt15iterator_traitsISE_E10value_typeEmT1_T2_.private_seg_size, 0
	.set _ZN7rocprim17ROCPRIM_400000_NS6detail30init_device_scan_by_key_kernelINS1_19lookback_scan_stateINS0_5tupleIJlbEEELb1ELb0EEEPKljNS1_16block_id_wrapperIjLb1EEEEEvT_jjPNSB_10value_typeET0_PNSt15iterator_traitsISE_E10value_typeEmT1_T2_.uses_vcc, 1
	.set _ZN7rocprim17ROCPRIM_400000_NS6detail30init_device_scan_by_key_kernelINS1_19lookback_scan_stateINS0_5tupleIJlbEEELb1ELb0EEEPKljNS1_16block_id_wrapperIjLb1EEEEEvT_jjPNSB_10value_typeET0_PNSt15iterator_traitsISE_E10value_typeEmT1_T2_.uses_flat_scratch, 0
	.set _ZN7rocprim17ROCPRIM_400000_NS6detail30init_device_scan_by_key_kernelINS1_19lookback_scan_stateINS0_5tupleIJlbEEELb1ELb0EEEPKljNS1_16block_id_wrapperIjLb1EEEEEvT_jjPNSB_10value_typeET0_PNSt15iterator_traitsISE_E10value_typeEmT1_T2_.has_dyn_sized_stack, 0
	.set _ZN7rocprim17ROCPRIM_400000_NS6detail30init_device_scan_by_key_kernelINS1_19lookback_scan_stateINS0_5tupleIJlbEEELb1ELb0EEEPKljNS1_16block_id_wrapperIjLb1EEEEEvT_jjPNSB_10value_typeET0_PNSt15iterator_traitsISE_E10value_typeEmT1_T2_.has_recursion, 0
	.set _ZN7rocprim17ROCPRIM_400000_NS6detail30init_device_scan_by_key_kernelINS1_19lookback_scan_stateINS0_5tupleIJlbEEELb1ELb0EEEPKljNS1_16block_id_wrapperIjLb1EEEEEvT_jjPNSB_10value_typeET0_PNSt15iterator_traitsISE_E10value_typeEmT1_T2_.has_indirect_call, 0
	.section	.AMDGPU.csdata,"",@progbits
; Kernel info:
; codeLenInByte = 764
; TotalNumSgprs: 24
; NumVgprs: 8
; ScratchSize: 0
; MemoryBound: 0
; FloatMode: 240
; IeeeMode: 1
; LDSByteSize: 0 bytes/workgroup (compile time only)
; SGPRBlocks: 0
; VGPRBlocks: 0
; NumSGPRsForWavesPerEU: 24
; NumVGPRsForWavesPerEU: 8
; NamedBarCnt: 0
; Occupancy: 16
; WaveLimiterHint : 0
; COMPUTE_PGM_RSRC2:SCRATCH_EN: 0
; COMPUTE_PGM_RSRC2:USER_SGPR: 2
; COMPUTE_PGM_RSRC2:TRAP_HANDLER: 0
; COMPUTE_PGM_RSRC2:TGID_X_EN: 1
; COMPUTE_PGM_RSRC2:TGID_Y_EN: 0
; COMPUTE_PGM_RSRC2:TGID_Z_EN: 0
; COMPUTE_PGM_RSRC2:TIDIG_COMP_CNT: 0
	.section	.text._ZN7rocprim17ROCPRIM_400000_NS6detail30init_device_scan_by_key_kernelINS1_19lookback_scan_stateINS0_5tupleIJlbEEELb1ELb0EEENS1_16block_id_wrapperIjLb1EEEEEvT_jjPNS9_10value_typeET0_,"axG",@progbits,_ZN7rocprim17ROCPRIM_400000_NS6detail30init_device_scan_by_key_kernelINS1_19lookback_scan_stateINS0_5tupleIJlbEEELb1ELb0EEENS1_16block_id_wrapperIjLb1EEEEEvT_jjPNS9_10value_typeET0_,comdat
	.protected	_ZN7rocprim17ROCPRIM_400000_NS6detail30init_device_scan_by_key_kernelINS1_19lookback_scan_stateINS0_5tupleIJlbEEELb1ELb0EEENS1_16block_id_wrapperIjLb1EEEEEvT_jjPNS9_10value_typeET0_ ; -- Begin function _ZN7rocprim17ROCPRIM_400000_NS6detail30init_device_scan_by_key_kernelINS1_19lookback_scan_stateINS0_5tupleIJlbEEELb1ELb0EEENS1_16block_id_wrapperIjLb1EEEEEvT_jjPNS9_10value_typeET0_
	.globl	_ZN7rocprim17ROCPRIM_400000_NS6detail30init_device_scan_by_key_kernelINS1_19lookback_scan_stateINS0_5tupleIJlbEEELb1ELb0EEENS1_16block_id_wrapperIjLb1EEEEEvT_jjPNS9_10value_typeET0_
	.p2align	8
	.type	_ZN7rocprim17ROCPRIM_400000_NS6detail30init_device_scan_by_key_kernelINS1_19lookback_scan_stateINS0_5tupleIJlbEEELb1ELb0EEENS1_16block_id_wrapperIjLb1EEEEEvT_jjPNS9_10value_typeET0_,@function
_ZN7rocprim17ROCPRIM_400000_NS6detail30init_device_scan_by_key_kernelINS1_19lookback_scan_stateINS0_5tupleIJlbEEELb1ELb0EEENS1_16block_id_wrapperIjLb1EEEEEvT_jjPNS9_10value_typeET0_: ; @_ZN7rocprim17ROCPRIM_400000_NS6detail30init_device_scan_by_key_kernelINS1_19lookback_scan_stateINS0_5tupleIJlbEEELb1ELb0EEENS1_16block_id_wrapperIjLb1EEEEEvT_jjPNS9_10value_typeET0_
; %bb.0:
	s_clause 0x1
	s_load_b32 s2, s[0:1], 0x3c
	s_load_b256 s[4:11], s[0:1], 0x10
	s_bfe_u32 s3, ttmp6, 0x4000c
	s_and_b32 s12, ttmp6, 15
	s_add_co_i32 s3, s3, 1
	s_getreg_b32 s13, hwreg(HW_REG_IB_STS2, 6, 4)
	s_mul_i32 s3, ttmp9, s3
	s_delay_alu instid0(SALU_CYCLE_1)
	s_add_co_i32 s12, s12, s3
	s_wait_kmcnt 0x0
	s_and_b32 s2, s2, 0xffff
	s_cmp_eq_u32 s13, 0
	s_cselect_b32 s3, ttmp9, s12
	s_cmp_eq_u64 s[8:9], 0
	v_mad_u32 v0, s3, s2, v0
	s_cbranch_scc1 .LBB104_9
; %bb.1:
	s_cmp_lt_u32 s7, s6
	s_mov_b32 s16, exec_lo
	s_cselect_b32 s2, s7, 0
	s_delay_alu instid0(VALU_DEP_1) | instid1(SALU_CYCLE_1)
	v_cmpx_eq_u32_e64 s2, v0
	s_cbranch_execz .LBB104_8
; %bb.2:
	s_add_co_i32 s2, s7, 32
	s_load_b128 s[12:15], s[0:1], 0x0
	v_mov_b32_e32 v1, s2
	s_mov_b32 s3, 0
	global_load_u8 v1, v1, s[4:5] scope:SCOPE_DEV
	s_wait_loadcnt 0x0
	v_and_b32_e32 v2, 0xffff, v1
	v_readfirstlane_b32 s17, v1
	s_delay_alu instid0(VALU_DEP_2)
	v_cmp_ne_u32_e32 vcc_lo, 0, v2
	s_cbranch_vccnz .LBB104_7
; %bb.3:
	v_mov_b32_e32 v1, 0
	s_add_nc_u64 s[0:1], s[4:5], s[2:3]
	s_mov_b32 s7, 1
.LBB104_4:                              ; =>This Loop Header: Depth=1
                                        ;     Child Loop BB104_5 Depth 2
	s_delay_alu instid0(SALU_CYCLE_1)
	s_mov_b32 s17, s7
.LBB104_5:                              ;   Parent Loop BB104_4 Depth=1
                                        ; =>  This Inner Loop Header: Depth=2
	s_delay_alu instid0(SALU_CYCLE_1)
	s_add_co_i32 s17, s17, -1
	s_sleep 1
	s_cmp_eq_u32 s17, 0
	s_cbranch_scc0 .LBB104_5
; %bb.6:                                ;   in Loop: Header=BB104_4 Depth=1
	global_load_u8 v2, v1, s[0:1] scope:SCOPE_DEV
	s_cmp_lt_u32 s7, 32
	s_cselect_b32 s17, -1, 0
	s_delay_alu instid0(SALU_CYCLE_1) | instskip(SKIP_4) | instid1(VALU_DEP_2)
	s_cmp_lg_u32 s17, 0
	s_add_co_ci_u32 s7, s7, 0
	s_wait_loadcnt 0x0
	v_and_b32_e32 v3, 0xffff, v2
	v_readfirstlane_b32 s17, v2
	v_cmp_ne_u32_e32 vcc_lo, 0, v3
	s_cbranch_vccz .LBB104_4
.LBB104_7:
	s_and_b32 s0, 0xffff, s17
	v_mov_b32_e32 v1, 0
	s_cmp_eq_u32 s0, 1
	global_wb scope:SCOPE_DEV
	s_wait_storecnt 0x0
	global_inv scope:SCOPE_DEV
	s_wait_kmcnt 0x0
	s_cselect_b32 s1, s13, s15
	s_cselect_b32 s0, s12, s14
	s_lshl_b64 s[2:3], s[2:3], 4
	s_delay_alu instid0(SALU_CYCLE_1)
	s_add_nc_u64 s[0:1], s[0:1], s[2:3]
	s_clause 0x1
	global_load_b64 v[2:3], v1, s[0:1]
	global_load_u8 v4, v1, s[0:1] offset:8
	s_wait_loadcnt 0x1
	global_store_b64 v1, v[2:3], s[8:9]
	s_wait_loadcnt 0x0
	global_store_b8 v1, v4, s[8:9] offset:8
.LBB104_8:
	s_wait_xcnt 0x0
	s_or_b32 exec_lo, exec_lo, s16
.LBB104_9:
	s_delay_alu instid0(SALU_CYCLE_1) | instskip(NEXT) | instid1(VALU_DEP_1)
	s_mov_b32 s0, exec_lo
	v_cmpx_eq_u32_e32 0, v0
	s_cbranch_execz .LBB104_11
; %bb.10:
	v_mov_b32_e32 v1, 0
	global_store_b32 v1, v1, s[10:11]
.LBB104_11:
	s_wait_xcnt 0x0
	s_or_b32 exec_lo, exec_lo, s0
	s_delay_alu instid0(SALU_CYCLE_1)
	s_mov_b32 s0, exec_lo
	v_cmpx_gt_u32_e64 s6, v0
	s_cbranch_execz .LBB104_13
; %bb.12:
	v_dual_mov_b32 v2, 0 :: v_dual_add_nc_u32 v1, 32, v0
	global_store_b8 v1, v2, s[4:5]
.LBB104_13:
	s_wait_xcnt 0x0
	s_or_b32 exec_lo, exec_lo, s0
	s_delay_alu instid0(SALU_CYCLE_1)
	s_mov_b32 s0, exec_lo
	v_cmpx_gt_u32_e32 32, v0
	s_cbranch_execz .LBB104_15
; %bb.14:
	v_mov_b32_e32 v1, 0xff
	global_store_b8 v0, v1, s[4:5]
.LBB104_15:
	s_endpgm
	.section	.rodata,"a",@progbits
	.p2align	6, 0x0
	.amdhsa_kernel _ZN7rocprim17ROCPRIM_400000_NS6detail30init_device_scan_by_key_kernelINS1_19lookback_scan_stateINS0_5tupleIJlbEEELb1ELb0EEENS1_16block_id_wrapperIjLb1EEEEEvT_jjPNS9_10value_typeET0_
		.amdhsa_group_segment_fixed_size 0
		.amdhsa_private_segment_fixed_size 0
		.amdhsa_kernarg_size 304
		.amdhsa_user_sgpr_count 2
		.amdhsa_user_sgpr_dispatch_ptr 0
		.amdhsa_user_sgpr_queue_ptr 0
		.amdhsa_user_sgpr_kernarg_segment_ptr 1
		.amdhsa_user_sgpr_dispatch_id 0
		.amdhsa_user_sgpr_kernarg_preload_length 0
		.amdhsa_user_sgpr_kernarg_preload_offset 0
		.amdhsa_user_sgpr_private_segment_size 0
		.amdhsa_wavefront_size32 1
		.amdhsa_uses_dynamic_stack 0
		.amdhsa_enable_private_segment 0
		.amdhsa_system_sgpr_workgroup_id_x 1
		.amdhsa_system_sgpr_workgroup_id_y 0
		.amdhsa_system_sgpr_workgroup_id_z 0
		.amdhsa_system_sgpr_workgroup_info 0
		.amdhsa_system_vgpr_workitem_id 0
		.amdhsa_next_free_vgpr 5
		.amdhsa_next_free_sgpr 18
		.amdhsa_named_barrier_count 0
		.amdhsa_reserve_vcc 1
		.amdhsa_float_round_mode_32 0
		.amdhsa_float_round_mode_16_64 0
		.amdhsa_float_denorm_mode_32 3
		.amdhsa_float_denorm_mode_16_64 3
		.amdhsa_fp16_overflow 0
		.amdhsa_memory_ordered 1
		.amdhsa_forward_progress 1
		.amdhsa_inst_pref_size 5
		.amdhsa_round_robin_scheduling 0
		.amdhsa_exception_fp_ieee_invalid_op 0
		.amdhsa_exception_fp_denorm_src 0
		.amdhsa_exception_fp_ieee_div_zero 0
		.amdhsa_exception_fp_ieee_overflow 0
		.amdhsa_exception_fp_ieee_underflow 0
		.amdhsa_exception_fp_ieee_inexact 0
		.amdhsa_exception_int_div_zero 0
	.end_amdhsa_kernel
	.section	.text._ZN7rocprim17ROCPRIM_400000_NS6detail30init_device_scan_by_key_kernelINS1_19lookback_scan_stateINS0_5tupleIJlbEEELb1ELb0EEENS1_16block_id_wrapperIjLb1EEEEEvT_jjPNS9_10value_typeET0_,"axG",@progbits,_ZN7rocprim17ROCPRIM_400000_NS6detail30init_device_scan_by_key_kernelINS1_19lookback_scan_stateINS0_5tupleIJlbEEELb1ELb0EEENS1_16block_id_wrapperIjLb1EEEEEvT_jjPNS9_10value_typeET0_,comdat
.Lfunc_end104:
	.size	_ZN7rocprim17ROCPRIM_400000_NS6detail30init_device_scan_by_key_kernelINS1_19lookback_scan_stateINS0_5tupleIJlbEEELb1ELb0EEENS1_16block_id_wrapperIjLb1EEEEEvT_jjPNS9_10value_typeET0_, .Lfunc_end104-_ZN7rocprim17ROCPRIM_400000_NS6detail30init_device_scan_by_key_kernelINS1_19lookback_scan_stateINS0_5tupleIJlbEEELb1ELb0EEENS1_16block_id_wrapperIjLb1EEEEEvT_jjPNS9_10value_typeET0_
                                        ; -- End function
	.set _ZN7rocprim17ROCPRIM_400000_NS6detail30init_device_scan_by_key_kernelINS1_19lookback_scan_stateINS0_5tupleIJlbEEELb1ELb0EEENS1_16block_id_wrapperIjLb1EEEEEvT_jjPNS9_10value_typeET0_.num_vgpr, 5
	.set _ZN7rocprim17ROCPRIM_400000_NS6detail30init_device_scan_by_key_kernelINS1_19lookback_scan_stateINS0_5tupleIJlbEEELb1ELb0EEENS1_16block_id_wrapperIjLb1EEEEEvT_jjPNS9_10value_typeET0_.num_agpr, 0
	.set _ZN7rocprim17ROCPRIM_400000_NS6detail30init_device_scan_by_key_kernelINS1_19lookback_scan_stateINS0_5tupleIJlbEEELb1ELb0EEENS1_16block_id_wrapperIjLb1EEEEEvT_jjPNS9_10value_typeET0_.numbered_sgpr, 18
	.set _ZN7rocprim17ROCPRIM_400000_NS6detail30init_device_scan_by_key_kernelINS1_19lookback_scan_stateINS0_5tupleIJlbEEELb1ELb0EEENS1_16block_id_wrapperIjLb1EEEEEvT_jjPNS9_10value_typeET0_.num_named_barrier, 0
	.set _ZN7rocprim17ROCPRIM_400000_NS6detail30init_device_scan_by_key_kernelINS1_19lookback_scan_stateINS0_5tupleIJlbEEELb1ELb0EEENS1_16block_id_wrapperIjLb1EEEEEvT_jjPNS9_10value_typeET0_.private_seg_size, 0
	.set _ZN7rocprim17ROCPRIM_400000_NS6detail30init_device_scan_by_key_kernelINS1_19lookback_scan_stateINS0_5tupleIJlbEEELb1ELb0EEENS1_16block_id_wrapperIjLb1EEEEEvT_jjPNS9_10value_typeET0_.uses_vcc, 1
	.set _ZN7rocprim17ROCPRIM_400000_NS6detail30init_device_scan_by_key_kernelINS1_19lookback_scan_stateINS0_5tupleIJlbEEELb1ELb0EEENS1_16block_id_wrapperIjLb1EEEEEvT_jjPNS9_10value_typeET0_.uses_flat_scratch, 0
	.set _ZN7rocprim17ROCPRIM_400000_NS6detail30init_device_scan_by_key_kernelINS1_19lookback_scan_stateINS0_5tupleIJlbEEELb1ELb0EEENS1_16block_id_wrapperIjLb1EEEEEvT_jjPNS9_10value_typeET0_.has_dyn_sized_stack, 0
	.set _ZN7rocprim17ROCPRIM_400000_NS6detail30init_device_scan_by_key_kernelINS1_19lookback_scan_stateINS0_5tupleIJlbEEELb1ELb0EEENS1_16block_id_wrapperIjLb1EEEEEvT_jjPNS9_10value_typeET0_.has_recursion, 0
	.set _ZN7rocprim17ROCPRIM_400000_NS6detail30init_device_scan_by_key_kernelINS1_19lookback_scan_stateINS0_5tupleIJlbEEELb1ELb0EEENS1_16block_id_wrapperIjLb1EEEEEvT_jjPNS9_10value_typeET0_.has_indirect_call, 0
	.section	.AMDGPU.csdata,"",@progbits
; Kernel info:
; codeLenInByte = 536
; TotalNumSgprs: 20
; NumVgprs: 5
; ScratchSize: 0
; MemoryBound: 0
; FloatMode: 240
; IeeeMode: 1
; LDSByteSize: 0 bytes/workgroup (compile time only)
; SGPRBlocks: 0
; VGPRBlocks: 0
; NumSGPRsForWavesPerEU: 20
; NumVGPRsForWavesPerEU: 5
; NamedBarCnt: 0
; Occupancy: 16
; WaveLimiterHint : 0
; COMPUTE_PGM_RSRC2:SCRATCH_EN: 0
; COMPUTE_PGM_RSRC2:USER_SGPR: 2
; COMPUTE_PGM_RSRC2:TRAP_HANDLER: 0
; COMPUTE_PGM_RSRC2:TGID_X_EN: 1
; COMPUTE_PGM_RSRC2:TGID_Y_EN: 0
; COMPUTE_PGM_RSRC2:TGID_Z_EN: 0
; COMPUTE_PGM_RSRC2:TIDIG_COMP_CNT: 0
	.section	.text._ZN7rocprim17ROCPRIM_400000_NS6detail17trampoline_kernelINS0_14default_configENS1_27scan_by_key_config_selectorIllEEZZNS1_16scan_by_key_implILNS1_25lookback_scan_determinismE0ELb0ES3_PKlN6hipcub16HIPCUB_304000_NS21ConstantInputIteratorIllEEPllNSB_3SumENSB_8EqualityElEE10hipError_tPvRmT2_T3_T4_T5_mT6_T7_P12ihipStream_tbENKUlT_T0_E_clISt17integral_constantIbLb1EESX_EEDaSS_ST_EUlSS_E_NS1_11comp_targetILNS1_3genE0ELNS1_11target_archE4294967295ELNS1_3gpuE0ELNS1_3repE0EEENS1_30default_config_static_selectorELNS0_4arch9wavefront6targetE0EEEvT1_,"axG",@progbits,_ZN7rocprim17ROCPRIM_400000_NS6detail17trampoline_kernelINS0_14default_configENS1_27scan_by_key_config_selectorIllEEZZNS1_16scan_by_key_implILNS1_25lookback_scan_determinismE0ELb0ES3_PKlN6hipcub16HIPCUB_304000_NS21ConstantInputIteratorIllEEPllNSB_3SumENSB_8EqualityElEE10hipError_tPvRmT2_T3_T4_T5_mT6_T7_P12ihipStream_tbENKUlT_T0_E_clISt17integral_constantIbLb1EESX_EEDaSS_ST_EUlSS_E_NS1_11comp_targetILNS1_3genE0ELNS1_11target_archE4294967295ELNS1_3gpuE0ELNS1_3repE0EEENS1_30default_config_static_selectorELNS0_4arch9wavefront6targetE0EEEvT1_,comdat
	.protected	_ZN7rocprim17ROCPRIM_400000_NS6detail17trampoline_kernelINS0_14default_configENS1_27scan_by_key_config_selectorIllEEZZNS1_16scan_by_key_implILNS1_25lookback_scan_determinismE0ELb0ES3_PKlN6hipcub16HIPCUB_304000_NS21ConstantInputIteratorIllEEPllNSB_3SumENSB_8EqualityElEE10hipError_tPvRmT2_T3_T4_T5_mT6_T7_P12ihipStream_tbENKUlT_T0_E_clISt17integral_constantIbLb1EESX_EEDaSS_ST_EUlSS_E_NS1_11comp_targetILNS1_3genE0ELNS1_11target_archE4294967295ELNS1_3gpuE0ELNS1_3repE0EEENS1_30default_config_static_selectorELNS0_4arch9wavefront6targetE0EEEvT1_ ; -- Begin function _ZN7rocprim17ROCPRIM_400000_NS6detail17trampoline_kernelINS0_14default_configENS1_27scan_by_key_config_selectorIllEEZZNS1_16scan_by_key_implILNS1_25lookback_scan_determinismE0ELb0ES3_PKlN6hipcub16HIPCUB_304000_NS21ConstantInputIteratorIllEEPllNSB_3SumENSB_8EqualityElEE10hipError_tPvRmT2_T3_T4_T5_mT6_T7_P12ihipStream_tbENKUlT_T0_E_clISt17integral_constantIbLb1EESX_EEDaSS_ST_EUlSS_E_NS1_11comp_targetILNS1_3genE0ELNS1_11target_archE4294967295ELNS1_3gpuE0ELNS1_3repE0EEENS1_30default_config_static_selectorELNS0_4arch9wavefront6targetE0EEEvT1_
	.globl	_ZN7rocprim17ROCPRIM_400000_NS6detail17trampoline_kernelINS0_14default_configENS1_27scan_by_key_config_selectorIllEEZZNS1_16scan_by_key_implILNS1_25lookback_scan_determinismE0ELb0ES3_PKlN6hipcub16HIPCUB_304000_NS21ConstantInputIteratorIllEEPllNSB_3SumENSB_8EqualityElEE10hipError_tPvRmT2_T3_T4_T5_mT6_T7_P12ihipStream_tbENKUlT_T0_E_clISt17integral_constantIbLb1EESX_EEDaSS_ST_EUlSS_E_NS1_11comp_targetILNS1_3genE0ELNS1_11target_archE4294967295ELNS1_3gpuE0ELNS1_3repE0EEENS1_30default_config_static_selectorELNS0_4arch9wavefront6targetE0EEEvT1_
	.p2align	8
	.type	_ZN7rocprim17ROCPRIM_400000_NS6detail17trampoline_kernelINS0_14default_configENS1_27scan_by_key_config_selectorIllEEZZNS1_16scan_by_key_implILNS1_25lookback_scan_determinismE0ELb0ES3_PKlN6hipcub16HIPCUB_304000_NS21ConstantInputIteratorIllEEPllNSB_3SumENSB_8EqualityElEE10hipError_tPvRmT2_T3_T4_T5_mT6_T7_P12ihipStream_tbENKUlT_T0_E_clISt17integral_constantIbLb1EESX_EEDaSS_ST_EUlSS_E_NS1_11comp_targetILNS1_3genE0ELNS1_11target_archE4294967295ELNS1_3gpuE0ELNS1_3repE0EEENS1_30default_config_static_selectorELNS0_4arch9wavefront6targetE0EEEvT1_,@function
_ZN7rocprim17ROCPRIM_400000_NS6detail17trampoline_kernelINS0_14default_configENS1_27scan_by_key_config_selectorIllEEZZNS1_16scan_by_key_implILNS1_25lookback_scan_determinismE0ELb0ES3_PKlN6hipcub16HIPCUB_304000_NS21ConstantInputIteratorIllEEPllNSB_3SumENSB_8EqualityElEE10hipError_tPvRmT2_T3_T4_T5_mT6_T7_P12ihipStream_tbENKUlT_T0_E_clISt17integral_constantIbLb1EESX_EEDaSS_ST_EUlSS_E_NS1_11comp_targetILNS1_3genE0ELNS1_11target_archE4294967295ELNS1_3gpuE0ELNS1_3repE0EEENS1_30default_config_static_selectorELNS0_4arch9wavefront6targetE0EEEvT1_: ; @_ZN7rocprim17ROCPRIM_400000_NS6detail17trampoline_kernelINS0_14default_configENS1_27scan_by_key_config_selectorIllEEZZNS1_16scan_by_key_implILNS1_25lookback_scan_determinismE0ELb0ES3_PKlN6hipcub16HIPCUB_304000_NS21ConstantInputIteratorIllEEPllNSB_3SumENSB_8EqualityElEE10hipError_tPvRmT2_T3_T4_T5_mT6_T7_P12ihipStream_tbENKUlT_T0_E_clISt17integral_constantIbLb1EESX_EEDaSS_ST_EUlSS_E_NS1_11comp_targetILNS1_3genE0ELNS1_11target_archE4294967295ELNS1_3gpuE0ELNS1_3repE0EEENS1_30default_config_static_selectorELNS0_4arch9wavefront6targetE0EEEvT1_
; %bb.0:
	s_endpgm
	.section	.rodata,"a",@progbits
	.p2align	6, 0x0
	.amdhsa_kernel _ZN7rocprim17ROCPRIM_400000_NS6detail17trampoline_kernelINS0_14default_configENS1_27scan_by_key_config_selectorIllEEZZNS1_16scan_by_key_implILNS1_25lookback_scan_determinismE0ELb0ES3_PKlN6hipcub16HIPCUB_304000_NS21ConstantInputIteratorIllEEPllNSB_3SumENSB_8EqualityElEE10hipError_tPvRmT2_T3_T4_T5_mT6_T7_P12ihipStream_tbENKUlT_T0_E_clISt17integral_constantIbLb1EESX_EEDaSS_ST_EUlSS_E_NS1_11comp_targetILNS1_3genE0ELNS1_11target_archE4294967295ELNS1_3gpuE0ELNS1_3repE0EEENS1_30default_config_static_selectorELNS0_4arch9wavefront6targetE0EEEvT1_
		.amdhsa_group_segment_fixed_size 0
		.amdhsa_private_segment_fixed_size 0
		.amdhsa_kernarg_size 144
		.amdhsa_user_sgpr_count 2
		.amdhsa_user_sgpr_dispatch_ptr 0
		.amdhsa_user_sgpr_queue_ptr 0
		.amdhsa_user_sgpr_kernarg_segment_ptr 1
		.amdhsa_user_sgpr_dispatch_id 0
		.amdhsa_user_sgpr_kernarg_preload_length 0
		.amdhsa_user_sgpr_kernarg_preload_offset 0
		.amdhsa_user_sgpr_private_segment_size 0
		.amdhsa_wavefront_size32 1
		.amdhsa_uses_dynamic_stack 0
		.amdhsa_enable_private_segment 0
		.amdhsa_system_sgpr_workgroup_id_x 1
		.amdhsa_system_sgpr_workgroup_id_y 0
		.amdhsa_system_sgpr_workgroup_id_z 0
		.amdhsa_system_sgpr_workgroup_info 0
		.amdhsa_system_vgpr_workitem_id 0
		.amdhsa_next_free_vgpr 1
		.amdhsa_next_free_sgpr 1
		.amdhsa_named_barrier_count 0
		.amdhsa_reserve_vcc 0
		.amdhsa_float_round_mode_32 0
		.amdhsa_float_round_mode_16_64 0
		.amdhsa_float_denorm_mode_32 3
		.amdhsa_float_denorm_mode_16_64 3
		.amdhsa_fp16_overflow 0
		.amdhsa_memory_ordered 1
		.amdhsa_forward_progress 1
		.amdhsa_inst_pref_size 1
		.amdhsa_round_robin_scheduling 0
		.amdhsa_exception_fp_ieee_invalid_op 0
		.amdhsa_exception_fp_denorm_src 0
		.amdhsa_exception_fp_ieee_div_zero 0
		.amdhsa_exception_fp_ieee_overflow 0
		.amdhsa_exception_fp_ieee_underflow 0
		.amdhsa_exception_fp_ieee_inexact 0
		.amdhsa_exception_int_div_zero 0
	.end_amdhsa_kernel
	.section	.text._ZN7rocprim17ROCPRIM_400000_NS6detail17trampoline_kernelINS0_14default_configENS1_27scan_by_key_config_selectorIllEEZZNS1_16scan_by_key_implILNS1_25lookback_scan_determinismE0ELb0ES3_PKlN6hipcub16HIPCUB_304000_NS21ConstantInputIteratorIllEEPllNSB_3SumENSB_8EqualityElEE10hipError_tPvRmT2_T3_T4_T5_mT6_T7_P12ihipStream_tbENKUlT_T0_E_clISt17integral_constantIbLb1EESX_EEDaSS_ST_EUlSS_E_NS1_11comp_targetILNS1_3genE0ELNS1_11target_archE4294967295ELNS1_3gpuE0ELNS1_3repE0EEENS1_30default_config_static_selectorELNS0_4arch9wavefront6targetE0EEEvT1_,"axG",@progbits,_ZN7rocprim17ROCPRIM_400000_NS6detail17trampoline_kernelINS0_14default_configENS1_27scan_by_key_config_selectorIllEEZZNS1_16scan_by_key_implILNS1_25lookback_scan_determinismE0ELb0ES3_PKlN6hipcub16HIPCUB_304000_NS21ConstantInputIteratorIllEEPllNSB_3SumENSB_8EqualityElEE10hipError_tPvRmT2_T3_T4_T5_mT6_T7_P12ihipStream_tbENKUlT_T0_E_clISt17integral_constantIbLb1EESX_EEDaSS_ST_EUlSS_E_NS1_11comp_targetILNS1_3genE0ELNS1_11target_archE4294967295ELNS1_3gpuE0ELNS1_3repE0EEENS1_30default_config_static_selectorELNS0_4arch9wavefront6targetE0EEEvT1_,comdat
.Lfunc_end105:
	.size	_ZN7rocprim17ROCPRIM_400000_NS6detail17trampoline_kernelINS0_14default_configENS1_27scan_by_key_config_selectorIllEEZZNS1_16scan_by_key_implILNS1_25lookback_scan_determinismE0ELb0ES3_PKlN6hipcub16HIPCUB_304000_NS21ConstantInputIteratorIllEEPllNSB_3SumENSB_8EqualityElEE10hipError_tPvRmT2_T3_T4_T5_mT6_T7_P12ihipStream_tbENKUlT_T0_E_clISt17integral_constantIbLb1EESX_EEDaSS_ST_EUlSS_E_NS1_11comp_targetILNS1_3genE0ELNS1_11target_archE4294967295ELNS1_3gpuE0ELNS1_3repE0EEENS1_30default_config_static_selectorELNS0_4arch9wavefront6targetE0EEEvT1_, .Lfunc_end105-_ZN7rocprim17ROCPRIM_400000_NS6detail17trampoline_kernelINS0_14default_configENS1_27scan_by_key_config_selectorIllEEZZNS1_16scan_by_key_implILNS1_25lookback_scan_determinismE0ELb0ES3_PKlN6hipcub16HIPCUB_304000_NS21ConstantInputIteratorIllEEPllNSB_3SumENSB_8EqualityElEE10hipError_tPvRmT2_T3_T4_T5_mT6_T7_P12ihipStream_tbENKUlT_T0_E_clISt17integral_constantIbLb1EESX_EEDaSS_ST_EUlSS_E_NS1_11comp_targetILNS1_3genE0ELNS1_11target_archE4294967295ELNS1_3gpuE0ELNS1_3repE0EEENS1_30default_config_static_selectorELNS0_4arch9wavefront6targetE0EEEvT1_
                                        ; -- End function
	.set _ZN7rocprim17ROCPRIM_400000_NS6detail17trampoline_kernelINS0_14default_configENS1_27scan_by_key_config_selectorIllEEZZNS1_16scan_by_key_implILNS1_25lookback_scan_determinismE0ELb0ES3_PKlN6hipcub16HIPCUB_304000_NS21ConstantInputIteratorIllEEPllNSB_3SumENSB_8EqualityElEE10hipError_tPvRmT2_T3_T4_T5_mT6_T7_P12ihipStream_tbENKUlT_T0_E_clISt17integral_constantIbLb1EESX_EEDaSS_ST_EUlSS_E_NS1_11comp_targetILNS1_3genE0ELNS1_11target_archE4294967295ELNS1_3gpuE0ELNS1_3repE0EEENS1_30default_config_static_selectorELNS0_4arch9wavefront6targetE0EEEvT1_.num_vgpr, 0
	.set _ZN7rocprim17ROCPRIM_400000_NS6detail17trampoline_kernelINS0_14default_configENS1_27scan_by_key_config_selectorIllEEZZNS1_16scan_by_key_implILNS1_25lookback_scan_determinismE0ELb0ES3_PKlN6hipcub16HIPCUB_304000_NS21ConstantInputIteratorIllEEPllNSB_3SumENSB_8EqualityElEE10hipError_tPvRmT2_T3_T4_T5_mT6_T7_P12ihipStream_tbENKUlT_T0_E_clISt17integral_constantIbLb1EESX_EEDaSS_ST_EUlSS_E_NS1_11comp_targetILNS1_3genE0ELNS1_11target_archE4294967295ELNS1_3gpuE0ELNS1_3repE0EEENS1_30default_config_static_selectorELNS0_4arch9wavefront6targetE0EEEvT1_.num_agpr, 0
	.set _ZN7rocprim17ROCPRIM_400000_NS6detail17trampoline_kernelINS0_14default_configENS1_27scan_by_key_config_selectorIllEEZZNS1_16scan_by_key_implILNS1_25lookback_scan_determinismE0ELb0ES3_PKlN6hipcub16HIPCUB_304000_NS21ConstantInputIteratorIllEEPllNSB_3SumENSB_8EqualityElEE10hipError_tPvRmT2_T3_T4_T5_mT6_T7_P12ihipStream_tbENKUlT_T0_E_clISt17integral_constantIbLb1EESX_EEDaSS_ST_EUlSS_E_NS1_11comp_targetILNS1_3genE0ELNS1_11target_archE4294967295ELNS1_3gpuE0ELNS1_3repE0EEENS1_30default_config_static_selectorELNS0_4arch9wavefront6targetE0EEEvT1_.numbered_sgpr, 0
	.set _ZN7rocprim17ROCPRIM_400000_NS6detail17trampoline_kernelINS0_14default_configENS1_27scan_by_key_config_selectorIllEEZZNS1_16scan_by_key_implILNS1_25lookback_scan_determinismE0ELb0ES3_PKlN6hipcub16HIPCUB_304000_NS21ConstantInputIteratorIllEEPllNSB_3SumENSB_8EqualityElEE10hipError_tPvRmT2_T3_T4_T5_mT6_T7_P12ihipStream_tbENKUlT_T0_E_clISt17integral_constantIbLb1EESX_EEDaSS_ST_EUlSS_E_NS1_11comp_targetILNS1_3genE0ELNS1_11target_archE4294967295ELNS1_3gpuE0ELNS1_3repE0EEENS1_30default_config_static_selectorELNS0_4arch9wavefront6targetE0EEEvT1_.num_named_barrier, 0
	.set _ZN7rocprim17ROCPRIM_400000_NS6detail17trampoline_kernelINS0_14default_configENS1_27scan_by_key_config_selectorIllEEZZNS1_16scan_by_key_implILNS1_25lookback_scan_determinismE0ELb0ES3_PKlN6hipcub16HIPCUB_304000_NS21ConstantInputIteratorIllEEPllNSB_3SumENSB_8EqualityElEE10hipError_tPvRmT2_T3_T4_T5_mT6_T7_P12ihipStream_tbENKUlT_T0_E_clISt17integral_constantIbLb1EESX_EEDaSS_ST_EUlSS_E_NS1_11comp_targetILNS1_3genE0ELNS1_11target_archE4294967295ELNS1_3gpuE0ELNS1_3repE0EEENS1_30default_config_static_selectorELNS0_4arch9wavefront6targetE0EEEvT1_.private_seg_size, 0
	.set _ZN7rocprim17ROCPRIM_400000_NS6detail17trampoline_kernelINS0_14default_configENS1_27scan_by_key_config_selectorIllEEZZNS1_16scan_by_key_implILNS1_25lookback_scan_determinismE0ELb0ES3_PKlN6hipcub16HIPCUB_304000_NS21ConstantInputIteratorIllEEPllNSB_3SumENSB_8EqualityElEE10hipError_tPvRmT2_T3_T4_T5_mT6_T7_P12ihipStream_tbENKUlT_T0_E_clISt17integral_constantIbLb1EESX_EEDaSS_ST_EUlSS_E_NS1_11comp_targetILNS1_3genE0ELNS1_11target_archE4294967295ELNS1_3gpuE0ELNS1_3repE0EEENS1_30default_config_static_selectorELNS0_4arch9wavefront6targetE0EEEvT1_.uses_vcc, 0
	.set _ZN7rocprim17ROCPRIM_400000_NS6detail17trampoline_kernelINS0_14default_configENS1_27scan_by_key_config_selectorIllEEZZNS1_16scan_by_key_implILNS1_25lookback_scan_determinismE0ELb0ES3_PKlN6hipcub16HIPCUB_304000_NS21ConstantInputIteratorIllEEPllNSB_3SumENSB_8EqualityElEE10hipError_tPvRmT2_T3_T4_T5_mT6_T7_P12ihipStream_tbENKUlT_T0_E_clISt17integral_constantIbLb1EESX_EEDaSS_ST_EUlSS_E_NS1_11comp_targetILNS1_3genE0ELNS1_11target_archE4294967295ELNS1_3gpuE0ELNS1_3repE0EEENS1_30default_config_static_selectorELNS0_4arch9wavefront6targetE0EEEvT1_.uses_flat_scratch, 0
	.set _ZN7rocprim17ROCPRIM_400000_NS6detail17trampoline_kernelINS0_14default_configENS1_27scan_by_key_config_selectorIllEEZZNS1_16scan_by_key_implILNS1_25lookback_scan_determinismE0ELb0ES3_PKlN6hipcub16HIPCUB_304000_NS21ConstantInputIteratorIllEEPllNSB_3SumENSB_8EqualityElEE10hipError_tPvRmT2_T3_T4_T5_mT6_T7_P12ihipStream_tbENKUlT_T0_E_clISt17integral_constantIbLb1EESX_EEDaSS_ST_EUlSS_E_NS1_11comp_targetILNS1_3genE0ELNS1_11target_archE4294967295ELNS1_3gpuE0ELNS1_3repE0EEENS1_30default_config_static_selectorELNS0_4arch9wavefront6targetE0EEEvT1_.has_dyn_sized_stack, 0
	.set _ZN7rocprim17ROCPRIM_400000_NS6detail17trampoline_kernelINS0_14default_configENS1_27scan_by_key_config_selectorIllEEZZNS1_16scan_by_key_implILNS1_25lookback_scan_determinismE0ELb0ES3_PKlN6hipcub16HIPCUB_304000_NS21ConstantInputIteratorIllEEPllNSB_3SumENSB_8EqualityElEE10hipError_tPvRmT2_T3_T4_T5_mT6_T7_P12ihipStream_tbENKUlT_T0_E_clISt17integral_constantIbLb1EESX_EEDaSS_ST_EUlSS_E_NS1_11comp_targetILNS1_3genE0ELNS1_11target_archE4294967295ELNS1_3gpuE0ELNS1_3repE0EEENS1_30default_config_static_selectorELNS0_4arch9wavefront6targetE0EEEvT1_.has_recursion, 0
	.set _ZN7rocprim17ROCPRIM_400000_NS6detail17trampoline_kernelINS0_14default_configENS1_27scan_by_key_config_selectorIllEEZZNS1_16scan_by_key_implILNS1_25lookback_scan_determinismE0ELb0ES3_PKlN6hipcub16HIPCUB_304000_NS21ConstantInputIteratorIllEEPllNSB_3SumENSB_8EqualityElEE10hipError_tPvRmT2_T3_T4_T5_mT6_T7_P12ihipStream_tbENKUlT_T0_E_clISt17integral_constantIbLb1EESX_EEDaSS_ST_EUlSS_E_NS1_11comp_targetILNS1_3genE0ELNS1_11target_archE4294967295ELNS1_3gpuE0ELNS1_3repE0EEENS1_30default_config_static_selectorELNS0_4arch9wavefront6targetE0EEEvT1_.has_indirect_call, 0
	.section	.AMDGPU.csdata,"",@progbits
; Kernel info:
; codeLenInByte = 4
; TotalNumSgprs: 0
; NumVgprs: 0
; ScratchSize: 0
; MemoryBound: 0
; FloatMode: 240
; IeeeMode: 1
; LDSByteSize: 0 bytes/workgroup (compile time only)
; SGPRBlocks: 0
; VGPRBlocks: 0
; NumSGPRsForWavesPerEU: 1
; NumVGPRsForWavesPerEU: 1
; NamedBarCnt: 0
; Occupancy: 16
; WaveLimiterHint : 0
; COMPUTE_PGM_RSRC2:SCRATCH_EN: 0
; COMPUTE_PGM_RSRC2:USER_SGPR: 2
; COMPUTE_PGM_RSRC2:TRAP_HANDLER: 0
; COMPUTE_PGM_RSRC2:TGID_X_EN: 1
; COMPUTE_PGM_RSRC2:TGID_Y_EN: 0
; COMPUTE_PGM_RSRC2:TGID_Z_EN: 0
; COMPUTE_PGM_RSRC2:TIDIG_COMP_CNT: 0
	.section	.text._ZN7rocprim17ROCPRIM_400000_NS6detail17trampoline_kernelINS0_14default_configENS1_27scan_by_key_config_selectorIllEEZZNS1_16scan_by_key_implILNS1_25lookback_scan_determinismE0ELb0ES3_PKlN6hipcub16HIPCUB_304000_NS21ConstantInputIteratorIllEEPllNSB_3SumENSB_8EqualityElEE10hipError_tPvRmT2_T3_T4_T5_mT6_T7_P12ihipStream_tbENKUlT_T0_E_clISt17integral_constantIbLb1EESX_EEDaSS_ST_EUlSS_E_NS1_11comp_targetILNS1_3genE10ELNS1_11target_archE1201ELNS1_3gpuE5ELNS1_3repE0EEENS1_30default_config_static_selectorELNS0_4arch9wavefront6targetE0EEEvT1_,"axG",@progbits,_ZN7rocprim17ROCPRIM_400000_NS6detail17trampoline_kernelINS0_14default_configENS1_27scan_by_key_config_selectorIllEEZZNS1_16scan_by_key_implILNS1_25lookback_scan_determinismE0ELb0ES3_PKlN6hipcub16HIPCUB_304000_NS21ConstantInputIteratorIllEEPllNSB_3SumENSB_8EqualityElEE10hipError_tPvRmT2_T3_T4_T5_mT6_T7_P12ihipStream_tbENKUlT_T0_E_clISt17integral_constantIbLb1EESX_EEDaSS_ST_EUlSS_E_NS1_11comp_targetILNS1_3genE10ELNS1_11target_archE1201ELNS1_3gpuE5ELNS1_3repE0EEENS1_30default_config_static_selectorELNS0_4arch9wavefront6targetE0EEEvT1_,comdat
	.protected	_ZN7rocprim17ROCPRIM_400000_NS6detail17trampoline_kernelINS0_14default_configENS1_27scan_by_key_config_selectorIllEEZZNS1_16scan_by_key_implILNS1_25lookback_scan_determinismE0ELb0ES3_PKlN6hipcub16HIPCUB_304000_NS21ConstantInputIteratorIllEEPllNSB_3SumENSB_8EqualityElEE10hipError_tPvRmT2_T3_T4_T5_mT6_T7_P12ihipStream_tbENKUlT_T0_E_clISt17integral_constantIbLb1EESX_EEDaSS_ST_EUlSS_E_NS1_11comp_targetILNS1_3genE10ELNS1_11target_archE1201ELNS1_3gpuE5ELNS1_3repE0EEENS1_30default_config_static_selectorELNS0_4arch9wavefront6targetE0EEEvT1_ ; -- Begin function _ZN7rocprim17ROCPRIM_400000_NS6detail17trampoline_kernelINS0_14default_configENS1_27scan_by_key_config_selectorIllEEZZNS1_16scan_by_key_implILNS1_25lookback_scan_determinismE0ELb0ES3_PKlN6hipcub16HIPCUB_304000_NS21ConstantInputIteratorIllEEPllNSB_3SumENSB_8EqualityElEE10hipError_tPvRmT2_T3_T4_T5_mT6_T7_P12ihipStream_tbENKUlT_T0_E_clISt17integral_constantIbLb1EESX_EEDaSS_ST_EUlSS_E_NS1_11comp_targetILNS1_3genE10ELNS1_11target_archE1201ELNS1_3gpuE5ELNS1_3repE0EEENS1_30default_config_static_selectorELNS0_4arch9wavefront6targetE0EEEvT1_
	.globl	_ZN7rocprim17ROCPRIM_400000_NS6detail17trampoline_kernelINS0_14default_configENS1_27scan_by_key_config_selectorIllEEZZNS1_16scan_by_key_implILNS1_25lookback_scan_determinismE0ELb0ES3_PKlN6hipcub16HIPCUB_304000_NS21ConstantInputIteratorIllEEPllNSB_3SumENSB_8EqualityElEE10hipError_tPvRmT2_T3_T4_T5_mT6_T7_P12ihipStream_tbENKUlT_T0_E_clISt17integral_constantIbLb1EESX_EEDaSS_ST_EUlSS_E_NS1_11comp_targetILNS1_3genE10ELNS1_11target_archE1201ELNS1_3gpuE5ELNS1_3repE0EEENS1_30default_config_static_selectorELNS0_4arch9wavefront6targetE0EEEvT1_
	.p2align	8
	.type	_ZN7rocprim17ROCPRIM_400000_NS6detail17trampoline_kernelINS0_14default_configENS1_27scan_by_key_config_selectorIllEEZZNS1_16scan_by_key_implILNS1_25lookback_scan_determinismE0ELb0ES3_PKlN6hipcub16HIPCUB_304000_NS21ConstantInputIteratorIllEEPllNSB_3SumENSB_8EqualityElEE10hipError_tPvRmT2_T3_T4_T5_mT6_T7_P12ihipStream_tbENKUlT_T0_E_clISt17integral_constantIbLb1EESX_EEDaSS_ST_EUlSS_E_NS1_11comp_targetILNS1_3genE10ELNS1_11target_archE1201ELNS1_3gpuE5ELNS1_3repE0EEENS1_30default_config_static_selectorELNS0_4arch9wavefront6targetE0EEEvT1_,@function
_ZN7rocprim17ROCPRIM_400000_NS6detail17trampoline_kernelINS0_14default_configENS1_27scan_by_key_config_selectorIllEEZZNS1_16scan_by_key_implILNS1_25lookback_scan_determinismE0ELb0ES3_PKlN6hipcub16HIPCUB_304000_NS21ConstantInputIteratorIllEEPllNSB_3SumENSB_8EqualityElEE10hipError_tPvRmT2_T3_T4_T5_mT6_T7_P12ihipStream_tbENKUlT_T0_E_clISt17integral_constantIbLb1EESX_EEDaSS_ST_EUlSS_E_NS1_11comp_targetILNS1_3genE10ELNS1_11target_archE1201ELNS1_3gpuE5ELNS1_3repE0EEENS1_30default_config_static_selectorELNS0_4arch9wavefront6targetE0EEEvT1_: ; @_ZN7rocprim17ROCPRIM_400000_NS6detail17trampoline_kernelINS0_14default_configENS1_27scan_by_key_config_selectorIllEEZZNS1_16scan_by_key_implILNS1_25lookback_scan_determinismE0ELb0ES3_PKlN6hipcub16HIPCUB_304000_NS21ConstantInputIteratorIllEEPllNSB_3SumENSB_8EqualityElEE10hipError_tPvRmT2_T3_T4_T5_mT6_T7_P12ihipStream_tbENKUlT_T0_E_clISt17integral_constantIbLb1EESX_EEDaSS_ST_EUlSS_E_NS1_11comp_targetILNS1_3genE10ELNS1_11target_archE1201ELNS1_3gpuE5ELNS1_3repE0EEENS1_30default_config_static_selectorELNS0_4arch9wavefront6targetE0EEEvT1_
; %bb.0:
	.section	.rodata,"a",@progbits
	.p2align	6, 0x0
	.amdhsa_kernel _ZN7rocprim17ROCPRIM_400000_NS6detail17trampoline_kernelINS0_14default_configENS1_27scan_by_key_config_selectorIllEEZZNS1_16scan_by_key_implILNS1_25lookback_scan_determinismE0ELb0ES3_PKlN6hipcub16HIPCUB_304000_NS21ConstantInputIteratorIllEEPllNSB_3SumENSB_8EqualityElEE10hipError_tPvRmT2_T3_T4_T5_mT6_T7_P12ihipStream_tbENKUlT_T0_E_clISt17integral_constantIbLb1EESX_EEDaSS_ST_EUlSS_E_NS1_11comp_targetILNS1_3genE10ELNS1_11target_archE1201ELNS1_3gpuE5ELNS1_3repE0EEENS1_30default_config_static_selectorELNS0_4arch9wavefront6targetE0EEEvT1_
		.amdhsa_group_segment_fixed_size 0
		.amdhsa_private_segment_fixed_size 0
		.amdhsa_kernarg_size 144
		.amdhsa_user_sgpr_count 2
		.amdhsa_user_sgpr_dispatch_ptr 0
		.amdhsa_user_sgpr_queue_ptr 0
		.amdhsa_user_sgpr_kernarg_segment_ptr 1
		.amdhsa_user_sgpr_dispatch_id 0
		.amdhsa_user_sgpr_kernarg_preload_length 0
		.amdhsa_user_sgpr_kernarg_preload_offset 0
		.amdhsa_user_sgpr_private_segment_size 0
		.amdhsa_wavefront_size32 1
		.amdhsa_uses_dynamic_stack 0
		.amdhsa_enable_private_segment 0
		.amdhsa_system_sgpr_workgroup_id_x 1
		.amdhsa_system_sgpr_workgroup_id_y 0
		.amdhsa_system_sgpr_workgroup_id_z 0
		.amdhsa_system_sgpr_workgroup_info 0
		.amdhsa_system_vgpr_workitem_id 0
		.amdhsa_next_free_vgpr 1
		.amdhsa_next_free_sgpr 1
		.amdhsa_named_barrier_count 0
		.amdhsa_reserve_vcc 0
		.amdhsa_float_round_mode_32 0
		.amdhsa_float_round_mode_16_64 0
		.amdhsa_float_denorm_mode_32 3
		.amdhsa_float_denorm_mode_16_64 3
		.amdhsa_fp16_overflow 0
		.amdhsa_memory_ordered 1
		.amdhsa_forward_progress 1
		.amdhsa_inst_pref_size 0
		.amdhsa_round_robin_scheduling 0
		.amdhsa_exception_fp_ieee_invalid_op 0
		.amdhsa_exception_fp_denorm_src 0
		.amdhsa_exception_fp_ieee_div_zero 0
		.amdhsa_exception_fp_ieee_overflow 0
		.amdhsa_exception_fp_ieee_underflow 0
		.amdhsa_exception_fp_ieee_inexact 0
		.amdhsa_exception_int_div_zero 0
	.end_amdhsa_kernel
	.section	.text._ZN7rocprim17ROCPRIM_400000_NS6detail17trampoline_kernelINS0_14default_configENS1_27scan_by_key_config_selectorIllEEZZNS1_16scan_by_key_implILNS1_25lookback_scan_determinismE0ELb0ES3_PKlN6hipcub16HIPCUB_304000_NS21ConstantInputIteratorIllEEPllNSB_3SumENSB_8EqualityElEE10hipError_tPvRmT2_T3_T4_T5_mT6_T7_P12ihipStream_tbENKUlT_T0_E_clISt17integral_constantIbLb1EESX_EEDaSS_ST_EUlSS_E_NS1_11comp_targetILNS1_3genE10ELNS1_11target_archE1201ELNS1_3gpuE5ELNS1_3repE0EEENS1_30default_config_static_selectorELNS0_4arch9wavefront6targetE0EEEvT1_,"axG",@progbits,_ZN7rocprim17ROCPRIM_400000_NS6detail17trampoline_kernelINS0_14default_configENS1_27scan_by_key_config_selectorIllEEZZNS1_16scan_by_key_implILNS1_25lookback_scan_determinismE0ELb0ES3_PKlN6hipcub16HIPCUB_304000_NS21ConstantInputIteratorIllEEPllNSB_3SumENSB_8EqualityElEE10hipError_tPvRmT2_T3_T4_T5_mT6_T7_P12ihipStream_tbENKUlT_T0_E_clISt17integral_constantIbLb1EESX_EEDaSS_ST_EUlSS_E_NS1_11comp_targetILNS1_3genE10ELNS1_11target_archE1201ELNS1_3gpuE5ELNS1_3repE0EEENS1_30default_config_static_selectorELNS0_4arch9wavefront6targetE0EEEvT1_,comdat
.Lfunc_end106:
	.size	_ZN7rocprim17ROCPRIM_400000_NS6detail17trampoline_kernelINS0_14default_configENS1_27scan_by_key_config_selectorIllEEZZNS1_16scan_by_key_implILNS1_25lookback_scan_determinismE0ELb0ES3_PKlN6hipcub16HIPCUB_304000_NS21ConstantInputIteratorIllEEPllNSB_3SumENSB_8EqualityElEE10hipError_tPvRmT2_T3_T4_T5_mT6_T7_P12ihipStream_tbENKUlT_T0_E_clISt17integral_constantIbLb1EESX_EEDaSS_ST_EUlSS_E_NS1_11comp_targetILNS1_3genE10ELNS1_11target_archE1201ELNS1_3gpuE5ELNS1_3repE0EEENS1_30default_config_static_selectorELNS0_4arch9wavefront6targetE0EEEvT1_, .Lfunc_end106-_ZN7rocprim17ROCPRIM_400000_NS6detail17trampoline_kernelINS0_14default_configENS1_27scan_by_key_config_selectorIllEEZZNS1_16scan_by_key_implILNS1_25lookback_scan_determinismE0ELb0ES3_PKlN6hipcub16HIPCUB_304000_NS21ConstantInputIteratorIllEEPllNSB_3SumENSB_8EqualityElEE10hipError_tPvRmT2_T3_T4_T5_mT6_T7_P12ihipStream_tbENKUlT_T0_E_clISt17integral_constantIbLb1EESX_EEDaSS_ST_EUlSS_E_NS1_11comp_targetILNS1_3genE10ELNS1_11target_archE1201ELNS1_3gpuE5ELNS1_3repE0EEENS1_30default_config_static_selectorELNS0_4arch9wavefront6targetE0EEEvT1_
                                        ; -- End function
	.set _ZN7rocprim17ROCPRIM_400000_NS6detail17trampoline_kernelINS0_14default_configENS1_27scan_by_key_config_selectorIllEEZZNS1_16scan_by_key_implILNS1_25lookback_scan_determinismE0ELb0ES3_PKlN6hipcub16HIPCUB_304000_NS21ConstantInputIteratorIllEEPllNSB_3SumENSB_8EqualityElEE10hipError_tPvRmT2_T3_T4_T5_mT6_T7_P12ihipStream_tbENKUlT_T0_E_clISt17integral_constantIbLb1EESX_EEDaSS_ST_EUlSS_E_NS1_11comp_targetILNS1_3genE10ELNS1_11target_archE1201ELNS1_3gpuE5ELNS1_3repE0EEENS1_30default_config_static_selectorELNS0_4arch9wavefront6targetE0EEEvT1_.num_vgpr, 0
	.set _ZN7rocprim17ROCPRIM_400000_NS6detail17trampoline_kernelINS0_14default_configENS1_27scan_by_key_config_selectorIllEEZZNS1_16scan_by_key_implILNS1_25lookback_scan_determinismE0ELb0ES3_PKlN6hipcub16HIPCUB_304000_NS21ConstantInputIteratorIllEEPllNSB_3SumENSB_8EqualityElEE10hipError_tPvRmT2_T3_T4_T5_mT6_T7_P12ihipStream_tbENKUlT_T0_E_clISt17integral_constantIbLb1EESX_EEDaSS_ST_EUlSS_E_NS1_11comp_targetILNS1_3genE10ELNS1_11target_archE1201ELNS1_3gpuE5ELNS1_3repE0EEENS1_30default_config_static_selectorELNS0_4arch9wavefront6targetE0EEEvT1_.num_agpr, 0
	.set _ZN7rocprim17ROCPRIM_400000_NS6detail17trampoline_kernelINS0_14default_configENS1_27scan_by_key_config_selectorIllEEZZNS1_16scan_by_key_implILNS1_25lookback_scan_determinismE0ELb0ES3_PKlN6hipcub16HIPCUB_304000_NS21ConstantInputIteratorIllEEPllNSB_3SumENSB_8EqualityElEE10hipError_tPvRmT2_T3_T4_T5_mT6_T7_P12ihipStream_tbENKUlT_T0_E_clISt17integral_constantIbLb1EESX_EEDaSS_ST_EUlSS_E_NS1_11comp_targetILNS1_3genE10ELNS1_11target_archE1201ELNS1_3gpuE5ELNS1_3repE0EEENS1_30default_config_static_selectorELNS0_4arch9wavefront6targetE0EEEvT1_.numbered_sgpr, 0
	.set _ZN7rocprim17ROCPRIM_400000_NS6detail17trampoline_kernelINS0_14default_configENS1_27scan_by_key_config_selectorIllEEZZNS1_16scan_by_key_implILNS1_25lookback_scan_determinismE0ELb0ES3_PKlN6hipcub16HIPCUB_304000_NS21ConstantInputIteratorIllEEPllNSB_3SumENSB_8EqualityElEE10hipError_tPvRmT2_T3_T4_T5_mT6_T7_P12ihipStream_tbENKUlT_T0_E_clISt17integral_constantIbLb1EESX_EEDaSS_ST_EUlSS_E_NS1_11comp_targetILNS1_3genE10ELNS1_11target_archE1201ELNS1_3gpuE5ELNS1_3repE0EEENS1_30default_config_static_selectorELNS0_4arch9wavefront6targetE0EEEvT1_.num_named_barrier, 0
	.set _ZN7rocprim17ROCPRIM_400000_NS6detail17trampoline_kernelINS0_14default_configENS1_27scan_by_key_config_selectorIllEEZZNS1_16scan_by_key_implILNS1_25lookback_scan_determinismE0ELb0ES3_PKlN6hipcub16HIPCUB_304000_NS21ConstantInputIteratorIllEEPllNSB_3SumENSB_8EqualityElEE10hipError_tPvRmT2_T3_T4_T5_mT6_T7_P12ihipStream_tbENKUlT_T0_E_clISt17integral_constantIbLb1EESX_EEDaSS_ST_EUlSS_E_NS1_11comp_targetILNS1_3genE10ELNS1_11target_archE1201ELNS1_3gpuE5ELNS1_3repE0EEENS1_30default_config_static_selectorELNS0_4arch9wavefront6targetE0EEEvT1_.private_seg_size, 0
	.set _ZN7rocprim17ROCPRIM_400000_NS6detail17trampoline_kernelINS0_14default_configENS1_27scan_by_key_config_selectorIllEEZZNS1_16scan_by_key_implILNS1_25lookback_scan_determinismE0ELb0ES3_PKlN6hipcub16HIPCUB_304000_NS21ConstantInputIteratorIllEEPllNSB_3SumENSB_8EqualityElEE10hipError_tPvRmT2_T3_T4_T5_mT6_T7_P12ihipStream_tbENKUlT_T0_E_clISt17integral_constantIbLb1EESX_EEDaSS_ST_EUlSS_E_NS1_11comp_targetILNS1_3genE10ELNS1_11target_archE1201ELNS1_3gpuE5ELNS1_3repE0EEENS1_30default_config_static_selectorELNS0_4arch9wavefront6targetE0EEEvT1_.uses_vcc, 0
	.set _ZN7rocprim17ROCPRIM_400000_NS6detail17trampoline_kernelINS0_14default_configENS1_27scan_by_key_config_selectorIllEEZZNS1_16scan_by_key_implILNS1_25lookback_scan_determinismE0ELb0ES3_PKlN6hipcub16HIPCUB_304000_NS21ConstantInputIteratorIllEEPllNSB_3SumENSB_8EqualityElEE10hipError_tPvRmT2_T3_T4_T5_mT6_T7_P12ihipStream_tbENKUlT_T0_E_clISt17integral_constantIbLb1EESX_EEDaSS_ST_EUlSS_E_NS1_11comp_targetILNS1_3genE10ELNS1_11target_archE1201ELNS1_3gpuE5ELNS1_3repE0EEENS1_30default_config_static_selectorELNS0_4arch9wavefront6targetE0EEEvT1_.uses_flat_scratch, 0
	.set _ZN7rocprim17ROCPRIM_400000_NS6detail17trampoline_kernelINS0_14default_configENS1_27scan_by_key_config_selectorIllEEZZNS1_16scan_by_key_implILNS1_25lookback_scan_determinismE0ELb0ES3_PKlN6hipcub16HIPCUB_304000_NS21ConstantInputIteratorIllEEPllNSB_3SumENSB_8EqualityElEE10hipError_tPvRmT2_T3_T4_T5_mT6_T7_P12ihipStream_tbENKUlT_T0_E_clISt17integral_constantIbLb1EESX_EEDaSS_ST_EUlSS_E_NS1_11comp_targetILNS1_3genE10ELNS1_11target_archE1201ELNS1_3gpuE5ELNS1_3repE0EEENS1_30default_config_static_selectorELNS0_4arch9wavefront6targetE0EEEvT1_.has_dyn_sized_stack, 0
	.set _ZN7rocprim17ROCPRIM_400000_NS6detail17trampoline_kernelINS0_14default_configENS1_27scan_by_key_config_selectorIllEEZZNS1_16scan_by_key_implILNS1_25lookback_scan_determinismE0ELb0ES3_PKlN6hipcub16HIPCUB_304000_NS21ConstantInputIteratorIllEEPllNSB_3SumENSB_8EqualityElEE10hipError_tPvRmT2_T3_T4_T5_mT6_T7_P12ihipStream_tbENKUlT_T0_E_clISt17integral_constantIbLb1EESX_EEDaSS_ST_EUlSS_E_NS1_11comp_targetILNS1_3genE10ELNS1_11target_archE1201ELNS1_3gpuE5ELNS1_3repE0EEENS1_30default_config_static_selectorELNS0_4arch9wavefront6targetE0EEEvT1_.has_recursion, 0
	.set _ZN7rocprim17ROCPRIM_400000_NS6detail17trampoline_kernelINS0_14default_configENS1_27scan_by_key_config_selectorIllEEZZNS1_16scan_by_key_implILNS1_25lookback_scan_determinismE0ELb0ES3_PKlN6hipcub16HIPCUB_304000_NS21ConstantInputIteratorIllEEPllNSB_3SumENSB_8EqualityElEE10hipError_tPvRmT2_T3_T4_T5_mT6_T7_P12ihipStream_tbENKUlT_T0_E_clISt17integral_constantIbLb1EESX_EEDaSS_ST_EUlSS_E_NS1_11comp_targetILNS1_3genE10ELNS1_11target_archE1201ELNS1_3gpuE5ELNS1_3repE0EEENS1_30default_config_static_selectorELNS0_4arch9wavefront6targetE0EEEvT1_.has_indirect_call, 0
	.section	.AMDGPU.csdata,"",@progbits
; Kernel info:
; codeLenInByte = 0
; TotalNumSgprs: 0
; NumVgprs: 0
; ScratchSize: 0
; MemoryBound: 0
; FloatMode: 240
; IeeeMode: 1
; LDSByteSize: 0 bytes/workgroup (compile time only)
; SGPRBlocks: 0
; VGPRBlocks: 0
; NumSGPRsForWavesPerEU: 1
; NumVGPRsForWavesPerEU: 1
; NamedBarCnt: 0
; Occupancy: 16
; WaveLimiterHint : 0
; COMPUTE_PGM_RSRC2:SCRATCH_EN: 0
; COMPUTE_PGM_RSRC2:USER_SGPR: 2
; COMPUTE_PGM_RSRC2:TRAP_HANDLER: 0
; COMPUTE_PGM_RSRC2:TGID_X_EN: 1
; COMPUTE_PGM_RSRC2:TGID_Y_EN: 0
; COMPUTE_PGM_RSRC2:TGID_Z_EN: 0
; COMPUTE_PGM_RSRC2:TIDIG_COMP_CNT: 0
	.section	.text._ZN7rocprim17ROCPRIM_400000_NS6detail17trampoline_kernelINS0_14default_configENS1_27scan_by_key_config_selectorIllEEZZNS1_16scan_by_key_implILNS1_25lookback_scan_determinismE0ELb0ES3_PKlN6hipcub16HIPCUB_304000_NS21ConstantInputIteratorIllEEPllNSB_3SumENSB_8EqualityElEE10hipError_tPvRmT2_T3_T4_T5_mT6_T7_P12ihipStream_tbENKUlT_T0_E_clISt17integral_constantIbLb1EESX_EEDaSS_ST_EUlSS_E_NS1_11comp_targetILNS1_3genE5ELNS1_11target_archE942ELNS1_3gpuE9ELNS1_3repE0EEENS1_30default_config_static_selectorELNS0_4arch9wavefront6targetE0EEEvT1_,"axG",@progbits,_ZN7rocprim17ROCPRIM_400000_NS6detail17trampoline_kernelINS0_14default_configENS1_27scan_by_key_config_selectorIllEEZZNS1_16scan_by_key_implILNS1_25lookback_scan_determinismE0ELb0ES3_PKlN6hipcub16HIPCUB_304000_NS21ConstantInputIteratorIllEEPllNSB_3SumENSB_8EqualityElEE10hipError_tPvRmT2_T3_T4_T5_mT6_T7_P12ihipStream_tbENKUlT_T0_E_clISt17integral_constantIbLb1EESX_EEDaSS_ST_EUlSS_E_NS1_11comp_targetILNS1_3genE5ELNS1_11target_archE942ELNS1_3gpuE9ELNS1_3repE0EEENS1_30default_config_static_selectorELNS0_4arch9wavefront6targetE0EEEvT1_,comdat
	.protected	_ZN7rocprim17ROCPRIM_400000_NS6detail17trampoline_kernelINS0_14default_configENS1_27scan_by_key_config_selectorIllEEZZNS1_16scan_by_key_implILNS1_25lookback_scan_determinismE0ELb0ES3_PKlN6hipcub16HIPCUB_304000_NS21ConstantInputIteratorIllEEPllNSB_3SumENSB_8EqualityElEE10hipError_tPvRmT2_T3_T4_T5_mT6_T7_P12ihipStream_tbENKUlT_T0_E_clISt17integral_constantIbLb1EESX_EEDaSS_ST_EUlSS_E_NS1_11comp_targetILNS1_3genE5ELNS1_11target_archE942ELNS1_3gpuE9ELNS1_3repE0EEENS1_30default_config_static_selectorELNS0_4arch9wavefront6targetE0EEEvT1_ ; -- Begin function _ZN7rocprim17ROCPRIM_400000_NS6detail17trampoline_kernelINS0_14default_configENS1_27scan_by_key_config_selectorIllEEZZNS1_16scan_by_key_implILNS1_25lookback_scan_determinismE0ELb0ES3_PKlN6hipcub16HIPCUB_304000_NS21ConstantInputIteratorIllEEPllNSB_3SumENSB_8EqualityElEE10hipError_tPvRmT2_T3_T4_T5_mT6_T7_P12ihipStream_tbENKUlT_T0_E_clISt17integral_constantIbLb1EESX_EEDaSS_ST_EUlSS_E_NS1_11comp_targetILNS1_3genE5ELNS1_11target_archE942ELNS1_3gpuE9ELNS1_3repE0EEENS1_30default_config_static_selectorELNS0_4arch9wavefront6targetE0EEEvT1_
	.globl	_ZN7rocprim17ROCPRIM_400000_NS6detail17trampoline_kernelINS0_14default_configENS1_27scan_by_key_config_selectorIllEEZZNS1_16scan_by_key_implILNS1_25lookback_scan_determinismE0ELb0ES3_PKlN6hipcub16HIPCUB_304000_NS21ConstantInputIteratorIllEEPllNSB_3SumENSB_8EqualityElEE10hipError_tPvRmT2_T3_T4_T5_mT6_T7_P12ihipStream_tbENKUlT_T0_E_clISt17integral_constantIbLb1EESX_EEDaSS_ST_EUlSS_E_NS1_11comp_targetILNS1_3genE5ELNS1_11target_archE942ELNS1_3gpuE9ELNS1_3repE0EEENS1_30default_config_static_selectorELNS0_4arch9wavefront6targetE0EEEvT1_
	.p2align	8
	.type	_ZN7rocprim17ROCPRIM_400000_NS6detail17trampoline_kernelINS0_14default_configENS1_27scan_by_key_config_selectorIllEEZZNS1_16scan_by_key_implILNS1_25lookback_scan_determinismE0ELb0ES3_PKlN6hipcub16HIPCUB_304000_NS21ConstantInputIteratorIllEEPllNSB_3SumENSB_8EqualityElEE10hipError_tPvRmT2_T3_T4_T5_mT6_T7_P12ihipStream_tbENKUlT_T0_E_clISt17integral_constantIbLb1EESX_EEDaSS_ST_EUlSS_E_NS1_11comp_targetILNS1_3genE5ELNS1_11target_archE942ELNS1_3gpuE9ELNS1_3repE0EEENS1_30default_config_static_selectorELNS0_4arch9wavefront6targetE0EEEvT1_,@function
_ZN7rocprim17ROCPRIM_400000_NS6detail17trampoline_kernelINS0_14default_configENS1_27scan_by_key_config_selectorIllEEZZNS1_16scan_by_key_implILNS1_25lookback_scan_determinismE0ELb0ES3_PKlN6hipcub16HIPCUB_304000_NS21ConstantInputIteratorIllEEPllNSB_3SumENSB_8EqualityElEE10hipError_tPvRmT2_T3_T4_T5_mT6_T7_P12ihipStream_tbENKUlT_T0_E_clISt17integral_constantIbLb1EESX_EEDaSS_ST_EUlSS_E_NS1_11comp_targetILNS1_3genE5ELNS1_11target_archE942ELNS1_3gpuE9ELNS1_3repE0EEENS1_30default_config_static_selectorELNS0_4arch9wavefront6targetE0EEEvT1_: ; @_ZN7rocprim17ROCPRIM_400000_NS6detail17trampoline_kernelINS0_14default_configENS1_27scan_by_key_config_selectorIllEEZZNS1_16scan_by_key_implILNS1_25lookback_scan_determinismE0ELb0ES3_PKlN6hipcub16HIPCUB_304000_NS21ConstantInputIteratorIllEEPllNSB_3SumENSB_8EqualityElEE10hipError_tPvRmT2_T3_T4_T5_mT6_T7_P12ihipStream_tbENKUlT_T0_E_clISt17integral_constantIbLb1EESX_EEDaSS_ST_EUlSS_E_NS1_11comp_targetILNS1_3genE5ELNS1_11target_archE942ELNS1_3gpuE9ELNS1_3repE0EEENS1_30default_config_static_selectorELNS0_4arch9wavefront6targetE0EEEvT1_
; %bb.0:
	.section	.rodata,"a",@progbits
	.p2align	6, 0x0
	.amdhsa_kernel _ZN7rocprim17ROCPRIM_400000_NS6detail17trampoline_kernelINS0_14default_configENS1_27scan_by_key_config_selectorIllEEZZNS1_16scan_by_key_implILNS1_25lookback_scan_determinismE0ELb0ES3_PKlN6hipcub16HIPCUB_304000_NS21ConstantInputIteratorIllEEPllNSB_3SumENSB_8EqualityElEE10hipError_tPvRmT2_T3_T4_T5_mT6_T7_P12ihipStream_tbENKUlT_T0_E_clISt17integral_constantIbLb1EESX_EEDaSS_ST_EUlSS_E_NS1_11comp_targetILNS1_3genE5ELNS1_11target_archE942ELNS1_3gpuE9ELNS1_3repE0EEENS1_30default_config_static_selectorELNS0_4arch9wavefront6targetE0EEEvT1_
		.amdhsa_group_segment_fixed_size 0
		.amdhsa_private_segment_fixed_size 0
		.amdhsa_kernarg_size 144
		.amdhsa_user_sgpr_count 2
		.amdhsa_user_sgpr_dispatch_ptr 0
		.amdhsa_user_sgpr_queue_ptr 0
		.amdhsa_user_sgpr_kernarg_segment_ptr 1
		.amdhsa_user_sgpr_dispatch_id 0
		.amdhsa_user_sgpr_kernarg_preload_length 0
		.amdhsa_user_sgpr_kernarg_preload_offset 0
		.amdhsa_user_sgpr_private_segment_size 0
		.amdhsa_wavefront_size32 1
		.amdhsa_uses_dynamic_stack 0
		.amdhsa_enable_private_segment 0
		.amdhsa_system_sgpr_workgroup_id_x 1
		.amdhsa_system_sgpr_workgroup_id_y 0
		.amdhsa_system_sgpr_workgroup_id_z 0
		.amdhsa_system_sgpr_workgroup_info 0
		.amdhsa_system_vgpr_workitem_id 0
		.amdhsa_next_free_vgpr 1
		.amdhsa_next_free_sgpr 1
		.amdhsa_named_barrier_count 0
		.amdhsa_reserve_vcc 0
		.amdhsa_float_round_mode_32 0
		.amdhsa_float_round_mode_16_64 0
		.amdhsa_float_denorm_mode_32 3
		.amdhsa_float_denorm_mode_16_64 3
		.amdhsa_fp16_overflow 0
		.amdhsa_memory_ordered 1
		.amdhsa_forward_progress 1
		.amdhsa_inst_pref_size 0
		.amdhsa_round_robin_scheduling 0
		.amdhsa_exception_fp_ieee_invalid_op 0
		.amdhsa_exception_fp_denorm_src 0
		.amdhsa_exception_fp_ieee_div_zero 0
		.amdhsa_exception_fp_ieee_overflow 0
		.amdhsa_exception_fp_ieee_underflow 0
		.amdhsa_exception_fp_ieee_inexact 0
		.amdhsa_exception_int_div_zero 0
	.end_amdhsa_kernel
	.section	.text._ZN7rocprim17ROCPRIM_400000_NS6detail17trampoline_kernelINS0_14default_configENS1_27scan_by_key_config_selectorIllEEZZNS1_16scan_by_key_implILNS1_25lookback_scan_determinismE0ELb0ES3_PKlN6hipcub16HIPCUB_304000_NS21ConstantInputIteratorIllEEPllNSB_3SumENSB_8EqualityElEE10hipError_tPvRmT2_T3_T4_T5_mT6_T7_P12ihipStream_tbENKUlT_T0_E_clISt17integral_constantIbLb1EESX_EEDaSS_ST_EUlSS_E_NS1_11comp_targetILNS1_3genE5ELNS1_11target_archE942ELNS1_3gpuE9ELNS1_3repE0EEENS1_30default_config_static_selectorELNS0_4arch9wavefront6targetE0EEEvT1_,"axG",@progbits,_ZN7rocprim17ROCPRIM_400000_NS6detail17trampoline_kernelINS0_14default_configENS1_27scan_by_key_config_selectorIllEEZZNS1_16scan_by_key_implILNS1_25lookback_scan_determinismE0ELb0ES3_PKlN6hipcub16HIPCUB_304000_NS21ConstantInputIteratorIllEEPllNSB_3SumENSB_8EqualityElEE10hipError_tPvRmT2_T3_T4_T5_mT6_T7_P12ihipStream_tbENKUlT_T0_E_clISt17integral_constantIbLb1EESX_EEDaSS_ST_EUlSS_E_NS1_11comp_targetILNS1_3genE5ELNS1_11target_archE942ELNS1_3gpuE9ELNS1_3repE0EEENS1_30default_config_static_selectorELNS0_4arch9wavefront6targetE0EEEvT1_,comdat
.Lfunc_end107:
	.size	_ZN7rocprim17ROCPRIM_400000_NS6detail17trampoline_kernelINS0_14default_configENS1_27scan_by_key_config_selectorIllEEZZNS1_16scan_by_key_implILNS1_25lookback_scan_determinismE0ELb0ES3_PKlN6hipcub16HIPCUB_304000_NS21ConstantInputIteratorIllEEPllNSB_3SumENSB_8EqualityElEE10hipError_tPvRmT2_T3_T4_T5_mT6_T7_P12ihipStream_tbENKUlT_T0_E_clISt17integral_constantIbLb1EESX_EEDaSS_ST_EUlSS_E_NS1_11comp_targetILNS1_3genE5ELNS1_11target_archE942ELNS1_3gpuE9ELNS1_3repE0EEENS1_30default_config_static_selectorELNS0_4arch9wavefront6targetE0EEEvT1_, .Lfunc_end107-_ZN7rocprim17ROCPRIM_400000_NS6detail17trampoline_kernelINS0_14default_configENS1_27scan_by_key_config_selectorIllEEZZNS1_16scan_by_key_implILNS1_25lookback_scan_determinismE0ELb0ES3_PKlN6hipcub16HIPCUB_304000_NS21ConstantInputIteratorIllEEPllNSB_3SumENSB_8EqualityElEE10hipError_tPvRmT2_T3_T4_T5_mT6_T7_P12ihipStream_tbENKUlT_T0_E_clISt17integral_constantIbLb1EESX_EEDaSS_ST_EUlSS_E_NS1_11comp_targetILNS1_3genE5ELNS1_11target_archE942ELNS1_3gpuE9ELNS1_3repE0EEENS1_30default_config_static_selectorELNS0_4arch9wavefront6targetE0EEEvT1_
                                        ; -- End function
	.set _ZN7rocprim17ROCPRIM_400000_NS6detail17trampoline_kernelINS0_14default_configENS1_27scan_by_key_config_selectorIllEEZZNS1_16scan_by_key_implILNS1_25lookback_scan_determinismE0ELb0ES3_PKlN6hipcub16HIPCUB_304000_NS21ConstantInputIteratorIllEEPllNSB_3SumENSB_8EqualityElEE10hipError_tPvRmT2_T3_T4_T5_mT6_T7_P12ihipStream_tbENKUlT_T0_E_clISt17integral_constantIbLb1EESX_EEDaSS_ST_EUlSS_E_NS1_11comp_targetILNS1_3genE5ELNS1_11target_archE942ELNS1_3gpuE9ELNS1_3repE0EEENS1_30default_config_static_selectorELNS0_4arch9wavefront6targetE0EEEvT1_.num_vgpr, 0
	.set _ZN7rocprim17ROCPRIM_400000_NS6detail17trampoline_kernelINS0_14default_configENS1_27scan_by_key_config_selectorIllEEZZNS1_16scan_by_key_implILNS1_25lookback_scan_determinismE0ELb0ES3_PKlN6hipcub16HIPCUB_304000_NS21ConstantInputIteratorIllEEPllNSB_3SumENSB_8EqualityElEE10hipError_tPvRmT2_T3_T4_T5_mT6_T7_P12ihipStream_tbENKUlT_T0_E_clISt17integral_constantIbLb1EESX_EEDaSS_ST_EUlSS_E_NS1_11comp_targetILNS1_3genE5ELNS1_11target_archE942ELNS1_3gpuE9ELNS1_3repE0EEENS1_30default_config_static_selectorELNS0_4arch9wavefront6targetE0EEEvT1_.num_agpr, 0
	.set _ZN7rocprim17ROCPRIM_400000_NS6detail17trampoline_kernelINS0_14default_configENS1_27scan_by_key_config_selectorIllEEZZNS1_16scan_by_key_implILNS1_25lookback_scan_determinismE0ELb0ES3_PKlN6hipcub16HIPCUB_304000_NS21ConstantInputIteratorIllEEPllNSB_3SumENSB_8EqualityElEE10hipError_tPvRmT2_T3_T4_T5_mT6_T7_P12ihipStream_tbENKUlT_T0_E_clISt17integral_constantIbLb1EESX_EEDaSS_ST_EUlSS_E_NS1_11comp_targetILNS1_3genE5ELNS1_11target_archE942ELNS1_3gpuE9ELNS1_3repE0EEENS1_30default_config_static_selectorELNS0_4arch9wavefront6targetE0EEEvT1_.numbered_sgpr, 0
	.set _ZN7rocprim17ROCPRIM_400000_NS6detail17trampoline_kernelINS0_14default_configENS1_27scan_by_key_config_selectorIllEEZZNS1_16scan_by_key_implILNS1_25lookback_scan_determinismE0ELb0ES3_PKlN6hipcub16HIPCUB_304000_NS21ConstantInputIteratorIllEEPllNSB_3SumENSB_8EqualityElEE10hipError_tPvRmT2_T3_T4_T5_mT6_T7_P12ihipStream_tbENKUlT_T0_E_clISt17integral_constantIbLb1EESX_EEDaSS_ST_EUlSS_E_NS1_11comp_targetILNS1_3genE5ELNS1_11target_archE942ELNS1_3gpuE9ELNS1_3repE0EEENS1_30default_config_static_selectorELNS0_4arch9wavefront6targetE0EEEvT1_.num_named_barrier, 0
	.set _ZN7rocprim17ROCPRIM_400000_NS6detail17trampoline_kernelINS0_14default_configENS1_27scan_by_key_config_selectorIllEEZZNS1_16scan_by_key_implILNS1_25lookback_scan_determinismE0ELb0ES3_PKlN6hipcub16HIPCUB_304000_NS21ConstantInputIteratorIllEEPllNSB_3SumENSB_8EqualityElEE10hipError_tPvRmT2_T3_T4_T5_mT6_T7_P12ihipStream_tbENKUlT_T0_E_clISt17integral_constantIbLb1EESX_EEDaSS_ST_EUlSS_E_NS1_11comp_targetILNS1_3genE5ELNS1_11target_archE942ELNS1_3gpuE9ELNS1_3repE0EEENS1_30default_config_static_selectorELNS0_4arch9wavefront6targetE0EEEvT1_.private_seg_size, 0
	.set _ZN7rocprim17ROCPRIM_400000_NS6detail17trampoline_kernelINS0_14default_configENS1_27scan_by_key_config_selectorIllEEZZNS1_16scan_by_key_implILNS1_25lookback_scan_determinismE0ELb0ES3_PKlN6hipcub16HIPCUB_304000_NS21ConstantInputIteratorIllEEPllNSB_3SumENSB_8EqualityElEE10hipError_tPvRmT2_T3_T4_T5_mT6_T7_P12ihipStream_tbENKUlT_T0_E_clISt17integral_constantIbLb1EESX_EEDaSS_ST_EUlSS_E_NS1_11comp_targetILNS1_3genE5ELNS1_11target_archE942ELNS1_3gpuE9ELNS1_3repE0EEENS1_30default_config_static_selectorELNS0_4arch9wavefront6targetE0EEEvT1_.uses_vcc, 0
	.set _ZN7rocprim17ROCPRIM_400000_NS6detail17trampoline_kernelINS0_14default_configENS1_27scan_by_key_config_selectorIllEEZZNS1_16scan_by_key_implILNS1_25lookback_scan_determinismE0ELb0ES3_PKlN6hipcub16HIPCUB_304000_NS21ConstantInputIteratorIllEEPllNSB_3SumENSB_8EqualityElEE10hipError_tPvRmT2_T3_T4_T5_mT6_T7_P12ihipStream_tbENKUlT_T0_E_clISt17integral_constantIbLb1EESX_EEDaSS_ST_EUlSS_E_NS1_11comp_targetILNS1_3genE5ELNS1_11target_archE942ELNS1_3gpuE9ELNS1_3repE0EEENS1_30default_config_static_selectorELNS0_4arch9wavefront6targetE0EEEvT1_.uses_flat_scratch, 0
	.set _ZN7rocprim17ROCPRIM_400000_NS6detail17trampoline_kernelINS0_14default_configENS1_27scan_by_key_config_selectorIllEEZZNS1_16scan_by_key_implILNS1_25lookback_scan_determinismE0ELb0ES3_PKlN6hipcub16HIPCUB_304000_NS21ConstantInputIteratorIllEEPllNSB_3SumENSB_8EqualityElEE10hipError_tPvRmT2_T3_T4_T5_mT6_T7_P12ihipStream_tbENKUlT_T0_E_clISt17integral_constantIbLb1EESX_EEDaSS_ST_EUlSS_E_NS1_11comp_targetILNS1_3genE5ELNS1_11target_archE942ELNS1_3gpuE9ELNS1_3repE0EEENS1_30default_config_static_selectorELNS0_4arch9wavefront6targetE0EEEvT1_.has_dyn_sized_stack, 0
	.set _ZN7rocprim17ROCPRIM_400000_NS6detail17trampoline_kernelINS0_14default_configENS1_27scan_by_key_config_selectorIllEEZZNS1_16scan_by_key_implILNS1_25lookback_scan_determinismE0ELb0ES3_PKlN6hipcub16HIPCUB_304000_NS21ConstantInputIteratorIllEEPllNSB_3SumENSB_8EqualityElEE10hipError_tPvRmT2_T3_T4_T5_mT6_T7_P12ihipStream_tbENKUlT_T0_E_clISt17integral_constantIbLb1EESX_EEDaSS_ST_EUlSS_E_NS1_11comp_targetILNS1_3genE5ELNS1_11target_archE942ELNS1_3gpuE9ELNS1_3repE0EEENS1_30default_config_static_selectorELNS0_4arch9wavefront6targetE0EEEvT1_.has_recursion, 0
	.set _ZN7rocprim17ROCPRIM_400000_NS6detail17trampoline_kernelINS0_14default_configENS1_27scan_by_key_config_selectorIllEEZZNS1_16scan_by_key_implILNS1_25lookback_scan_determinismE0ELb0ES3_PKlN6hipcub16HIPCUB_304000_NS21ConstantInputIteratorIllEEPllNSB_3SumENSB_8EqualityElEE10hipError_tPvRmT2_T3_T4_T5_mT6_T7_P12ihipStream_tbENKUlT_T0_E_clISt17integral_constantIbLb1EESX_EEDaSS_ST_EUlSS_E_NS1_11comp_targetILNS1_3genE5ELNS1_11target_archE942ELNS1_3gpuE9ELNS1_3repE0EEENS1_30default_config_static_selectorELNS0_4arch9wavefront6targetE0EEEvT1_.has_indirect_call, 0
	.section	.AMDGPU.csdata,"",@progbits
; Kernel info:
; codeLenInByte = 0
; TotalNumSgprs: 0
; NumVgprs: 0
; ScratchSize: 0
; MemoryBound: 0
; FloatMode: 240
; IeeeMode: 1
; LDSByteSize: 0 bytes/workgroup (compile time only)
; SGPRBlocks: 0
; VGPRBlocks: 0
; NumSGPRsForWavesPerEU: 1
; NumVGPRsForWavesPerEU: 1
; NamedBarCnt: 0
; Occupancy: 16
; WaveLimiterHint : 0
; COMPUTE_PGM_RSRC2:SCRATCH_EN: 0
; COMPUTE_PGM_RSRC2:USER_SGPR: 2
; COMPUTE_PGM_RSRC2:TRAP_HANDLER: 0
; COMPUTE_PGM_RSRC2:TGID_X_EN: 1
; COMPUTE_PGM_RSRC2:TGID_Y_EN: 0
; COMPUTE_PGM_RSRC2:TGID_Z_EN: 0
; COMPUTE_PGM_RSRC2:TIDIG_COMP_CNT: 0
	.section	.text._ZN7rocprim17ROCPRIM_400000_NS6detail17trampoline_kernelINS0_14default_configENS1_27scan_by_key_config_selectorIllEEZZNS1_16scan_by_key_implILNS1_25lookback_scan_determinismE0ELb0ES3_PKlN6hipcub16HIPCUB_304000_NS21ConstantInputIteratorIllEEPllNSB_3SumENSB_8EqualityElEE10hipError_tPvRmT2_T3_T4_T5_mT6_T7_P12ihipStream_tbENKUlT_T0_E_clISt17integral_constantIbLb1EESX_EEDaSS_ST_EUlSS_E_NS1_11comp_targetILNS1_3genE4ELNS1_11target_archE910ELNS1_3gpuE8ELNS1_3repE0EEENS1_30default_config_static_selectorELNS0_4arch9wavefront6targetE0EEEvT1_,"axG",@progbits,_ZN7rocprim17ROCPRIM_400000_NS6detail17trampoline_kernelINS0_14default_configENS1_27scan_by_key_config_selectorIllEEZZNS1_16scan_by_key_implILNS1_25lookback_scan_determinismE0ELb0ES3_PKlN6hipcub16HIPCUB_304000_NS21ConstantInputIteratorIllEEPllNSB_3SumENSB_8EqualityElEE10hipError_tPvRmT2_T3_T4_T5_mT6_T7_P12ihipStream_tbENKUlT_T0_E_clISt17integral_constantIbLb1EESX_EEDaSS_ST_EUlSS_E_NS1_11comp_targetILNS1_3genE4ELNS1_11target_archE910ELNS1_3gpuE8ELNS1_3repE0EEENS1_30default_config_static_selectorELNS0_4arch9wavefront6targetE0EEEvT1_,comdat
	.protected	_ZN7rocprim17ROCPRIM_400000_NS6detail17trampoline_kernelINS0_14default_configENS1_27scan_by_key_config_selectorIllEEZZNS1_16scan_by_key_implILNS1_25lookback_scan_determinismE0ELb0ES3_PKlN6hipcub16HIPCUB_304000_NS21ConstantInputIteratorIllEEPllNSB_3SumENSB_8EqualityElEE10hipError_tPvRmT2_T3_T4_T5_mT6_T7_P12ihipStream_tbENKUlT_T0_E_clISt17integral_constantIbLb1EESX_EEDaSS_ST_EUlSS_E_NS1_11comp_targetILNS1_3genE4ELNS1_11target_archE910ELNS1_3gpuE8ELNS1_3repE0EEENS1_30default_config_static_selectorELNS0_4arch9wavefront6targetE0EEEvT1_ ; -- Begin function _ZN7rocprim17ROCPRIM_400000_NS6detail17trampoline_kernelINS0_14default_configENS1_27scan_by_key_config_selectorIllEEZZNS1_16scan_by_key_implILNS1_25lookback_scan_determinismE0ELb0ES3_PKlN6hipcub16HIPCUB_304000_NS21ConstantInputIteratorIllEEPllNSB_3SumENSB_8EqualityElEE10hipError_tPvRmT2_T3_T4_T5_mT6_T7_P12ihipStream_tbENKUlT_T0_E_clISt17integral_constantIbLb1EESX_EEDaSS_ST_EUlSS_E_NS1_11comp_targetILNS1_3genE4ELNS1_11target_archE910ELNS1_3gpuE8ELNS1_3repE0EEENS1_30default_config_static_selectorELNS0_4arch9wavefront6targetE0EEEvT1_
	.globl	_ZN7rocprim17ROCPRIM_400000_NS6detail17trampoline_kernelINS0_14default_configENS1_27scan_by_key_config_selectorIllEEZZNS1_16scan_by_key_implILNS1_25lookback_scan_determinismE0ELb0ES3_PKlN6hipcub16HIPCUB_304000_NS21ConstantInputIteratorIllEEPllNSB_3SumENSB_8EqualityElEE10hipError_tPvRmT2_T3_T4_T5_mT6_T7_P12ihipStream_tbENKUlT_T0_E_clISt17integral_constantIbLb1EESX_EEDaSS_ST_EUlSS_E_NS1_11comp_targetILNS1_3genE4ELNS1_11target_archE910ELNS1_3gpuE8ELNS1_3repE0EEENS1_30default_config_static_selectorELNS0_4arch9wavefront6targetE0EEEvT1_
	.p2align	8
	.type	_ZN7rocprim17ROCPRIM_400000_NS6detail17trampoline_kernelINS0_14default_configENS1_27scan_by_key_config_selectorIllEEZZNS1_16scan_by_key_implILNS1_25lookback_scan_determinismE0ELb0ES3_PKlN6hipcub16HIPCUB_304000_NS21ConstantInputIteratorIllEEPllNSB_3SumENSB_8EqualityElEE10hipError_tPvRmT2_T3_T4_T5_mT6_T7_P12ihipStream_tbENKUlT_T0_E_clISt17integral_constantIbLb1EESX_EEDaSS_ST_EUlSS_E_NS1_11comp_targetILNS1_3genE4ELNS1_11target_archE910ELNS1_3gpuE8ELNS1_3repE0EEENS1_30default_config_static_selectorELNS0_4arch9wavefront6targetE0EEEvT1_,@function
_ZN7rocprim17ROCPRIM_400000_NS6detail17trampoline_kernelINS0_14default_configENS1_27scan_by_key_config_selectorIllEEZZNS1_16scan_by_key_implILNS1_25lookback_scan_determinismE0ELb0ES3_PKlN6hipcub16HIPCUB_304000_NS21ConstantInputIteratorIllEEPllNSB_3SumENSB_8EqualityElEE10hipError_tPvRmT2_T3_T4_T5_mT6_T7_P12ihipStream_tbENKUlT_T0_E_clISt17integral_constantIbLb1EESX_EEDaSS_ST_EUlSS_E_NS1_11comp_targetILNS1_3genE4ELNS1_11target_archE910ELNS1_3gpuE8ELNS1_3repE0EEENS1_30default_config_static_selectorELNS0_4arch9wavefront6targetE0EEEvT1_: ; @_ZN7rocprim17ROCPRIM_400000_NS6detail17trampoline_kernelINS0_14default_configENS1_27scan_by_key_config_selectorIllEEZZNS1_16scan_by_key_implILNS1_25lookback_scan_determinismE0ELb0ES3_PKlN6hipcub16HIPCUB_304000_NS21ConstantInputIteratorIllEEPllNSB_3SumENSB_8EqualityElEE10hipError_tPvRmT2_T3_T4_T5_mT6_T7_P12ihipStream_tbENKUlT_T0_E_clISt17integral_constantIbLb1EESX_EEDaSS_ST_EUlSS_E_NS1_11comp_targetILNS1_3genE4ELNS1_11target_archE910ELNS1_3gpuE8ELNS1_3repE0EEENS1_30default_config_static_selectorELNS0_4arch9wavefront6targetE0EEEvT1_
; %bb.0:
	.section	.rodata,"a",@progbits
	.p2align	6, 0x0
	.amdhsa_kernel _ZN7rocprim17ROCPRIM_400000_NS6detail17trampoline_kernelINS0_14default_configENS1_27scan_by_key_config_selectorIllEEZZNS1_16scan_by_key_implILNS1_25lookback_scan_determinismE0ELb0ES3_PKlN6hipcub16HIPCUB_304000_NS21ConstantInputIteratorIllEEPllNSB_3SumENSB_8EqualityElEE10hipError_tPvRmT2_T3_T4_T5_mT6_T7_P12ihipStream_tbENKUlT_T0_E_clISt17integral_constantIbLb1EESX_EEDaSS_ST_EUlSS_E_NS1_11comp_targetILNS1_3genE4ELNS1_11target_archE910ELNS1_3gpuE8ELNS1_3repE0EEENS1_30default_config_static_selectorELNS0_4arch9wavefront6targetE0EEEvT1_
		.amdhsa_group_segment_fixed_size 0
		.amdhsa_private_segment_fixed_size 0
		.amdhsa_kernarg_size 144
		.amdhsa_user_sgpr_count 2
		.amdhsa_user_sgpr_dispatch_ptr 0
		.amdhsa_user_sgpr_queue_ptr 0
		.amdhsa_user_sgpr_kernarg_segment_ptr 1
		.amdhsa_user_sgpr_dispatch_id 0
		.amdhsa_user_sgpr_kernarg_preload_length 0
		.amdhsa_user_sgpr_kernarg_preload_offset 0
		.amdhsa_user_sgpr_private_segment_size 0
		.amdhsa_wavefront_size32 1
		.amdhsa_uses_dynamic_stack 0
		.amdhsa_enable_private_segment 0
		.amdhsa_system_sgpr_workgroup_id_x 1
		.amdhsa_system_sgpr_workgroup_id_y 0
		.amdhsa_system_sgpr_workgroup_id_z 0
		.amdhsa_system_sgpr_workgroup_info 0
		.amdhsa_system_vgpr_workitem_id 0
		.amdhsa_next_free_vgpr 1
		.amdhsa_next_free_sgpr 1
		.amdhsa_named_barrier_count 0
		.amdhsa_reserve_vcc 0
		.amdhsa_float_round_mode_32 0
		.amdhsa_float_round_mode_16_64 0
		.amdhsa_float_denorm_mode_32 3
		.amdhsa_float_denorm_mode_16_64 3
		.amdhsa_fp16_overflow 0
		.amdhsa_memory_ordered 1
		.amdhsa_forward_progress 1
		.amdhsa_inst_pref_size 0
		.amdhsa_round_robin_scheduling 0
		.amdhsa_exception_fp_ieee_invalid_op 0
		.amdhsa_exception_fp_denorm_src 0
		.amdhsa_exception_fp_ieee_div_zero 0
		.amdhsa_exception_fp_ieee_overflow 0
		.amdhsa_exception_fp_ieee_underflow 0
		.amdhsa_exception_fp_ieee_inexact 0
		.amdhsa_exception_int_div_zero 0
	.end_amdhsa_kernel
	.section	.text._ZN7rocprim17ROCPRIM_400000_NS6detail17trampoline_kernelINS0_14default_configENS1_27scan_by_key_config_selectorIllEEZZNS1_16scan_by_key_implILNS1_25lookback_scan_determinismE0ELb0ES3_PKlN6hipcub16HIPCUB_304000_NS21ConstantInputIteratorIllEEPllNSB_3SumENSB_8EqualityElEE10hipError_tPvRmT2_T3_T4_T5_mT6_T7_P12ihipStream_tbENKUlT_T0_E_clISt17integral_constantIbLb1EESX_EEDaSS_ST_EUlSS_E_NS1_11comp_targetILNS1_3genE4ELNS1_11target_archE910ELNS1_3gpuE8ELNS1_3repE0EEENS1_30default_config_static_selectorELNS0_4arch9wavefront6targetE0EEEvT1_,"axG",@progbits,_ZN7rocprim17ROCPRIM_400000_NS6detail17trampoline_kernelINS0_14default_configENS1_27scan_by_key_config_selectorIllEEZZNS1_16scan_by_key_implILNS1_25lookback_scan_determinismE0ELb0ES3_PKlN6hipcub16HIPCUB_304000_NS21ConstantInputIteratorIllEEPllNSB_3SumENSB_8EqualityElEE10hipError_tPvRmT2_T3_T4_T5_mT6_T7_P12ihipStream_tbENKUlT_T0_E_clISt17integral_constantIbLb1EESX_EEDaSS_ST_EUlSS_E_NS1_11comp_targetILNS1_3genE4ELNS1_11target_archE910ELNS1_3gpuE8ELNS1_3repE0EEENS1_30default_config_static_selectorELNS0_4arch9wavefront6targetE0EEEvT1_,comdat
.Lfunc_end108:
	.size	_ZN7rocprim17ROCPRIM_400000_NS6detail17trampoline_kernelINS0_14default_configENS1_27scan_by_key_config_selectorIllEEZZNS1_16scan_by_key_implILNS1_25lookback_scan_determinismE0ELb0ES3_PKlN6hipcub16HIPCUB_304000_NS21ConstantInputIteratorIllEEPllNSB_3SumENSB_8EqualityElEE10hipError_tPvRmT2_T3_T4_T5_mT6_T7_P12ihipStream_tbENKUlT_T0_E_clISt17integral_constantIbLb1EESX_EEDaSS_ST_EUlSS_E_NS1_11comp_targetILNS1_3genE4ELNS1_11target_archE910ELNS1_3gpuE8ELNS1_3repE0EEENS1_30default_config_static_selectorELNS0_4arch9wavefront6targetE0EEEvT1_, .Lfunc_end108-_ZN7rocprim17ROCPRIM_400000_NS6detail17trampoline_kernelINS0_14default_configENS1_27scan_by_key_config_selectorIllEEZZNS1_16scan_by_key_implILNS1_25lookback_scan_determinismE0ELb0ES3_PKlN6hipcub16HIPCUB_304000_NS21ConstantInputIteratorIllEEPllNSB_3SumENSB_8EqualityElEE10hipError_tPvRmT2_T3_T4_T5_mT6_T7_P12ihipStream_tbENKUlT_T0_E_clISt17integral_constantIbLb1EESX_EEDaSS_ST_EUlSS_E_NS1_11comp_targetILNS1_3genE4ELNS1_11target_archE910ELNS1_3gpuE8ELNS1_3repE0EEENS1_30default_config_static_selectorELNS0_4arch9wavefront6targetE0EEEvT1_
                                        ; -- End function
	.set _ZN7rocprim17ROCPRIM_400000_NS6detail17trampoline_kernelINS0_14default_configENS1_27scan_by_key_config_selectorIllEEZZNS1_16scan_by_key_implILNS1_25lookback_scan_determinismE0ELb0ES3_PKlN6hipcub16HIPCUB_304000_NS21ConstantInputIteratorIllEEPllNSB_3SumENSB_8EqualityElEE10hipError_tPvRmT2_T3_T4_T5_mT6_T7_P12ihipStream_tbENKUlT_T0_E_clISt17integral_constantIbLb1EESX_EEDaSS_ST_EUlSS_E_NS1_11comp_targetILNS1_3genE4ELNS1_11target_archE910ELNS1_3gpuE8ELNS1_3repE0EEENS1_30default_config_static_selectorELNS0_4arch9wavefront6targetE0EEEvT1_.num_vgpr, 0
	.set _ZN7rocprim17ROCPRIM_400000_NS6detail17trampoline_kernelINS0_14default_configENS1_27scan_by_key_config_selectorIllEEZZNS1_16scan_by_key_implILNS1_25lookback_scan_determinismE0ELb0ES3_PKlN6hipcub16HIPCUB_304000_NS21ConstantInputIteratorIllEEPllNSB_3SumENSB_8EqualityElEE10hipError_tPvRmT2_T3_T4_T5_mT6_T7_P12ihipStream_tbENKUlT_T0_E_clISt17integral_constantIbLb1EESX_EEDaSS_ST_EUlSS_E_NS1_11comp_targetILNS1_3genE4ELNS1_11target_archE910ELNS1_3gpuE8ELNS1_3repE0EEENS1_30default_config_static_selectorELNS0_4arch9wavefront6targetE0EEEvT1_.num_agpr, 0
	.set _ZN7rocprim17ROCPRIM_400000_NS6detail17trampoline_kernelINS0_14default_configENS1_27scan_by_key_config_selectorIllEEZZNS1_16scan_by_key_implILNS1_25lookback_scan_determinismE0ELb0ES3_PKlN6hipcub16HIPCUB_304000_NS21ConstantInputIteratorIllEEPllNSB_3SumENSB_8EqualityElEE10hipError_tPvRmT2_T3_T4_T5_mT6_T7_P12ihipStream_tbENKUlT_T0_E_clISt17integral_constantIbLb1EESX_EEDaSS_ST_EUlSS_E_NS1_11comp_targetILNS1_3genE4ELNS1_11target_archE910ELNS1_3gpuE8ELNS1_3repE0EEENS1_30default_config_static_selectorELNS0_4arch9wavefront6targetE0EEEvT1_.numbered_sgpr, 0
	.set _ZN7rocprim17ROCPRIM_400000_NS6detail17trampoline_kernelINS0_14default_configENS1_27scan_by_key_config_selectorIllEEZZNS1_16scan_by_key_implILNS1_25lookback_scan_determinismE0ELb0ES3_PKlN6hipcub16HIPCUB_304000_NS21ConstantInputIteratorIllEEPllNSB_3SumENSB_8EqualityElEE10hipError_tPvRmT2_T3_T4_T5_mT6_T7_P12ihipStream_tbENKUlT_T0_E_clISt17integral_constantIbLb1EESX_EEDaSS_ST_EUlSS_E_NS1_11comp_targetILNS1_3genE4ELNS1_11target_archE910ELNS1_3gpuE8ELNS1_3repE0EEENS1_30default_config_static_selectorELNS0_4arch9wavefront6targetE0EEEvT1_.num_named_barrier, 0
	.set _ZN7rocprim17ROCPRIM_400000_NS6detail17trampoline_kernelINS0_14default_configENS1_27scan_by_key_config_selectorIllEEZZNS1_16scan_by_key_implILNS1_25lookback_scan_determinismE0ELb0ES3_PKlN6hipcub16HIPCUB_304000_NS21ConstantInputIteratorIllEEPllNSB_3SumENSB_8EqualityElEE10hipError_tPvRmT2_T3_T4_T5_mT6_T7_P12ihipStream_tbENKUlT_T0_E_clISt17integral_constantIbLb1EESX_EEDaSS_ST_EUlSS_E_NS1_11comp_targetILNS1_3genE4ELNS1_11target_archE910ELNS1_3gpuE8ELNS1_3repE0EEENS1_30default_config_static_selectorELNS0_4arch9wavefront6targetE0EEEvT1_.private_seg_size, 0
	.set _ZN7rocprim17ROCPRIM_400000_NS6detail17trampoline_kernelINS0_14default_configENS1_27scan_by_key_config_selectorIllEEZZNS1_16scan_by_key_implILNS1_25lookback_scan_determinismE0ELb0ES3_PKlN6hipcub16HIPCUB_304000_NS21ConstantInputIteratorIllEEPllNSB_3SumENSB_8EqualityElEE10hipError_tPvRmT2_T3_T4_T5_mT6_T7_P12ihipStream_tbENKUlT_T0_E_clISt17integral_constantIbLb1EESX_EEDaSS_ST_EUlSS_E_NS1_11comp_targetILNS1_3genE4ELNS1_11target_archE910ELNS1_3gpuE8ELNS1_3repE0EEENS1_30default_config_static_selectorELNS0_4arch9wavefront6targetE0EEEvT1_.uses_vcc, 0
	.set _ZN7rocprim17ROCPRIM_400000_NS6detail17trampoline_kernelINS0_14default_configENS1_27scan_by_key_config_selectorIllEEZZNS1_16scan_by_key_implILNS1_25lookback_scan_determinismE0ELb0ES3_PKlN6hipcub16HIPCUB_304000_NS21ConstantInputIteratorIllEEPllNSB_3SumENSB_8EqualityElEE10hipError_tPvRmT2_T3_T4_T5_mT6_T7_P12ihipStream_tbENKUlT_T0_E_clISt17integral_constantIbLb1EESX_EEDaSS_ST_EUlSS_E_NS1_11comp_targetILNS1_3genE4ELNS1_11target_archE910ELNS1_3gpuE8ELNS1_3repE0EEENS1_30default_config_static_selectorELNS0_4arch9wavefront6targetE0EEEvT1_.uses_flat_scratch, 0
	.set _ZN7rocprim17ROCPRIM_400000_NS6detail17trampoline_kernelINS0_14default_configENS1_27scan_by_key_config_selectorIllEEZZNS1_16scan_by_key_implILNS1_25lookback_scan_determinismE0ELb0ES3_PKlN6hipcub16HIPCUB_304000_NS21ConstantInputIteratorIllEEPllNSB_3SumENSB_8EqualityElEE10hipError_tPvRmT2_T3_T4_T5_mT6_T7_P12ihipStream_tbENKUlT_T0_E_clISt17integral_constantIbLb1EESX_EEDaSS_ST_EUlSS_E_NS1_11comp_targetILNS1_3genE4ELNS1_11target_archE910ELNS1_3gpuE8ELNS1_3repE0EEENS1_30default_config_static_selectorELNS0_4arch9wavefront6targetE0EEEvT1_.has_dyn_sized_stack, 0
	.set _ZN7rocprim17ROCPRIM_400000_NS6detail17trampoline_kernelINS0_14default_configENS1_27scan_by_key_config_selectorIllEEZZNS1_16scan_by_key_implILNS1_25lookback_scan_determinismE0ELb0ES3_PKlN6hipcub16HIPCUB_304000_NS21ConstantInputIteratorIllEEPllNSB_3SumENSB_8EqualityElEE10hipError_tPvRmT2_T3_T4_T5_mT6_T7_P12ihipStream_tbENKUlT_T0_E_clISt17integral_constantIbLb1EESX_EEDaSS_ST_EUlSS_E_NS1_11comp_targetILNS1_3genE4ELNS1_11target_archE910ELNS1_3gpuE8ELNS1_3repE0EEENS1_30default_config_static_selectorELNS0_4arch9wavefront6targetE0EEEvT1_.has_recursion, 0
	.set _ZN7rocprim17ROCPRIM_400000_NS6detail17trampoline_kernelINS0_14default_configENS1_27scan_by_key_config_selectorIllEEZZNS1_16scan_by_key_implILNS1_25lookback_scan_determinismE0ELb0ES3_PKlN6hipcub16HIPCUB_304000_NS21ConstantInputIteratorIllEEPllNSB_3SumENSB_8EqualityElEE10hipError_tPvRmT2_T3_T4_T5_mT6_T7_P12ihipStream_tbENKUlT_T0_E_clISt17integral_constantIbLb1EESX_EEDaSS_ST_EUlSS_E_NS1_11comp_targetILNS1_3genE4ELNS1_11target_archE910ELNS1_3gpuE8ELNS1_3repE0EEENS1_30default_config_static_selectorELNS0_4arch9wavefront6targetE0EEEvT1_.has_indirect_call, 0
	.section	.AMDGPU.csdata,"",@progbits
; Kernel info:
; codeLenInByte = 0
; TotalNumSgprs: 0
; NumVgprs: 0
; ScratchSize: 0
; MemoryBound: 0
; FloatMode: 240
; IeeeMode: 1
; LDSByteSize: 0 bytes/workgroup (compile time only)
; SGPRBlocks: 0
; VGPRBlocks: 0
; NumSGPRsForWavesPerEU: 1
; NumVGPRsForWavesPerEU: 1
; NamedBarCnt: 0
; Occupancy: 16
; WaveLimiterHint : 0
; COMPUTE_PGM_RSRC2:SCRATCH_EN: 0
; COMPUTE_PGM_RSRC2:USER_SGPR: 2
; COMPUTE_PGM_RSRC2:TRAP_HANDLER: 0
; COMPUTE_PGM_RSRC2:TGID_X_EN: 1
; COMPUTE_PGM_RSRC2:TGID_Y_EN: 0
; COMPUTE_PGM_RSRC2:TGID_Z_EN: 0
; COMPUTE_PGM_RSRC2:TIDIG_COMP_CNT: 0
	.section	.text._ZN7rocprim17ROCPRIM_400000_NS6detail17trampoline_kernelINS0_14default_configENS1_27scan_by_key_config_selectorIllEEZZNS1_16scan_by_key_implILNS1_25lookback_scan_determinismE0ELb0ES3_PKlN6hipcub16HIPCUB_304000_NS21ConstantInputIteratorIllEEPllNSB_3SumENSB_8EqualityElEE10hipError_tPvRmT2_T3_T4_T5_mT6_T7_P12ihipStream_tbENKUlT_T0_E_clISt17integral_constantIbLb1EESX_EEDaSS_ST_EUlSS_E_NS1_11comp_targetILNS1_3genE3ELNS1_11target_archE908ELNS1_3gpuE7ELNS1_3repE0EEENS1_30default_config_static_selectorELNS0_4arch9wavefront6targetE0EEEvT1_,"axG",@progbits,_ZN7rocprim17ROCPRIM_400000_NS6detail17trampoline_kernelINS0_14default_configENS1_27scan_by_key_config_selectorIllEEZZNS1_16scan_by_key_implILNS1_25lookback_scan_determinismE0ELb0ES3_PKlN6hipcub16HIPCUB_304000_NS21ConstantInputIteratorIllEEPllNSB_3SumENSB_8EqualityElEE10hipError_tPvRmT2_T3_T4_T5_mT6_T7_P12ihipStream_tbENKUlT_T0_E_clISt17integral_constantIbLb1EESX_EEDaSS_ST_EUlSS_E_NS1_11comp_targetILNS1_3genE3ELNS1_11target_archE908ELNS1_3gpuE7ELNS1_3repE0EEENS1_30default_config_static_selectorELNS0_4arch9wavefront6targetE0EEEvT1_,comdat
	.protected	_ZN7rocprim17ROCPRIM_400000_NS6detail17trampoline_kernelINS0_14default_configENS1_27scan_by_key_config_selectorIllEEZZNS1_16scan_by_key_implILNS1_25lookback_scan_determinismE0ELb0ES3_PKlN6hipcub16HIPCUB_304000_NS21ConstantInputIteratorIllEEPllNSB_3SumENSB_8EqualityElEE10hipError_tPvRmT2_T3_T4_T5_mT6_T7_P12ihipStream_tbENKUlT_T0_E_clISt17integral_constantIbLb1EESX_EEDaSS_ST_EUlSS_E_NS1_11comp_targetILNS1_3genE3ELNS1_11target_archE908ELNS1_3gpuE7ELNS1_3repE0EEENS1_30default_config_static_selectorELNS0_4arch9wavefront6targetE0EEEvT1_ ; -- Begin function _ZN7rocprim17ROCPRIM_400000_NS6detail17trampoline_kernelINS0_14default_configENS1_27scan_by_key_config_selectorIllEEZZNS1_16scan_by_key_implILNS1_25lookback_scan_determinismE0ELb0ES3_PKlN6hipcub16HIPCUB_304000_NS21ConstantInputIteratorIllEEPllNSB_3SumENSB_8EqualityElEE10hipError_tPvRmT2_T3_T4_T5_mT6_T7_P12ihipStream_tbENKUlT_T0_E_clISt17integral_constantIbLb1EESX_EEDaSS_ST_EUlSS_E_NS1_11comp_targetILNS1_3genE3ELNS1_11target_archE908ELNS1_3gpuE7ELNS1_3repE0EEENS1_30default_config_static_selectorELNS0_4arch9wavefront6targetE0EEEvT1_
	.globl	_ZN7rocprim17ROCPRIM_400000_NS6detail17trampoline_kernelINS0_14default_configENS1_27scan_by_key_config_selectorIllEEZZNS1_16scan_by_key_implILNS1_25lookback_scan_determinismE0ELb0ES3_PKlN6hipcub16HIPCUB_304000_NS21ConstantInputIteratorIllEEPllNSB_3SumENSB_8EqualityElEE10hipError_tPvRmT2_T3_T4_T5_mT6_T7_P12ihipStream_tbENKUlT_T0_E_clISt17integral_constantIbLb1EESX_EEDaSS_ST_EUlSS_E_NS1_11comp_targetILNS1_3genE3ELNS1_11target_archE908ELNS1_3gpuE7ELNS1_3repE0EEENS1_30default_config_static_selectorELNS0_4arch9wavefront6targetE0EEEvT1_
	.p2align	8
	.type	_ZN7rocprim17ROCPRIM_400000_NS6detail17trampoline_kernelINS0_14default_configENS1_27scan_by_key_config_selectorIllEEZZNS1_16scan_by_key_implILNS1_25lookback_scan_determinismE0ELb0ES3_PKlN6hipcub16HIPCUB_304000_NS21ConstantInputIteratorIllEEPllNSB_3SumENSB_8EqualityElEE10hipError_tPvRmT2_T3_T4_T5_mT6_T7_P12ihipStream_tbENKUlT_T0_E_clISt17integral_constantIbLb1EESX_EEDaSS_ST_EUlSS_E_NS1_11comp_targetILNS1_3genE3ELNS1_11target_archE908ELNS1_3gpuE7ELNS1_3repE0EEENS1_30default_config_static_selectorELNS0_4arch9wavefront6targetE0EEEvT1_,@function
_ZN7rocprim17ROCPRIM_400000_NS6detail17trampoline_kernelINS0_14default_configENS1_27scan_by_key_config_selectorIllEEZZNS1_16scan_by_key_implILNS1_25lookback_scan_determinismE0ELb0ES3_PKlN6hipcub16HIPCUB_304000_NS21ConstantInputIteratorIllEEPllNSB_3SumENSB_8EqualityElEE10hipError_tPvRmT2_T3_T4_T5_mT6_T7_P12ihipStream_tbENKUlT_T0_E_clISt17integral_constantIbLb1EESX_EEDaSS_ST_EUlSS_E_NS1_11comp_targetILNS1_3genE3ELNS1_11target_archE908ELNS1_3gpuE7ELNS1_3repE0EEENS1_30default_config_static_selectorELNS0_4arch9wavefront6targetE0EEEvT1_: ; @_ZN7rocprim17ROCPRIM_400000_NS6detail17trampoline_kernelINS0_14default_configENS1_27scan_by_key_config_selectorIllEEZZNS1_16scan_by_key_implILNS1_25lookback_scan_determinismE0ELb0ES3_PKlN6hipcub16HIPCUB_304000_NS21ConstantInputIteratorIllEEPllNSB_3SumENSB_8EqualityElEE10hipError_tPvRmT2_T3_T4_T5_mT6_T7_P12ihipStream_tbENKUlT_T0_E_clISt17integral_constantIbLb1EESX_EEDaSS_ST_EUlSS_E_NS1_11comp_targetILNS1_3genE3ELNS1_11target_archE908ELNS1_3gpuE7ELNS1_3repE0EEENS1_30default_config_static_selectorELNS0_4arch9wavefront6targetE0EEEvT1_
; %bb.0:
	.section	.rodata,"a",@progbits
	.p2align	6, 0x0
	.amdhsa_kernel _ZN7rocprim17ROCPRIM_400000_NS6detail17trampoline_kernelINS0_14default_configENS1_27scan_by_key_config_selectorIllEEZZNS1_16scan_by_key_implILNS1_25lookback_scan_determinismE0ELb0ES3_PKlN6hipcub16HIPCUB_304000_NS21ConstantInputIteratorIllEEPllNSB_3SumENSB_8EqualityElEE10hipError_tPvRmT2_T3_T4_T5_mT6_T7_P12ihipStream_tbENKUlT_T0_E_clISt17integral_constantIbLb1EESX_EEDaSS_ST_EUlSS_E_NS1_11comp_targetILNS1_3genE3ELNS1_11target_archE908ELNS1_3gpuE7ELNS1_3repE0EEENS1_30default_config_static_selectorELNS0_4arch9wavefront6targetE0EEEvT1_
		.amdhsa_group_segment_fixed_size 0
		.amdhsa_private_segment_fixed_size 0
		.amdhsa_kernarg_size 144
		.amdhsa_user_sgpr_count 2
		.amdhsa_user_sgpr_dispatch_ptr 0
		.amdhsa_user_sgpr_queue_ptr 0
		.amdhsa_user_sgpr_kernarg_segment_ptr 1
		.amdhsa_user_sgpr_dispatch_id 0
		.amdhsa_user_sgpr_kernarg_preload_length 0
		.amdhsa_user_sgpr_kernarg_preload_offset 0
		.amdhsa_user_sgpr_private_segment_size 0
		.amdhsa_wavefront_size32 1
		.amdhsa_uses_dynamic_stack 0
		.amdhsa_enable_private_segment 0
		.amdhsa_system_sgpr_workgroup_id_x 1
		.amdhsa_system_sgpr_workgroup_id_y 0
		.amdhsa_system_sgpr_workgroup_id_z 0
		.amdhsa_system_sgpr_workgroup_info 0
		.amdhsa_system_vgpr_workitem_id 0
		.amdhsa_next_free_vgpr 1
		.amdhsa_next_free_sgpr 1
		.amdhsa_named_barrier_count 0
		.amdhsa_reserve_vcc 0
		.amdhsa_float_round_mode_32 0
		.amdhsa_float_round_mode_16_64 0
		.amdhsa_float_denorm_mode_32 3
		.amdhsa_float_denorm_mode_16_64 3
		.amdhsa_fp16_overflow 0
		.amdhsa_memory_ordered 1
		.amdhsa_forward_progress 1
		.amdhsa_inst_pref_size 0
		.amdhsa_round_robin_scheduling 0
		.amdhsa_exception_fp_ieee_invalid_op 0
		.amdhsa_exception_fp_denorm_src 0
		.amdhsa_exception_fp_ieee_div_zero 0
		.amdhsa_exception_fp_ieee_overflow 0
		.amdhsa_exception_fp_ieee_underflow 0
		.amdhsa_exception_fp_ieee_inexact 0
		.amdhsa_exception_int_div_zero 0
	.end_amdhsa_kernel
	.section	.text._ZN7rocprim17ROCPRIM_400000_NS6detail17trampoline_kernelINS0_14default_configENS1_27scan_by_key_config_selectorIllEEZZNS1_16scan_by_key_implILNS1_25lookback_scan_determinismE0ELb0ES3_PKlN6hipcub16HIPCUB_304000_NS21ConstantInputIteratorIllEEPllNSB_3SumENSB_8EqualityElEE10hipError_tPvRmT2_T3_T4_T5_mT6_T7_P12ihipStream_tbENKUlT_T0_E_clISt17integral_constantIbLb1EESX_EEDaSS_ST_EUlSS_E_NS1_11comp_targetILNS1_3genE3ELNS1_11target_archE908ELNS1_3gpuE7ELNS1_3repE0EEENS1_30default_config_static_selectorELNS0_4arch9wavefront6targetE0EEEvT1_,"axG",@progbits,_ZN7rocprim17ROCPRIM_400000_NS6detail17trampoline_kernelINS0_14default_configENS1_27scan_by_key_config_selectorIllEEZZNS1_16scan_by_key_implILNS1_25lookback_scan_determinismE0ELb0ES3_PKlN6hipcub16HIPCUB_304000_NS21ConstantInputIteratorIllEEPllNSB_3SumENSB_8EqualityElEE10hipError_tPvRmT2_T3_T4_T5_mT6_T7_P12ihipStream_tbENKUlT_T0_E_clISt17integral_constantIbLb1EESX_EEDaSS_ST_EUlSS_E_NS1_11comp_targetILNS1_3genE3ELNS1_11target_archE908ELNS1_3gpuE7ELNS1_3repE0EEENS1_30default_config_static_selectorELNS0_4arch9wavefront6targetE0EEEvT1_,comdat
.Lfunc_end109:
	.size	_ZN7rocprim17ROCPRIM_400000_NS6detail17trampoline_kernelINS0_14default_configENS1_27scan_by_key_config_selectorIllEEZZNS1_16scan_by_key_implILNS1_25lookback_scan_determinismE0ELb0ES3_PKlN6hipcub16HIPCUB_304000_NS21ConstantInputIteratorIllEEPllNSB_3SumENSB_8EqualityElEE10hipError_tPvRmT2_T3_T4_T5_mT6_T7_P12ihipStream_tbENKUlT_T0_E_clISt17integral_constantIbLb1EESX_EEDaSS_ST_EUlSS_E_NS1_11comp_targetILNS1_3genE3ELNS1_11target_archE908ELNS1_3gpuE7ELNS1_3repE0EEENS1_30default_config_static_selectorELNS0_4arch9wavefront6targetE0EEEvT1_, .Lfunc_end109-_ZN7rocprim17ROCPRIM_400000_NS6detail17trampoline_kernelINS0_14default_configENS1_27scan_by_key_config_selectorIllEEZZNS1_16scan_by_key_implILNS1_25lookback_scan_determinismE0ELb0ES3_PKlN6hipcub16HIPCUB_304000_NS21ConstantInputIteratorIllEEPllNSB_3SumENSB_8EqualityElEE10hipError_tPvRmT2_T3_T4_T5_mT6_T7_P12ihipStream_tbENKUlT_T0_E_clISt17integral_constantIbLb1EESX_EEDaSS_ST_EUlSS_E_NS1_11comp_targetILNS1_3genE3ELNS1_11target_archE908ELNS1_3gpuE7ELNS1_3repE0EEENS1_30default_config_static_selectorELNS0_4arch9wavefront6targetE0EEEvT1_
                                        ; -- End function
	.set _ZN7rocprim17ROCPRIM_400000_NS6detail17trampoline_kernelINS0_14default_configENS1_27scan_by_key_config_selectorIllEEZZNS1_16scan_by_key_implILNS1_25lookback_scan_determinismE0ELb0ES3_PKlN6hipcub16HIPCUB_304000_NS21ConstantInputIteratorIllEEPllNSB_3SumENSB_8EqualityElEE10hipError_tPvRmT2_T3_T4_T5_mT6_T7_P12ihipStream_tbENKUlT_T0_E_clISt17integral_constantIbLb1EESX_EEDaSS_ST_EUlSS_E_NS1_11comp_targetILNS1_3genE3ELNS1_11target_archE908ELNS1_3gpuE7ELNS1_3repE0EEENS1_30default_config_static_selectorELNS0_4arch9wavefront6targetE0EEEvT1_.num_vgpr, 0
	.set _ZN7rocprim17ROCPRIM_400000_NS6detail17trampoline_kernelINS0_14default_configENS1_27scan_by_key_config_selectorIllEEZZNS1_16scan_by_key_implILNS1_25lookback_scan_determinismE0ELb0ES3_PKlN6hipcub16HIPCUB_304000_NS21ConstantInputIteratorIllEEPllNSB_3SumENSB_8EqualityElEE10hipError_tPvRmT2_T3_T4_T5_mT6_T7_P12ihipStream_tbENKUlT_T0_E_clISt17integral_constantIbLb1EESX_EEDaSS_ST_EUlSS_E_NS1_11comp_targetILNS1_3genE3ELNS1_11target_archE908ELNS1_3gpuE7ELNS1_3repE0EEENS1_30default_config_static_selectorELNS0_4arch9wavefront6targetE0EEEvT1_.num_agpr, 0
	.set _ZN7rocprim17ROCPRIM_400000_NS6detail17trampoline_kernelINS0_14default_configENS1_27scan_by_key_config_selectorIllEEZZNS1_16scan_by_key_implILNS1_25lookback_scan_determinismE0ELb0ES3_PKlN6hipcub16HIPCUB_304000_NS21ConstantInputIteratorIllEEPllNSB_3SumENSB_8EqualityElEE10hipError_tPvRmT2_T3_T4_T5_mT6_T7_P12ihipStream_tbENKUlT_T0_E_clISt17integral_constantIbLb1EESX_EEDaSS_ST_EUlSS_E_NS1_11comp_targetILNS1_3genE3ELNS1_11target_archE908ELNS1_3gpuE7ELNS1_3repE0EEENS1_30default_config_static_selectorELNS0_4arch9wavefront6targetE0EEEvT1_.numbered_sgpr, 0
	.set _ZN7rocprim17ROCPRIM_400000_NS6detail17trampoline_kernelINS0_14default_configENS1_27scan_by_key_config_selectorIllEEZZNS1_16scan_by_key_implILNS1_25lookback_scan_determinismE0ELb0ES3_PKlN6hipcub16HIPCUB_304000_NS21ConstantInputIteratorIllEEPllNSB_3SumENSB_8EqualityElEE10hipError_tPvRmT2_T3_T4_T5_mT6_T7_P12ihipStream_tbENKUlT_T0_E_clISt17integral_constantIbLb1EESX_EEDaSS_ST_EUlSS_E_NS1_11comp_targetILNS1_3genE3ELNS1_11target_archE908ELNS1_3gpuE7ELNS1_3repE0EEENS1_30default_config_static_selectorELNS0_4arch9wavefront6targetE0EEEvT1_.num_named_barrier, 0
	.set _ZN7rocprim17ROCPRIM_400000_NS6detail17trampoline_kernelINS0_14default_configENS1_27scan_by_key_config_selectorIllEEZZNS1_16scan_by_key_implILNS1_25lookback_scan_determinismE0ELb0ES3_PKlN6hipcub16HIPCUB_304000_NS21ConstantInputIteratorIllEEPllNSB_3SumENSB_8EqualityElEE10hipError_tPvRmT2_T3_T4_T5_mT6_T7_P12ihipStream_tbENKUlT_T0_E_clISt17integral_constantIbLb1EESX_EEDaSS_ST_EUlSS_E_NS1_11comp_targetILNS1_3genE3ELNS1_11target_archE908ELNS1_3gpuE7ELNS1_3repE0EEENS1_30default_config_static_selectorELNS0_4arch9wavefront6targetE0EEEvT1_.private_seg_size, 0
	.set _ZN7rocprim17ROCPRIM_400000_NS6detail17trampoline_kernelINS0_14default_configENS1_27scan_by_key_config_selectorIllEEZZNS1_16scan_by_key_implILNS1_25lookback_scan_determinismE0ELb0ES3_PKlN6hipcub16HIPCUB_304000_NS21ConstantInputIteratorIllEEPllNSB_3SumENSB_8EqualityElEE10hipError_tPvRmT2_T3_T4_T5_mT6_T7_P12ihipStream_tbENKUlT_T0_E_clISt17integral_constantIbLb1EESX_EEDaSS_ST_EUlSS_E_NS1_11comp_targetILNS1_3genE3ELNS1_11target_archE908ELNS1_3gpuE7ELNS1_3repE0EEENS1_30default_config_static_selectorELNS0_4arch9wavefront6targetE0EEEvT1_.uses_vcc, 0
	.set _ZN7rocprim17ROCPRIM_400000_NS6detail17trampoline_kernelINS0_14default_configENS1_27scan_by_key_config_selectorIllEEZZNS1_16scan_by_key_implILNS1_25lookback_scan_determinismE0ELb0ES3_PKlN6hipcub16HIPCUB_304000_NS21ConstantInputIteratorIllEEPllNSB_3SumENSB_8EqualityElEE10hipError_tPvRmT2_T3_T4_T5_mT6_T7_P12ihipStream_tbENKUlT_T0_E_clISt17integral_constantIbLb1EESX_EEDaSS_ST_EUlSS_E_NS1_11comp_targetILNS1_3genE3ELNS1_11target_archE908ELNS1_3gpuE7ELNS1_3repE0EEENS1_30default_config_static_selectorELNS0_4arch9wavefront6targetE0EEEvT1_.uses_flat_scratch, 0
	.set _ZN7rocprim17ROCPRIM_400000_NS6detail17trampoline_kernelINS0_14default_configENS1_27scan_by_key_config_selectorIllEEZZNS1_16scan_by_key_implILNS1_25lookback_scan_determinismE0ELb0ES3_PKlN6hipcub16HIPCUB_304000_NS21ConstantInputIteratorIllEEPllNSB_3SumENSB_8EqualityElEE10hipError_tPvRmT2_T3_T4_T5_mT6_T7_P12ihipStream_tbENKUlT_T0_E_clISt17integral_constantIbLb1EESX_EEDaSS_ST_EUlSS_E_NS1_11comp_targetILNS1_3genE3ELNS1_11target_archE908ELNS1_3gpuE7ELNS1_3repE0EEENS1_30default_config_static_selectorELNS0_4arch9wavefront6targetE0EEEvT1_.has_dyn_sized_stack, 0
	.set _ZN7rocprim17ROCPRIM_400000_NS6detail17trampoline_kernelINS0_14default_configENS1_27scan_by_key_config_selectorIllEEZZNS1_16scan_by_key_implILNS1_25lookback_scan_determinismE0ELb0ES3_PKlN6hipcub16HIPCUB_304000_NS21ConstantInputIteratorIllEEPllNSB_3SumENSB_8EqualityElEE10hipError_tPvRmT2_T3_T4_T5_mT6_T7_P12ihipStream_tbENKUlT_T0_E_clISt17integral_constantIbLb1EESX_EEDaSS_ST_EUlSS_E_NS1_11comp_targetILNS1_3genE3ELNS1_11target_archE908ELNS1_3gpuE7ELNS1_3repE0EEENS1_30default_config_static_selectorELNS0_4arch9wavefront6targetE0EEEvT1_.has_recursion, 0
	.set _ZN7rocprim17ROCPRIM_400000_NS6detail17trampoline_kernelINS0_14default_configENS1_27scan_by_key_config_selectorIllEEZZNS1_16scan_by_key_implILNS1_25lookback_scan_determinismE0ELb0ES3_PKlN6hipcub16HIPCUB_304000_NS21ConstantInputIteratorIllEEPllNSB_3SumENSB_8EqualityElEE10hipError_tPvRmT2_T3_T4_T5_mT6_T7_P12ihipStream_tbENKUlT_T0_E_clISt17integral_constantIbLb1EESX_EEDaSS_ST_EUlSS_E_NS1_11comp_targetILNS1_3genE3ELNS1_11target_archE908ELNS1_3gpuE7ELNS1_3repE0EEENS1_30default_config_static_selectorELNS0_4arch9wavefront6targetE0EEEvT1_.has_indirect_call, 0
	.section	.AMDGPU.csdata,"",@progbits
; Kernel info:
; codeLenInByte = 0
; TotalNumSgprs: 0
; NumVgprs: 0
; ScratchSize: 0
; MemoryBound: 0
; FloatMode: 240
; IeeeMode: 1
; LDSByteSize: 0 bytes/workgroup (compile time only)
; SGPRBlocks: 0
; VGPRBlocks: 0
; NumSGPRsForWavesPerEU: 1
; NumVGPRsForWavesPerEU: 1
; NamedBarCnt: 0
; Occupancy: 16
; WaveLimiterHint : 0
; COMPUTE_PGM_RSRC2:SCRATCH_EN: 0
; COMPUTE_PGM_RSRC2:USER_SGPR: 2
; COMPUTE_PGM_RSRC2:TRAP_HANDLER: 0
; COMPUTE_PGM_RSRC2:TGID_X_EN: 1
; COMPUTE_PGM_RSRC2:TGID_Y_EN: 0
; COMPUTE_PGM_RSRC2:TGID_Z_EN: 0
; COMPUTE_PGM_RSRC2:TIDIG_COMP_CNT: 0
	.section	.text._ZN7rocprim17ROCPRIM_400000_NS6detail17trampoline_kernelINS0_14default_configENS1_27scan_by_key_config_selectorIllEEZZNS1_16scan_by_key_implILNS1_25lookback_scan_determinismE0ELb0ES3_PKlN6hipcub16HIPCUB_304000_NS21ConstantInputIteratorIllEEPllNSB_3SumENSB_8EqualityElEE10hipError_tPvRmT2_T3_T4_T5_mT6_T7_P12ihipStream_tbENKUlT_T0_E_clISt17integral_constantIbLb1EESX_EEDaSS_ST_EUlSS_E_NS1_11comp_targetILNS1_3genE2ELNS1_11target_archE906ELNS1_3gpuE6ELNS1_3repE0EEENS1_30default_config_static_selectorELNS0_4arch9wavefront6targetE0EEEvT1_,"axG",@progbits,_ZN7rocprim17ROCPRIM_400000_NS6detail17trampoline_kernelINS0_14default_configENS1_27scan_by_key_config_selectorIllEEZZNS1_16scan_by_key_implILNS1_25lookback_scan_determinismE0ELb0ES3_PKlN6hipcub16HIPCUB_304000_NS21ConstantInputIteratorIllEEPllNSB_3SumENSB_8EqualityElEE10hipError_tPvRmT2_T3_T4_T5_mT6_T7_P12ihipStream_tbENKUlT_T0_E_clISt17integral_constantIbLb1EESX_EEDaSS_ST_EUlSS_E_NS1_11comp_targetILNS1_3genE2ELNS1_11target_archE906ELNS1_3gpuE6ELNS1_3repE0EEENS1_30default_config_static_selectorELNS0_4arch9wavefront6targetE0EEEvT1_,comdat
	.protected	_ZN7rocprim17ROCPRIM_400000_NS6detail17trampoline_kernelINS0_14default_configENS1_27scan_by_key_config_selectorIllEEZZNS1_16scan_by_key_implILNS1_25lookback_scan_determinismE0ELb0ES3_PKlN6hipcub16HIPCUB_304000_NS21ConstantInputIteratorIllEEPllNSB_3SumENSB_8EqualityElEE10hipError_tPvRmT2_T3_T4_T5_mT6_T7_P12ihipStream_tbENKUlT_T0_E_clISt17integral_constantIbLb1EESX_EEDaSS_ST_EUlSS_E_NS1_11comp_targetILNS1_3genE2ELNS1_11target_archE906ELNS1_3gpuE6ELNS1_3repE0EEENS1_30default_config_static_selectorELNS0_4arch9wavefront6targetE0EEEvT1_ ; -- Begin function _ZN7rocprim17ROCPRIM_400000_NS6detail17trampoline_kernelINS0_14default_configENS1_27scan_by_key_config_selectorIllEEZZNS1_16scan_by_key_implILNS1_25lookback_scan_determinismE0ELb0ES3_PKlN6hipcub16HIPCUB_304000_NS21ConstantInputIteratorIllEEPllNSB_3SumENSB_8EqualityElEE10hipError_tPvRmT2_T3_T4_T5_mT6_T7_P12ihipStream_tbENKUlT_T0_E_clISt17integral_constantIbLb1EESX_EEDaSS_ST_EUlSS_E_NS1_11comp_targetILNS1_3genE2ELNS1_11target_archE906ELNS1_3gpuE6ELNS1_3repE0EEENS1_30default_config_static_selectorELNS0_4arch9wavefront6targetE0EEEvT1_
	.globl	_ZN7rocprim17ROCPRIM_400000_NS6detail17trampoline_kernelINS0_14default_configENS1_27scan_by_key_config_selectorIllEEZZNS1_16scan_by_key_implILNS1_25lookback_scan_determinismE0ELb0ES3_PKlN6hipcub16HIPCUB_304000_NS21ConstantInputIteratorIllEEPllNSB_3SumENSB_8EqualityElEE10hipError_tPvRmT2_T3_T4_T5_mT6_T7_P12ihipStream_tbENKUlT_T0_E_clISt17integral_constantIbLb1EESX_EEDaSS_ST_EUlSS_E_NS1_11comp_targetILNS1_3genE2ELNS1_11target_archE906ELNS1_3gpuE6ELNS1_3repE0EEENS1_30default_config_static_selectorELNS0_4arch9wavefront6targetE0EEEvT1_
	.p2align	8
	.type	_ZN7rocprim17ROCPRIM_400000_NS6detail17trampoline_kernelINS0_14default_configENS1_27scan_by_key_config_selectorIllEEZZNS1_16scan_by_key_implILNS1_25lookback_scan_determinismE0ELb0ES3_PKlN6hipcub16HIPCUB_304000_NS21ConstantInputIteratorIllEEPllNSB_3SumENSB_8EqualityElEE10hipError_tPvRmT2_T3_T4_T5_mT6_T7_P12ihipStream_tbENKUlT_T0_E_clISt17integral_constantIbLb1EESX_EEDaSS_ST_EUlSS_E_NS1_11comp_targetILNS1_3genE2ELNS1_11target_archE906ELNS1_3gpuE6ELNS1_3repE0EEENS1_30default_config_static_selectorELNS0_4arch9wavefront6targetE0EEEvT1_,@function
_ZN7rocprim17ROCPRIM_400000_NS6detail17trampoline_kernelINS0_14default_configENS1_27scan_by_key_config_selectorIllEEZZNS1_16scan_by_key_implILNS1_25lookback_scan_determinismE0ELb0ES3_PKlN6hipcub16HIPCUB_304000_NS21ConstantInputIteratorIllEEPllNSB_3SumENSB_8EqualityElEE10hipError_tPvRmT2_T3_T4_T5_mT6_T7_P12ihipStream_tbENKUlT_T0_E_clISt17integral_constantIbLb1EESX_EEDaSS_ST_EUlSS_E_NS1_11comp_targetILNS1_3genE2ELNS1_11target_archE906ELNS1_3gpuE6ELNS1_3repE0EEENS1_30default_config_static_selectorELNS0_4arch9wavefront6targetE0EEEvT1_: ; @_ZN7rocprim17ROCPRIM_400000_NS6detail17trampoline_kernelINS0_14default_configENS1_27scan_by_key_config_selectorIllEEZZNS1_16scan_by_key_implILNS1_25lookback_scan_determinismE0ELb0ES3_PKlN6hipcub16HIPCUB_304000_NS21ConstantInputIteratorIllEEPllNSB_3SumENSB_8EqualityElEE10hipError_tPvRmT2_T3_T4_T5_mT6_T7_P12ihipStream_tbENKUlT_T0_E_clISt17integral_constantIbLb1EESX_EEDaSS_ST_EUlSS_E_NS1_11comp_targetILNS1_3genE2ELNS1_11target_archE906ELNS1_3gpuE6ELNS1_3repE0EEENS1_30default_config_static_selectorELNS0_4arch9wavefront6targetE0EEEvT1_
; %bb.0:
	.section	.rodata,"a",@progbits
	.p2align	6, 0x0
	.amdhsa_kernel _ZN7rocprim17ROCPRIM_400000_NS6detail17trampoline_kernelINS0_14default_configENS1_27scan_by_key_config_selectorIllEEZZNS1_16scan_by_key_implILNS1_25lookback_scan_determinismE0ELb0ES3_PKlN6hipcub16HIPCUB_304000_NS21ConstantInputIteratorIllEEPllNSB_3SumENSB_8EqualityElEE10hipError_tPvRmT2_T3_T4_T5_mT6_T7_P12ihipStream_tbENKUlT_T0_E_clISt17integral_constantIbLb1EESX_EEDaSS_ST_EUlSS_E_NS1_11comp_targetILNS1_3genE2ELNS1_11target_archE906ELNS1_3gpuE6ELNS1_3repE0EEENS1_30default_config_static_selectorELNS0_4arch9wavefront6targetE0EEEvT1_
		.amdhsa_group_segment_fixed_size 0
		.amdhsa_private_segment_fixed_size 0
		.amdhsa_kernarg_size 144
		.amdhsa_user_sgpr_count 2
		.amdhsa_user_sgpr_dispatch_ptr 0
		.amdhsa_user_sgpr_queue_ptr 0
		.amdhsa_user_sgpr_kernarg_segment_ptr 1
		.amdhsa_user_sgpr_dispatch_id 0
		.amdhsa_user_sgpr_kernarg_preload_length 0
		.amdhsa_user_sgpr_kernarg_preload_offset 0
		.amdhsa_user_sgpr_private_segment_size 0
		.amdhsa_wavefront_size32 1
		.amdhsa_uses_dynamic_stack 0
		.amdhsa_enable_private_segment 0
		.amdhsa_system_sgpr_workgroup_id_x 1
		.amdhsa_system_sgpr_workgroup_id_y 0
		.amdhsa_system_sgpr_workgroup_id_z 0
		.amdhsa_system_sgpr_workgroup_info 0
		.amdhsa_system_vgpr_workitem_id 0
		.amdhsa_next_free_vgpr 1
		.amdhsa_next_free_sgpr 1
		.amdhsa_named_barrier_count 0
		.amdhsa_reserve_vcc 0
		.amdhsa_float_round_mode_32 0
		.amdhsa_float_round_mode_16_64 0
		.amdhsa_float_denorm_mode_32 3
		.amdhsa_float_denorm_mode_16_64 3
		.amdhsa_fp16_overflow 0
		.amdhsa_memory_ordered 1
		.amdhsa_forward_progress 1
		.amdhsa_inst_pref_size 0
		.amdhsa_round_robin_scheduling 0
		.amdhsa_exception_fp_ieee_invalid_op 0
		.amdhsa_exception_fp_denorm_src 0
		.amdhsa_exception_fp_ieee_div_zero 0
		.amdhsa_exception_fp_ieee_overflow 0
		.amdhsa_exception_fp_ieee_underflow 0
		.amdhsa_exception_fp_ieee_inexact 0
		.amdhsa_exception_int_div_zero 0
	.end_amdhsa_kernel
	.section	.text._ZN7rocprim17ROCPRIM_400000_NS6detail17trampoline_kernelINS0_14default_configENS1_27scan_by_key_config_selectorIllEEZZNS1_16scan_by_key_implILNS1_25lookback_scan_determinismE0ELb0ES3_PKlN6hipcub16HIPCUB_304000_NS21ConstantInputIteratorIllEEPllNSB_3SumENSB_8EqualityElEE10hipError_tPvRmT2_T3_T4_T5_mT6_T7_P12ihipStream_tbENKUlT_T0_E_clISt17integral_constantIbLb1EESX_EEDaSS_ST_EUlSS_E_NS1_11comp_targetILNS1_3genE2ELNS1_11target_archE906ELNS1_3gpuE6ELNS1_3repE0EEENS1_30default_config_static_selectorELNS0_4arch9wavefront6targetE0EEEvT1_,"axG",@progbits,_ZN7rocprim17ROCPRIM_400000_NS6detail17trampoline_kernelINS0_14default_configENS1_27scan_by_key_config_selectorIllEEZZNS1_16scan_by_key_implILNS1_25lookback_scan_determinismE0ELb0ES3_PKlN6hipcub16HIPCUB_304000_NS21ConstantInputIteratorIllEEPllNSB_3SumENSB_8EqualityElEE10hipError_tPvRmT2_T3_T4_T5_mT6_T7_P12ihipStream_tbENKUlT_T0_E_clISt17integral_constantIbLb1EESX_EEDaSS_ST_EUlSS_E_NS1_11comp_targetILNS1_3genE2ELNS1_11target_archE906ELNS1_3gpuE6ELNS1_3repE0EEENS1_30default_config_static_selectorELNS0_4arch9wavefront6targetE0EEEvT1_,comdat
.Lfunc_end110:
	.size	_ZN7rocprim17ROCPRIM_400000_NS6detail17trampoline_kernelINS0_14default_configENS1_27scan_by_key_config_selectorIllEEZZNS1_16scan_by_key_implILNS1_25lookback_scan_determinismE0ELb0ES3_PKlN6hipcub16HIPCUB_304000_NS21ConstantInputIteratorIllEEPllNSB_3SumENSB_8EqualityElEE10hipError_tPvRmT2_T3_T4_T5_mT6_T7_P12ihipStream_tbENKUlT_T0_E_clISt17integral_constantIbLb1EESX_EEDaSS_ST_EUlSS_E_NS1_11comp_targetILNS1_3genE2ELNS1_11target_archE906ELNS1_3gpuE6ELNS1_3repE0EEENS1_30default_config_static_selectorELNS0_4arch9wavefront6targetE0EEEvT1_, .Lfunc_end110-_ZN7rocprim17ROCPRIM_400000_NS6detail17trampoline_kernelINS0_14default_configENS1_27scan_by_key_config_selectorIllEEZZNS1_16scan_by_key_implILNS1_25lookback_scan_determinismE0ELb0ES3_PKlN6hipcub16HIPCUB_304000_NS21ConstantInputIteratorIllEEPllNSB_3SumENSB_8EqualityElEE10hipError_tPvRmT2_T3_T4_T5_mT6_T7_P12ihipStream_tbENKUlT_T0_E_clISt17integral_constantIbLb1EESX_EEDaSS_ST_EUlSS_E_NS1_11comp_targetILNS1_3genE2ELNS1_11target_archE906ELNS1_3gpuE6ELNS1_3repE0EEENS1_30default_config_static_selectorELNS0_4arch9wavefront6targetE0EEEvT1_
                                        ; -- End function
	.set _ZN7rocprim17ROCPRIM_400000_NS6detail17trampoline_kernelINS0_14default_configENS1_27scan_by_key_config_selectorIllEEZZNS1_16scan_by_key_implILNS1_25lookback_scan_determinismE0ELb0ES3_PKlN6hipcub16HIPCUB_304000_NS21ConstantInputIteratorIllEEPllNSB_3SumENSB_8EqualityElEE10hipError_tPvRmT2_T3_T4_T5_mT6_T7_P12ihipStream_tbENKUlT_T0_E_clISt17integral_constantIbLb1EESX_EEDaSS_ST_EUlSS_E_NS1_11comp_targetILNS1_3genE2ELNS1_11target_archE906ELNS1_3gpuE6ELNS1_3repE0EEENS1_30default_config_static_selectorELNS0_4arch9wavefront6targetE0EEEvT1_.num_vgpr, 0
	.set _ZN7rocprim17ROCPRIM_400000_NS6detail17trampoline_kernelINS0_14default_configENS1_27scan_by_key_config_selectorIllEEZZNS1_16scan_by_key_implILNS1_25lookback_scan_determinismE0ELb0ES3_PKlN6hipcub16HIPCUB_304000_NS21ConstantInputIteratorIllEEPllNSB_3SumENSB_8EqualityElEE10hipError_tPvRmT2_T3_T4_T5_mT6_T7_P12ihipStream_tbENKUlT_T0_E_clISt17integral_constantIbLb1EESX_EEDaSS_ST_EUlSS_E_NS1_11comp_targetILNS1_3genE2ELNS1_11target_archE906ELNS1_3gpuE6ELNS1_3repE0EEENS1_30default_config_static_selectorELNS0_4arch9wavefront6targetE0EEEvT1_.num_agpr, 0
	.set _ZN7rocprim17ROCPRIM_400000_NS6detail17trampoline_kernelINS0_14default_configENS1_27scan_by_key_config_selectorIllEEZZNS1_16scan_by_key_implILNS1_25lookback_scan_determinismE0ELb0ES3_PKlN6hipcub16HIPCUB_304000_NS21ConstantInputIteratorIllEEPllNSB_3SumENSB_8EqualityElEE10hipError_tPvRmT2_T3_T4_T5_mT6_T7_P12ihipStream_tbENKUlT_T0_E_clISt17integral_constantIbLb1EESX_EEDaSS_ST_EUlSS_E_NS1_11comp_targetILNS1_3genE2ELNS1_11target_archE906ELNS1_3gpuE6ELNS1_3repE0EEENS1_30default_config_static_selectorELNS0_4arch9wavefront6targetE0EEEvT1_.numbered_sgpr, 0
	.set _ZN7rocprim17ROCPRIM_400000_NS6detail17trampoline_kernelINS0_14default_configENS1_27scan_by_key_config_selectorIllEEZZNS1_16scan_by_key_implILNS1_25lookback_scan_determinismE0ELb0ES3_PKlN6hipcub16HIPCUB_304000_NS21ConstantInputIteratorIllEEPllNSB_3SumENSB_8EqualityElEE10hipError_tPvRmT2_T3_T4_T5_mT6_T7_P12ihipStream_tbENKUlT_T0_E_clISt17integral_constantIbLb1EESX_EEDaSS_ST_EUlSS_E_NS1_11comp_targetILNS1_3genE2ELNS1_11target_archE906ELNS1_3gpuE6ELNS1_3repE0EEENS1_30default_config_static_selectorELNS0_4arch9wavefront6targetE0EEEvT1_.num_named_barrier, 0
	.set _ZN7rocprim17ROCPRIM_400000_NS6detail17trampoline_kernelINS0_14default_configENS1_27scan_by_key_config_selectorIllEEZZNS1_16scan_by_key_implILNS1_25lookback_scan_determinismE0ELb0ES3_PKlN6hipcub16HIPCUB_304000_NS21ConstantInputIteratorIllEEPllNSB_3SumENSB_8EqualityElEE10hipError_tPvRmT2_T3_T4_T5_mT6_T7_P12ihipStream_tbENKUlT_T0_E_clISt17integral_constantIbLb1EESX_EEDaSS_ST_EUlSS_E_NS1_11comp_targetILNS1_3genE2ELNS1_11target_archE906ELNS1_3gpuE6ELNS1_3repE0EEENS1_30default_config_static_selectorELNS0_4arch9wavefront6targetE0EEEvT1_.private_seg_size, 0
	.set _ZN7rocprim17ROCPRIM_400000_NS6detail17trampoline_kernelINS0_14default_configENS1_27scan_by_key_config_selectorIllEEZZNS1_16scan_by_key_implILNS1_25lookback_scan_determinismE0ELb0ES3_PKlN6hipcub16HIPCUB_304000_NS21ConstantInputIteratorIllEEPllNSB_3SumENSB_8EqualityElEE10hipError_tPvRmT2_T3_T4_T5_mT6_T7_P12ihipStream_tbENKUlT_T0_E_clISt17integral_constantIbLb1EESX_EEDaSS_ST_EUlSS_E_NS1_11comp_targetILNS1_3genE2ELNS1_11target_archE906ELNS1_3gpuE6ELNS1_3repE0EEENS1_30default_config_static_selectorELNS0_4arch9wavefront6targetE0EEEvT1_.uses_vcc, 0
	.set _ZN7rocprim17ROCPRIM_400000_NS6detail17trampoline_kernelINS0_14default_configENS1_27scan_by_key_config_selectorIllEEZZNS1_16scan_by_key_implILNS1_25lookback_scan_determinismE0ELb0ES3_PKlN6hipcub16HIPCUB_304000_NS21ConstantInputIteratorIllEEPllNSB_3SumENSB_8EqualityElEE10hipError_tPvRmT2_T3_T4_T5_mT6_T7_P12ihipStream_tbENKUlT_T0_E_clISt17integral_constantIbLb1EESX_EEDaSS_ST_EUlSS_E_NS1_11comp_targetILNS1_3genE2ELNS1_11target_archE906ELNS1_3gpuE6ELNS1_3repE0EEENS1_30default_config_static_selectorELNS0_4arch9wavefront6targetE0EEEvT1_.uses_flat_scratch, 0
	.set _ZN7rocprim17ROCPRIM_400000_NS6detail17trampoline_kernelINS0_14default_configENS1_27scan_by_key_config_selectorIllEEZZNS1_16scan_by_key_implILNS1_25lookback_scan_determinismE0ELb0ES3_PKlN6hipcub16HIPCUB_304000_NS21ConstantInputIteratorIllEEPllNSB_3SumENSB_8EqualityElEE10hipError_tPvRmT2_T3_T4_T5_mT6_T7_P12ihipStream_tbENKUlT_T0_E_clISt17integral_constantIbLb1EESX_EEDaSS_ST_EUlSS_E_NS1_11comp_targetILNS1_3genE2ELNS1_11target_archE906ELNS1_3gpuE6ELNS1_3repE0EEENS1_30default_config_static_selectorELNS0_4arch9wavefront6targetE0EEEvT1_.has_dyn_sized_stack, 0
	.set _ZN7rocprim17ROCPRIM_400000_NS6detail17trampoline_kernelINS0_14default_configENS1_27scan_by_key_config_selectorIllEEZZNS1_16scan_by_key_implILNS1_25lookback_scan_determinismE0ELb0ES3_PKlN6hipcub16HIPCUB_304000_NS21ConstantInputIteratorIllEEPllNSB_3SumENSB_8EqualityElEE10hipError_tPvRmT2_T3_T4_T5_mT6_T7_P12ihipStream_tbENKUlT_T0_E_clISt17integral_constantIbLb1EESX_EEDaSS_ST_EUlSS_E_NS1_11comp_targetILNS1_3genE2ELNS1_11target_archE906ELNS1_3gpuE6ELNS1_3repE0EEENS1_30default_config_static_selectorELNS0_4arch9wavefront6targetE0EEEvT1_.has_recursion, 0
	.set _ZN7rocprim17ROCPRIM_400000_NS6detail17trampoline_kernelINS0_14default_configENS1_27scan_by_key_config_selectorIllEEZZNS1_16scan_by_key_implILNS1_25lookback_scan_determinismE0ELb0ES3_PKlN6hipcub16HIPCUB_304000_NS21ConstantInputIteratorIllEEPllNSB_3SumENSB_8EqualityElEE10hipError_tPvRmT2_T3_T4_T5_mT6_T7_P12ihipStream_tbENKUlT_T0_E_clISt17integral_constantIbLb1EESX_EEDaSS_ST_EUlSS_E_NS1_11comp_targetILNS1_3genE2ELNS1_11target_archE906ELNS1_3gpuE6ELNS1_3repE0EEENS1_30default_config_static_selectorELNS0_4arch9wavefront6targetE0EEEvT1_.has_indirect_call, 0
	.section	.AMDGPU.csdata,"",@progbits
; Kernel info:
; codeLenInByte = 0
; TotalNumSgprs: 0
; NumVgprs: 0
; ScratchSize: 0
; MemoryBound: 0
; FloatMode: 240
; IeeeMode: 1
; LDSByteSize: 0 bytes/workgroup (compile time only)
; SGPRBlocks: 0
; VGPRBlocks: 0
; NumSGPRsForWavesPerEU: 1
; NumVGPRsForWavesPerEU: 1
; NamedBarCnt: 0
; Occupancy: 16
; WaveLimiterHint : 0
; COMPUTE_PGM_RSRC2:SCRATCH_EN: 0
; COMPUTE_PGM_RSRC2:USER_SGPR: 2
; COMPUTE_PGM_RSRC2:TRAP_HANDLER: 0
; COMPUTE_PGM_RSRC2:TGID_X_EN: 1
; COMPUTE_PGM_RSRC2:TGID_Y_EN: 0
; COMPUTE_PGM_RSRC2:TGID_Z_EN: 0
; COMPUTE_PGM_RSRC2:TIDIG_COMP_CNT: 0
	.section	.text._ZN7rocprim17ROCPRIM_400000_NS6detail17trampoline_kernelINS0_14default_configENS1_27scan_by_key_config_selectorIllEEZZNS1_16scan_by_key_implILNS1_25lookback_scan_determinismE0ELb0ES3_PKlN6hipcub16HIPCUB_304000_NS21ConstantInputIteratorIllEEPllNSB_3SumENSB_8EqualityElEE10hipError_tPvRmT2_T3_T4_T5_mT6_T7_P12ihipStream_tbENKUlT_T0_E_clISt17integral_constantIbLb1EESX_EEDaSS_ST_EUlSS_E_NS1_11comp_targetILNS1_3genE10ELNS1_11target_archE1200ELNS1_3gpuE4ELNS1_3repE0EEENS1_30default_config_static_selectorELNS0_4arch9wavefront6targetE0EEEvT1_,"axG",@progbits,_ZN7rocprim17ROCPRIM_400000_NS6detail17trampoline_kernelINS0_14default_configENS1_27scan_by_key_config_selectorIllEEZZNS1_16scan_by_key_implILNS1_25lookback_scan_determinismE0ELb0ES3_PKlN6hipcub16HIPCUB_304000_NS21ConstantInputIteratorIllEEPllNSB_3SumENSB_8EqualityElEE10hipError_tPvRmT2_T3_T4_T5_mT6_T7_P12ihipStream_tbENKUlT_T0_E_clISt17integral_constantIbLb1EESX_EEDaSS_ST_EUlSS_E_NS1_11comp_targetILNS1_3genE10ELNS1_11target_archE1200ELNS1_3gpuE4ELNS1_3repE0EEENS1_30default_config_static_selectorELNS0_4arch9wavefront6targetE0EEEvT1_,comdat
	.protected	_ZN7rocprim17ROCPRIM_400000_NS6detail17trampoline_kernelINS0_14default_configENS1_27scan_by_key_config_selectorIllEEZZNS1_16scan_by_key_implILNS1_25lookback_scan_determinismE0ELb0ES3_PKlN6hipcub16HIPCUB_304000_NS21ConstantInputIteratorIllEEPllNSB_3SumENSB_8EqualityElEE10hipError_tPvRmT2_T3_T4_T5_mT6_T7_P12ihipStream_tbENKUlT_T0_E_clISt17integral_constantIbLb1EESX_EEDaSS_ST_EUlSS_E_NS1_11comp_targetILNS1_3genE10ELNS1_11target_archE1200ELNS1_3gpuE4ELNS1_3repE0EEENS1_30default_config_static_selectorELNS0_4arch9wavefront6targetE0EEEvT1_ ; -- Begin function _ZN7rocprim17ROCPRIM_400000_NS6detail17trampoline_kernelINS0_14default_configENS1_27scan_by_key_config_selectorIllEEZZNS1_16scan_by_key_implILNS1_25lookback_scan_determinismE0ELb0ES3_PKlN6hipcub16HIPCUB_304000_NS21ConstantInputIteratorIllEEPllNSB_3SumENSB_8EqualityElEE10hipError_tPvRmT2_T3_T4_T5_mT6_T7_P12ihipStream_tbENKUlT_T0_E_clISt17integral_constantIbLb1EESX_EEDaSS_ST_EUlSS_E_NS1_11comp_targetILNS1_3genE10ELNS1_11target_archE1200ELNS1_3gpuE4ELNS1_3repE0EEENS1_30default_config_static_selectorELNS0_4arch9wavefront6targetE0EEEvT1_
	.globl	_ZN7rocprim17ROCPRIM_400000_NS6detail17trampoline_kernelINS0_14default_configENS1_27scan_by_key_config_selectorIllEEZZNS1_16scan_by_key_implILNS1_25lookback_scan_determinismE0ELb0ES3_PKlN6hipcub16HIPCUB_304000_NS21ConstantInputIteratorIllEEPllNSB_3SumENSB_8EqualityElEE10hipError_tPvRmT2_T3_T4_T5_mT6_T7_P12ihipStream_tbENKUlT_T0_E_clISt17integral_constantIbLb1EESX_EEDaSS_ST_EUlSS_E_NS1_11comp_targetILNS1_3genE10ELNS1_11target_archE1200ELNS1_3gpuE4ELNS1_3repE0EEENS1_30default_config_static_selectorELNS0_4arch9wavefront6targetE0EEEvT1_
	.p2align	8
	.type	_ZN7rocprim17ROCPRIM_400000_NS6detail17trampoline_kernelINS0_14default_configENS1_27scan_by_key_config_selectorIllEEZZNS1_16scan_by_key_implILNS1_25lookback_scan_determinismE0ELb0ES3_PKlN6hipcub16HIPCUB_304000_NS21ConstantInputIteratorIllEEPllNSB_3SumENSB_8EqualityElEE10hipError_tPvRmT2_T3_T4_T5_mT6_T7_P12ihipStream_tbENKUlT_T0_E_clISt17integral_constantIbLb1EESX_EEDaSS_ST_EUlSS_E_NS1_11comp_targetILNS1_3genE10ELNS1_11target_archE1200ELNS1_3gpuE4ELNS1_3repE0EEENS1_30default_config_static_selectorELNS0_4arch9wavefront6targetE0EEEvT1_,@function
_ZN7rocprim17ROCPRIM_400000_NS6detail17trampoline_kernelINS0_14default_configENS1_27scan_by_key_config_selectorIllEEZZNS1_16scan_by_key_implILNS1_25lookback_scan_determinismE0ELb0ES3_PKlN6hipcub16HIPCUB_304000_NS21ConstantInputIteratorIllEEPllNSB_3SumENSB_8EqualityElEE10hipError_tPvRmT2_T3_T4_T5_mT6_T7_P12ihipStream_tbENKUlT_T0_E_clISt17integral_constantIbLb1EESX_EEDaSS_ST_EUlSS_E_NS1_11comp_targetILNS1_3genE10ELNS1_11target_archE1200ELNS1_3gpuE4ELNS1_3repE0EEENS1_30default_config_static_selectorELNS0_4arch9wavefront6targetE0EEEvT1_: ; @_ZN7rocprim17ROCPRIM_400000_NS6detail17trampoline_kernelINS0_14default_configENS1_27scan_by_key_config_selectorIllEEZZNS1_16scan_by_key_implILNS1_25lookback_scan_determinismE0ELb0ES3_PKlN6hipcub16HIPCUB_304000_NS21ConstantInputIteratorIllEEPllNSB_3SumENSB_8EqualityElEE10hipError_tPvRmT2_T3_T4_T5_mT6_T7_P12ihipStream_tbENKUlT_T0_E_clISt17integral_constantIbLb1EESX_EEDaSS_ST_EUlSS_E_NS1_11comp_targetILNS1_3genE10ELNS1_11target_archE1200ELNS1_3gpuE4ELNS1_3repE0EEENS1_30default_config_static_selectorELNS0_4arch9wavefront6targetE0EEEvT1_
; %bb.0:
	.section	.rodata,"a",@progbits
	.p2align	6, 0x0
	.amdhsa_kernel _ZN7rocprim17ROCPRIM_400000_NS6detail17trampoline_kernelINS0_14default_configENS1_27scan_by_key_config_selectorIllEEZZNS1_16scan_by_key_implILNS1_25lookback_scan_determinismE0ELb0ES3_PKlN6hipcub16HIPCUB_304000_NS21ConstantInputIteratorIllEEPllNSB_3SumENSB_8EqualityElEE10hipError_tPvRmT2_T3_T4_T5_mT6_T7_P12ihipStream_tbENKUlT_T0_E_clISt17integral_constantIbLb1EESX_EEDaSS_ST_EUlSS_E_NS1_11comp_targetILNS1_3genE10ELNS1_11target_archE1200ELNS1_3gpuE4ELNS1_3repE0EEENS1_30default_config_static_selectorELNS0_4arch9wavefront6targetE0EEEvT1_
		.amdhsa_group_segment_fixed_size 0
		.amdhsa_private_segment_fixed_size 0
		.amdhsa_kernarg_size 144
		.amdhsa_user_sgpr_count 2
		.amdhsa_user_sgpr_dispatch_ptr 0
		.amdhsa_user_sgpr_queue_ptr 0
		.amdhsa_user_sgpr_kernarg_segment_ptr 1
		.amdhsa_user_sgpr_dispatch_id 0
		.amdhsa_user_sgpr_kernarg_preload_length 0
		.amdhsa_user_sgpr_kernarg_preload_offset 0
		.amdhsa_user_sgpr_private_segment_size 0
		.amdhsa_wavefront_size32 1
		.amdhsa_uses_dynamic_stack 0
		.amdhsa_enable_private_segment 0
		.amdhsa_system_sgpr_workgroup_id_x 1
		.amdhsa_system_sgpr_workgroup_id_y 0
		.amdhsa_system_sgpr_workgroup_id_z 0
		.amdhsa_system_sgpr_workgroup_info 0
		.amdhsa_system_vgpr_workitem_id 0
		.amdhsa_next_free_vgpr 1
		.amdhsa_next_free_sgpr 1
		.amdhsa_named_barrier_count 0
		.amdhsa_reserve_vcc 0
		.amdhsa_float_round_mode_32 0
		.amdhsa_float_round_mode_16_64 0
		.amdhsa_float_denorm_mode_32 3
		.amdhsa_float_denorm_mode_16_64 3
		.amdhsa_fp16_overflow 0
		.amdhsa_memory_ordered 1
		.amdhsa_forward_progress 1
		.amdhsa_inst_pref_size 0
		.amdhsa_round_robin_scheduling 0
		.amdhsa_exception_fp_ieee_invalid_op 0
		.amdhsa_exception_fp_denorm_src 0
		.amdhsa_exception_fp_ieee_div_zero 0
		.amdhsa_exception_fp_ieee_overflow 0
		.amdhsa_exception_fp_ieee_underflow 0
		.amdhsa_exception_fp_ieee_inexact 0
		.amdhsa_exception_int_div_zero 0
	.end_amdhsa_kernel
	.section	.text._ZN7rocprim17ROCPRIM_400000_NS6detail17trampoline_kernelINS0_14default_configENS1_27scan_by_key_config_selectorIllEEZZNS1_16scan_by_key_implILNS1_25lookback_scan_determinismE0ELb0ES3_PKlN6hipcub16HIPCUB_304000_NS21ConstantInputIteratorIllEEPllNSB_3SumENSB_8EqualityElEE10hipError_tPvRmT2_T3_T4_T5_mT6_T7_P12ihipStream_tbENKUlT_T0_E_clISt17integral_constantIbLb1EESX_EEDaSS_ST_EUlSS_E_NS1_11comp_targetILNS1_3genE10ELNS1_11target_archE1200ELNS1_3gpuE4ELNS1_3repE0EEENS1_30default_config_static_selectorELNS0_4arch9wavefront6targetE0EEEvT1_,"axG",@progbits,_ZN7rocprim17ROCPRIM_400000_NS6detail17trampoline_kernelINS0_14default_configENS1_27scan_by_key_config_selectorIllEEZZNS1_16scan_by_key_implILNS1_25lookback_scan_determinismE0ELb0ES3_PKlN6hipcub16HIPCUB_304000_NS21ConstantInputIteratorIllEEPllNSB_3SumENSB_8EqualityElEE10hipError_tPvRmT2_T3_T4_T5_mT6_T7_P12ihipStream_tbENKUlT_T0_E_clISt17integral_constantIbLb1EESX_EEDaSS_ST_EUlSS_E_NS1_11comp_targetILNS1_3genE10ELNS1_11target_archE1200ELNS1_3gpuE4ELNS1_3repE0EEENS1_30default_config_static_selectorELNS0_4arch9wavefront6targetE0EEEvT1_,comdat
.Lfunc_end111:
	.size	_ZN7rocprim17ROCPRIM_400000_NS6detail17trampoline_kernelINS0_14default_configENS1_27scan_by_key_config_selectorIllEEZZNS1_16scan_by_key_implILNS1_25lookback_scan_determinismE0ELb0ES3_PKlN6hipcub16HIPCUB_304000_NS21ConstantInputIteratorIllEEPllNSB_3SumENSB_8EqualityElEE10hipError_tPvRmT2_T3_T4_T5_mT6_T7_P12ihipStream_tbENKUlT_T0_E_clISt17integral_constantIbLb1EESX_EEDaSS_ST_EUlSS_E_NS1_11comp_targetILNS1_3genE10ELNS1_11target_archE1200ELNS1_3gpuE4ELNS1_3repE0EEENS1_30default_config_static_selectorELNS0_4arch9wavefront6targetE0EEEvT1_, .Lfunc_end111-_ZN7rocprim17ROCPRIM_400000_NS6detail17trampoline_kernelINS0_14default_configENS1_27scan_by_key_config_selectorIllEEZZNS1_16scan_by_key_implILNS1_25lookback_scan_determinismE0ELb0ES3_PKlN6hipcub16HIPCUB_304000_NS21ConstantInputIteratorIllEEPllNSB_3SumENSB_8EqualityElEE10hipError_tPvRmT2_T3_T4_T5_mT6_T7_P12ihipStream_tbENKUlT_T0_E_clISt17integral_constantIbLb1EESX_EEDaSS_ST_EUlSS_E_NS1_11comp_targetILNS1_3genE10ELNS1_11target_archE1200ELNS1_3gpuE4ELNS1_3repE0EEENS1_30default_config_static_selectorELNS0_4arch9wavefront6targetE0EEEvT1_
                                        ; -- End function
	.set _ZN7rocprim17ROCPRIM_400000_NS6detail17trampoline_kernelINS0_14default_configENS1_27scan_by_key_config_selectorIllEEZZNS1_16scan_by_key_implILNS1_25lookback_scan_determinismE0ELb0ES3_PKlN6hipcub16HIPCUB_304000_NS21ConstantInputIteratorIllEEPllNSB_3SumENSB_8EqualityElEE10hipError_tPvRmT2_T3_T4_T5_mT6_T7_P12ihipStream_tbENKUlT_T0_E_clISt17integral_constantIbLb1EESX_EEDaSS_ST_EUlSS_E_NS1_11comp_targetILNS1_3genE10ELNS1_11target_archE1200ELNS1_3gpuE4ELNS1_3repE0EEENS1_30default_config_static_selectorELNS0_4arch9wavefront6targetE0EEEvT1_.num_vgpr, 0
	.set _ZN7rocprim17ROCPRIM_400000_NS6detail17trampoline_kernelINS0_14default_configENS1_27scan_by_key_config_selectorIllEEZZNS1_16scan_by_key_implILNS1_25lookback_scan_determinismE0ELb0ES3_PKlN6hipcub16HIPCUB_304000_NS21ConstantInputIteratorIllEEPllNSB_3SumENSB_8EqualityElEE10hipError_tPvRmT2_T3_T4_T5_mT6_T7_P12ihipStream_tbENKUlT_T0_E_clISt17integral_constantIbLb1EESX_EEDaSS_ST_EUlSS_E_NS1_11comp_targetILNS1_3genE10ELNS1_11target_archE1200ELNS1_3gpuE4ELNS1_3repE0EEENS1_30default_config_static_selectorELNS0_4arch9wavefront6targetE0EEEvT1_.num_agpr, 0
	.set _ZN7rocprim17ROCPRIM_400000_NS6detail17trampoline_kernelINS0_14default_configENS1_27scan_by_key_config_selectorIllEEZZNS1_16scan_by_key_implILNS1_25lookback_scan_determinismE0ELb0ES3_PKlN6hipcub16HIPCUB_304000_NS21ConstantInputIteratorIllEEPllNSB_3SumENSB_8EqualityElEE10hipError_tPvRmT2_T3_T4_T5_mT6_T7_P12ihipStream_tbENKUlT_T0_E_clISt17integral_constantIbLb1EESX_EEDaSS_ST_EUlSS_E_NS1_11comp_targetILNS1_3genE10ELNS1_11target_archE1200ELNS1_3gpuE4ELNS1_3repE0EEENS1_30default_config_static_selectorELNS0_4arch9wavefront6targetE0EEEvT1_.numbered_sgpr, 0
	.set _ZN7rocprim17ROCPRIM_400000_NS6detail17trampoline_kernelINS0_14default_configENS1_27scan_by_key_config_selectorIllEEZZNS1_16scan_by_key_implILNS1_25lookback_scan_determinismE0ELb0ES3_PKlN6hipcub16HIPCUB_304000_NS21ConstantInputIteratorIllEEPllNSB_3SumENSB_8EqualityElEE10hipError_tPvRmT2_T3_T4_T5_mT6_T7_P12ihipStream_tbENKUlT_T0_E_clISt17integral_constantIbLb1EESX_EEDaSS_ST_EUlSS_E_NS1_11comp_targetILNS1_3genE10ELNS1_11target_archE1200ELNS1_3gpuE4ELNS1_3repE0EEENS1_30default_config_static_selectorELNS0_4arch9wavefront6targetE0EEEvT1_.num_named_barrier, 0
	.set _ZN7rocprim17ROCPRIM_400000_NS6detail17trampoline_kernelINS0_14default_configENS1_27scan_by_key_config_selectorIllEEZZNS1_16scan_by_key_implILNS1_25lookback_scan_determinismE0ELb0ES3_PKlN6hipcub16HIPCUB_304000_NS21ConstantInputIteratorIllEEPllNSB_3SumENSB_8EqualityElEE10hipError_tPvRmT2_T3_T4_T5_mT6_T7_P12ihipStream_tbENKUlT_T0_E_clISt17integral_constantIbLb1EESX_EEDaSS_ST_EUlSS_E_NS1_11comp_targetILNS1_3genE10ELNS1_11target_archE1200ELNS1_3gpuE4ELNS1_3repE0EEENS1_30default_config_static_selectorELNS0_4arch9wavefront6targetE0EEEvT1_.private_seg_size, 0
	.set _ZN7rocprim17ROCPRIM_400000_NS6detail17trampoline_kernelINS0_14default_configENS1_27scan_by_key_config_selectorIllEEZZNS1_16scan_by_key_implILNS1_25lookback_scan_determinismE0ELb0ES3_PKlN6hipcub16HIPCUB_304000_NS21ConstantInputIteratorIllEEPllNSB_3SumENSB_8EqualityElEE10hipError_tPvRmT2_T3_T4_T5_mT6_T7_P12ihipStream_tbENKUlT_T0_E_clISt17integral_constantIbLb1EESX_EEDaSS_ST_EUlSS_E_NS1_11comp_targetILNS1_3genE10ELNS1_11target_archE1200ELNS1_3gpuE4ELNS1_3repE0EEENS1_30default_config_static_selectorELNS0_4arch9wavefront6targetE0EEEvT1_.uses_vcc, 0
	.set _ZN7rocprim17ROCPRIM_400000_NS6detail17trampoline_kernelINS0_14default_configENS1_27scan_by_key_config_selectorIllEEZZNS1_16scan_by_key_implILNS1_25lookback_scan_determinismE0ELb0ES3_PKlN6hipcub16HIPCUB_304000_NS21ConstantInputIteratorIllEEPllNSB_3SumENSB_8EqualityElEE10hipError_tPvRmT2_T3_T4_T5_mT6_T7_P12ihipStream_tbENKUlT_T0_E_clISt17integral_constantIbLb1EESX_EEDaSS_ST_EUlSS_E_NS1_11comp_targetILNS1_3genE10ELNS1_11target_archE1200ELNS1_3gpuE4ELNS1_3repE0EEENS1_30default_config_static_selectorELNS0_4arch9wavefront6targetE0EEEvT1_.uses_flat_scratch, 0
	.set _ZN7rocprim17ROCPRIM_400000_NS6detail17trampoline_kernelINS0_14default_configENS1_27scan_by_key_config_selectorIllEEZZNS1_16scan_by_key_implILNS1_25lookback_scan_determinismE0ELb0ES3_PKlN6hipcub16HIPCUB_304000_NS21ConstantInputIteratorIllEEPllNSB_3SumENSB_8EqualityElEE10hipError_tPvRmT2_T3_T4_T5_mT6_T7_P12ihipStream_tbENKUlT_T0_E_clISt17integral_constantIbLb1EESX_EEDaSS_ST_EUlSS_E_NS1_11comp_targetILNS1_3genE10ELNS1_11target_archE1200ELNS1_3gpuE4ELNS1_3repE0EEENS1_30default_config_static_selectorELNS0_4arch9wavefront6targetE0EEEvT1_.has_dyn_sized_stack, 0
	.set _ZN7rocprim17ROCPRIM_400000_NS6detail17trampoline_kernelINS0_14default_configENS1_27scan_by_key_config_selectorIllEEZZNS1_16scan_by_key_implILNS1_25lookback_scan_determinismE0ELb0ES3_PKlN6hipcub16HIPCUB_304000_NS21ConstantInputIteratorIllEEPllNSB_3SumENSB_8EqualityElEE10hipError_tPvRmT2_T3_T4_T5_mT6_T7_P12ihipStream_tbENKUlT_T0_E_clISt17integral_constantIbLb1EESX_EEDaSS_ST_EUlSS_E_NS1_11comp_targetILNS1_3genE10ELNS1_11target_archE1200ELNS1_3gpuE4ELNS1_3repE0EEENS1_30default_config_static_selectorELNS0_4arch9wavefront6targetE0EEEvT1_.has_recursion, 0
	.set _ZN7rocprim17ROCPRIM_400000_NS6detail17trampoline_kernelINS0_14default_configENS1_27scan_by_key_config_selectorIllEEZZNS1_16scan_by_key_implILNS1_25lookback_scan_determinismE0ELb0ES3_PKlN6hipcub16HIPCUB_304000_NS21ConstantInputIteratorIllEEPllNSB_3SumENSB_8EqualityElEE10hipError_tPvRmT2_T3_T4_T5_mT6_T7_P12ihipStream_tbENKUlT_T0_E_clISt17integral_constantIbLb1EESX_EEDaSS_ST_EUlSS_E_NS1_11comp_targetILNS1_3genE10ELNS1_11target_archE1200ELNS1_3gpuE4ELNS1_3repE0EEENS1_30default_config_static_selectorELNS0_4arch9wavefront6targetE0EEEvT1_.has_indirect_call, 0
	.section	.AMDGPU.csdata,"",@progbits
; Kernel info:
; codeLenInByte = 0
; TotalNumSgprs: 0
; NumVgprs: 0
; ScratchSize: 0
; MemoryBound: 0
; FloatMode: 240
; IeeeMode: 1
; LDSByteSize: 0 bytes/workgroup (compile time only)
; SGPRBlocks: 0
; VGPRBlocks: 0
; NumSGPRsForWavesPerEU: 1
; NumVGPRsForWavesPerEU: 1
; NamedBarCnt: 0
; Occupancy: 16
; WaveLimiterHint : 0
; COMPUTE_PGM_RSRC2:SCRATCH_EN: 0
; COMPUTE_PGM_RSRC2:USER_SGPR: 2
; COMPUTE_PGM_RSRC2:TRAP_HANDLER: 0
; COMPUTE_PGM_RSRC2:TGID_X_EN: 1
; COMPUTE_PGM_RSRC2:TGID_Y_EN: 0
; COMPUTE_PGM_RSRC2:TGID_Z_EN: 0
; COMPUTE_PGM_RSRC2:TIDIG_COMP_CNT: 0
	.section	.text._ZN7rocprim17ROCPRIM_400000_NS6detail17trampoline_kernelINS0_14default_configENS1_27scan_by_key_config_selectorIllEEZZNS1_16scan_by_key_implILNS1_25lookback_scan_determinismE0ELb0ES3_PKlN6hipcub16HIPCUB_304000_NS21ConstantInputIteratorIllEEPllNSB_3SumENSB_8EqualityElEE10hipError_tPvRmT2_T3_T4_T5_mT6_T7_P12ihipStream_tbENKUlT_T0_E_clISt17integral_constantIbLb1EESX_EEDaSS_ST_EUlSS_E_NS1_11comp_targetILNS1_3genE9ELNS1_11target_archE1100ELNS1_3gpuE3ELNS1_3repE0EEENS1_30default_config_static_selectorELNS0_4arch9wavefront6targetE0EEEvT1_,"axG",@progbits,_ZN7rocprim17ROCPRIM_400000_NS6detail17trampoline_kernelINS0_14default_configENS1_27scan_by_key_config_selectorIllEEZZNS1_16scan_by_key_implILNS1_25lookback_scan_determinismE0ELb0ES3_PKlN6hipcub16HIPCUB_304000_NS21ConstantInputIteratorIllEEPllNSB_3SumENSB_8EqualityElEE10hipError_tPvRmT2_T3_T4_T5_mT6_T7_P12ihipStream_tbENKUlT_T0_E_clISt17integral_constantIbLb1EESX_EEDaSS_ST_EUlSS_E_NS1_11comp_targetILNS1_3genE9ELNS1_11target_archE1100ELNS1_3gpuE3ELNS1_3repE0EEENS1_30default_config_static_selectorELNS0_4arch9wavefront6targetE0EEEvT1_,comdat
	.protected	_ZN7rocprim17ROCPRIM_400000_NS6detail17trampoline_kernelINS0_14default_configENS1_27scan_by_key_config_selectorIllEEZZNS1_16scan_by_key_implILNS1_25lookback_scan_determinismE0ELb0ES3_PKlN6hipcub16HIPCUB_304000_NS21ConstantInputIteratorIllEEPllNSB_3SumENSB_8EqualityElEE10hipError_tPvRmT2_T3_T4_T5_mT6_T7_P12ihipStream_tbENKUlT_T0_E_clISt17integral_constantIbLb1EESX_EEDaSS_ST_EUlSS_E_NS1_11comp_targetILNS1_3genE9ELNS1_11target_archE1100ELNS1_3gpuE3ELNS1_3repE0EEENS1_30default_config_static_selectorELNS0_4arch9wavefront6targetE0EEEvT1_ ; -- Begin function _ZN7rocprim17ROCPRIM_400000_NS6detail17trampoline_kernelINS0_14default_configENS1_27scan_by_key_config_selectorIllEEZZNS1_16scan_by_key_implILNS1_25lookback_scan_determinismE0ELb0ES3_PKlN6hipcub16HIPCUB_304000_NS21ConstantInputIteratorIllEEPllNSB_3SumENSB_8EqualityElEE10hipError_tPvRmT2_T3_T4_T5_mT6_T7_P12ihipStream_tbENKUlT_T0_E_clISt17integral_constantIbLb1EESX_EEDaSS_ST_EUlSS_E_NS1_11comp_targetILNS1_3genE9ELNS1_11target_archE1100ELNS1_3gpuE3ELNS1_3repE0EEENS1_30default_config_static_selectorELNS0_4arch9wavefront6targetE0EEEvT1_
	.globl	_ZN7rocprim17ROCPRIM_400000_NS6detail17trampoline_kernelINS0_14default_configENS1_27scan_by_key_config_selectorIllEEZZNS1_16scan_by_key_implILNS1_25lookback_scan_determinismE0ELb0ES3_PKlN6hipcub16HIPCUB_304000_NS21ConstantInputIteratorIllEEPllNSB_3SumENSB_8EqualityElEE10hipError_tPvRmT2_T3_T4_T5_mT6_T7_P12ihipStream_tbENKUlT_T0_E_clISt17integral_constantIbLb1EESX_EEDaSS_ST_EUlSS_E_NS1_11comp_targetILNS1_3genE9ELNS1_11target_archE1100ELNS1_3gpuE3ELNS1_3repE0EEENS1_30default_config_static_selectorELNS0_4arch9wavefront6targetE0EEEvT1_
	.p2align	8
	.type	_ZN7rocprim17ROCPRIM_400000_NS6detail17trampoline_kernelINS0_14default_configENS1_27scan_by_key_config_selectorIllEEZZNS1_16scan_by_key_implILNS1_25lookback_scan_determinismE0ELb0ES3_PKlN6hipcub16HIPCUB_304000_NS21ConstantInputIteratorIllEEPllNSB_3SumENSB_8EqualityElEE10hipError_tPvRmT2_T3_T4_T5_mT6_T7_P12ihipStream_tbENKUlT_T0_E_clISt17integral_constantIbLb1EESX_EEDaSS_ST_EUlSS_E_NS1_11comp_targetILNS1_3genE9ELNS1_11target_archE1100ELNS1_3gpuE3ELNS1_3repE0EEENS1_30default_config_static_selectorELNS0_4arch9wavefront6targetE0EEEvT1_,@function
_ZN7rocprim17ROCPRIM_400000_NS6detail17trampoline_kernelINS0_14default_configENS1_27scan_by_key_config_selectorIllEEZZNS1_16scan_by_key_implILNS1_25lookback_scan_determinismE0ELb0ES3_PKlN6hipcub16HIPCUB_304000_NS21ConstantInputIteratorIllEEPllNSB_3SumENSB_8EqualityElEE10hipError_tPvRmT2_T3_T4_T5_mT6_T7_P12ihipStream_tbENKUlT_T0_E_clISt17integral_constantIbLb1EESX_EEDaSS_ST_EUlSS_E_NS1_11comp_targetILNS1_3genE9ELNS1_11target_archE1100ELNS1_3gpuE3ELNS1_3repE0EEENS1_30default_config_static_selectorELNS0_4arch9wavefront6targetE0EEEvT1_: ; @_ZN7rocprim17ROCPRIM_400000_NS6detail17trampoline_kernelINS0_14default_configENS1_27scan_by_key_config_selectorIllEEZZNS1_16scan_by_key_implILNS1_25lookback_scan_determinismE0ELb0ES3_PKlN6hipcub16HIPCUB_304000_NS21ConstantInputIteratorIllEEPllNSB_3SumENSB_8EqualityElEE10hipError_tPvRmT2_T3_T4_T5_mT6_T7_P12ihipStream_tbENKUlT_T0_E_clISt17integral_constantIbLb1EESX_EEDaSS_ST_EUlSS_E_NS1_11comp_targetILNS1_3genE9ELNS1_11target_archE1100ELNS1_3gpuE3ELNS1_3repE0EEENS1_30default_config_static_selectorELNS0_4arch9wavefront6targetE0EEEvT1_
; %bb.0:
	.section	.rodata,"a",@progbits
	.p2align	6, 0x0
	.amdhsa_kernel _ZN7rocprim17ROCPRIM_400000_NS6detail17trampoline_kernelINS0_14default_configENS1_27scan_by_key_config_selectorIllEEZZNS1_16scan_by_key_implILNS1_25lookback_scan_determinismE0ELb0ES3_PKlN6hipcub16HIPCUB_304000_NS21ConstantInputIteratorIllEEPllNSB_3SumENSB_8EqualityElEE10hipError_tPvRmT2_T3_T4_T5_mT6_T7_P12ihipStream_tbENKUlT_T0_E_clISt17integral_constantIbLb1EESX_EEDaSS_ST_EUlSS_E_NS1_11comp_targetILNS1_3genE9ELNS1_11target_archE1100ELNS1_3gpuE3ELNS1_3repE0EEENS1_30default_config_static_selectorELNS0_4arch9wavefront6targetE0EEEvT1_
		.amdhsa_group_segment_fixed_size 0
		.amdhsa_private_segment_fixed_size 0
		.amdhsa_kernarg_size 144
		.amdhsa_user_sgpr_count 2
		.amdhsa_user_sgpr_dispatch_ptr 0
		.amdhsa_user_sgpr_queue_ptr 0
		.amdhsa_user_sgpr_kernarg_segment_ptr 1
		.amdhsa_user_sgpr_dispatch_id 0
		.amdhsa_user_sgpr_kernarg_preload_length 0
		.amdhsa_user_sgpr_kernarg_preload_offset 0
		.amdhsa_user_sgpr_private_segment_size 0
		.amdhsa_wavefront_size32 1
		.amdhsa_uses_dynamic_stack 0
		.amdhsa_enable_private_segment 0
		.amdhsa_system_sgpr_workgroup_id_x 1
		.amdhsa_system_sgpr_workgroup_id_y 0
		.amdhsa_system_sgpr_workgroup_id_z 0
		.amdhsa_system_sgpr_workgroup_info 0
		.amdhsa_system_vgpr_workitem_id 0
		.amdhsa_next_free_vgpr 1
		.amdhsa_next_free_sgpr 1
		.amdhsa_named_barrier_count 0
		.amdhsa_reserve_vcc 0
		.amdhsa_float_round_mode_32 0
		.amdhsa_float_round_mode_16_64 0
		.amdhsa_float_denorm_mode_32 3
		.amdhsa_float_denorm_mode_16_64 3
		.amdhsa_fp16_overflow 0
		.amdhsa_memory_ordered 1
		.amdhsa_forward_progress 1
		.amdhsa_inst_pref_size 0
		.amdhsa_round_robin_scheduling 0
		.amdhsa_exception_fp_ieee_invalid_op 0
		.amdhsa_exception_fp_denorm_src 0
		.amdhsa_exception_fp_ieee_div_zero 0
		.amdhsa_exception_fp_ieee_overflow 0
		.amdhsa_exception_fp_ieee_underflow 0
		.amdhsa_exception_fp_ieee_inexact 0
		.amdhsa_exception_int_div_zero 0
	.end_amdhsa_kernel
	.section	.text._ZN7rocprim17ROCPRIM_400000_NS6detail17trampoline_kernelINS0_14default_configENS1_27scan_by_key_config_selectorIllEEZZNS1_16scan_by_key_implILNS1_25lookback_scan_determinismE0ELb0ES3_PKlN6hipcub16HIPCUB_304000_NS21ConstantInputIteratorIllEEPllNSB_3SumENSB_8EqualityElEE10hipError_tPvRmT2_T3_T4_T5_mT6_T7_P12ihipStream_tbENKUlT_T0_E_clISt17integral_constantIbLb1EESX_EEDaSS_ST_EUlSS_E_NS1_11comp_targetILNS1_3genE9ELNS1_11target_archE1100ELNS1_3gpuE3ELNS1_3repE0EEENS1_30default_config_static_selectorELNS0_4arch9wavefront6targetE0EEEvT1_,"axG",@progbits,_ZN7rocprim17ROCPRIM_400000_NS6detail17trampoline_kernelINS0_14default_configENS1_27scan_by_key_config_selectorIllEEZZNS1_16scan_by_key_implILNS1_25lookback_scan_determinismE0ELb0ES3_PKlN6hipcub16HIPCUB_304000_NS21ConstantInputIteratorIllEEPllNSB_3SumENSB_8EqualityElEE10hipError_tPvRmT2_T3_T4_T5_mT6_T7_P12ihipStream_tbENKUlT_T0_E_clISt17integral_constantIbLb1EESX_EEDaSS_ST_EUlSS_E_NS1_11comp_targetILNS1_3genE9ELNS1_11target_archE1100ELNS1_3gpuE3ELNS1_3repE0EEENS1_30default_config_static_selectorELNS0_4arch9wavefront6targetE0EEEvT1_,comdat
.Lfunc_end112:
	.size	_ZN7rocprim17ROCPRIM_400000_NS6detail17trampoline_kernelINS0_14default_configENS1_27scan_by_key_config_selectorIllEEZZNS1_16scan_by_key_implILNS1_25lookback_scan_determinismE0ELb0ES3_PKlN6hipcub16HIPCUB_304000_NS21ConstantInputIteratorIllEEPllNSB_3SumENSB_8EqualityElEE10hipError_tPvRmT2_T3_T4_T5_mT6_T7_P12ihipStream_tbENKUlT_T0_E_clISt17integral_constantIbLb1EESX_EEDaSS_ST_EUlSS_E_NS1_11comp_targetILNS1_3genE9ELNS1_11target_archE1100ELNS1_3gpuE3ELNS1_3repE0EEENS1_30default_config_static_selectorELNS0_4arch9wavefront6targetE0EEEvT1_, .Lfunc_end112-_ZN7rocprim17ROCPRIM_400000_NS6detail17trampoline_kernelINS0_14default_configENS1_27scan_by_key_config_selectorIllEEZZNS1_16scan_by_key_implILNS1_25lookback_scan_determinismE0ELb0ES3_PKlN6hipcub16HIPCUB_304000_NS21ConstantInputIteratorIllEEPllNSB_3SumENSB_8EqualityElEE10hipError_tPvRmT2_T3_T4_T5_mT6_T7_P12ihipStream_tbENKUlT_T0_E_clISt17integral_constantIbLb1EESX_EEDaSS_ST_EUlSS_E_NS1_11comp_targetILNS1_3genE9ELNS1_11target_archE1100ELNS1_3gpuE3ELNS1_3repE0EEENS1_30default_config_static_selectorELNS0_4arch9wavefront6targetE0EEEvT1_
                                        ; -- End function
	.set _ZN7rocprim17ROCPRIM_400000_NS6detail17trampoline_kernelINS0_14default_configENS1_27scan_by_key_config_selectorIllEEZZNS1_16scan_by_key_implILNS1_25lookback_scan_determinismE0ELb0ES3_PKlN6hipcub16HIPCUB_304000_NS21ConstantInputIteratorIllEEPllNSB_3SumENSB_8EqualityElEE10hipError_tPvRmT2_T3_T4_T5_mT6_T7_P12ihipStream_tbENKUlT_T0_E_clISt17integral_constantIbLb1EESX_EEDaSS_ST_EUlSS_E_NS1_11comp_targetILNS1_3genE9ELNS1_11target_archE1100ELNS1_3gpuE3ELNS1_3repE0EEENS1_30default_config_static_selectorELNS0_4arch9wavefront6targetE0EEEvT1_.num_vgpr, 0
	.set _ZN7rocprim17ROCPRIM_400000_NS6detail17trampoline_kernelINS0_14default_configENS1_27scan_by_key_config_selectorIllEEZZNS1_16scan_by_key_implILNS1_25lookback_scan_determinismE0ELb0ES3_PKlN6hipcub16HIPCUB_304000_NS21ConstantInputIteratorIllEEPllNSB_3SumENSB_8EqualityElEE10hipError_tPvRmT2_T3_T4_T5_mT6_T7_P12ihipStream_tbENKUlT_T0_E_clISt17integral_constantIbLb1EESX_EEDaSS_ST_EUlSS_E_NS1_11comp_targetILNS1_3genE9ELNS1_11target_archE1100ELNS1_3gpuE3ELNS1_3repE0EEENS1_30default_config_static_selectorELNS0_4arch9wavefront6targetE0EEEvT1_.num_agpr, 0
	.set _ZN7rocprim17ROCPRIM_400000_NS6detail17trampoline_kernelINS0_14default_configENS1_27scan_by_key_config_selectorIllEEZZNS1_16scan_by_key_implILNS1_25lookback_scan_determinismE0ELb0ES3_PKlN6hipcub16HIPCUB_304000_NS21ConstantInputIteratorIllEEPllNSB_3SumENSB_8EqualityElEE10hipError_tPvRmT2_T3_T4_T5_mT6_T7_P12ihipStream_tbENKUlT_T0_E_clISt17integral_constantIbLb1EESX_EEDaSS_ST_EUlSS_E_NS1_11comp_targetILNS1_3genE9ELNS1_11target_archE1100ELNS1_3gpuE3ELNS1_3repE0EEENS1_30default_config_static_selectorELNS0_4arch9wavefront6targetE0EEEvT1_.numbered_sgpr, 0
	.set _ZN7rocprim17ROCPRIM_400000_NS6detail17trampoline_kernelINS0_14default_configENS1_27scan_by_key_config_selectorIllEEZZNS1_16scan_by_key_implILNS1_25lookback_scan_determinismE0ELb0ES3_PKlN6hipcub16HIPCUB_304000_NS21ConstantInputIteratorIllEEPllNSB_3SumENSB_8EqualityElEE10hipError_tPvRmT2_T3_T4_T5_mT6_T7_P12ihipStream_tbENKUlT_T0_E_clISt17integral_constantIbLb1EESX_EEDaSS_ST_EUlSS_E_NS1_11comp_targetILNS1_3genE9ELNS1_11target_archE1100ELNS1_3gpuE3ELNS1_3repE0EEENS1_30default_config_static_selectorELNS0_4arch9wavefront6targetE0EEEvT1_.num_named_barrier, 0
	.set _ZN7rocprim17ROCPRIM_400000_NS6detail17trampoline_kernelINS0_14default_configENS1_27scan_by_key_config_selectorIllEEZZNS1_16scan_by_key_implILNS1_25lookback_scan_determinismE0ELb0ES3_PKlN6hipcub16HIPCUB_304000_NS21ConstantInputIteratorIllEEPllNSB_3SumENSB_8EqualityElEE10hipError_tPvRmT2_T3_T4_T5_mT6_T7_P12ihipStream_tbENKUlT_T0_E_clISt17integral_constantIbLb1EESX_EEDaSS_ST_EUlSS_E_NS1_11comp_targetILNS1_3genE9ELNS1_11target_archE1100ELNS1_3gpuE3ELNS1_3repE0EEENS1_30default_config_static_selectorELNS0_4arch9wavefront6targetE0EEEvT1_.private_seg_size, 0
	.set _ZN7rocprim17ROCPRIM_400000_NS6detail17trampoline_kernelINS0_14default_configENS1_27scan_by_key_config_selectorIllEEZZNS1_16scan_by_key_implILNS1_25lookback_scan_determinismE0ELb0ES3_PKlN6hipcub16HIPCUB_304000_NS21ConstantInputIteratorIllEEPllNSB_3SumENSB_8EqualityElEE10hipError_tPvRmT2_T3_T4_T5_mT6_T7_P12ihipStream_tbENKUlT_T0_E_clISt17integral_constantIbLb1EESX_EEDaSS_ST_EUlSS_E_NS1_11comp_targetILNS1_3genE9ELNS1_11target_archE1100ELNS1_3gpuE3ELNS1_3repE0EEENS1_30default_config_static_selectorELNS0_4arch9wavefront6targetE0EEEvT1_.uses_vcc, 0
	.set _ZN7rocprim17ROCPRIM_400000_NS6detail17trampoline_kernelINS0_14default_configENS1_27scan_by_key_config_selectorIllEEZZNS1_16scan_by_key_implILNS1_25lookback_scan_determinismE0ELb0ES3_PKlN6hipcub16HIPCUB_304000_NS21ConstantInputIteratorIllEEPllNSB_3SumENSB_8EqualityElEE10hipError_tPvRmT2_T3_T4_T5_mT6_T7_P12ihipStream_tbENKUlT_T0_E_clISt17integral_constantIbLb1EESX_EEDaSS_ST_EUlSS_E_NS1_11comp_targetILNS1_3genE9ELNS1_11target_archE1100ELNS1_3gpuE3ELNS1_3repE0EEENS1_30default_config_static_selectorELNS0_4arch9wavefront6targetE0EEEvT1_.uses_flat_scratch, 0
	.set _ZN7rocprim17ROCPRIM_400000_NS6detail17trampoline_kernelINS0_14default_configENS1_27scan_by_key_config_selectorIllEEZZNS1_16scan_by_key_implILNS1_25lookback_scan_determinismE0ELb0ES3_PKlN6hipcub16HIPCUB_304000_NS21ConstantInputIteratorIllEEPllNSB_3SumENSB_8EqualityElEE10hipError_tPvRmT2_T3_T4_T5_mT6_T7_P12ihipStream_tbENKUlT_T0_E_clISt17integral_constantIbLb1EESX_EEDaSS_ST_EUlSS_E_NS1_11comp_targetILNS1_3genE9ELNS1_11target_archE1100ELNS1_3gpuE3ELNS1_3repE0EEENS1_30default_config_static_selectorELNS0_4arch9wavefront6targetE0EEEvT1_.has_dyn_sized_stack, 0
	.set _ZN7rocprim17ROCPRIM_400000_NS6detail17trampoline_kernelINS0_14default_configENS1_27scan_by_key_config_selectorIllEEZZNS1_16scan_by_key_implILNS1_25lookback_scan_determinismE0ELb0ES3_PKlN6hipcub16HIPCUB_304000_NS21ConstantInputIteratorIllEEPllNSB_3SumENSB_8EqualityElEE10hipError_tPvRmT2_T3_T4_T5_mT6_T7_P12ihipStream_tbENKUlT_T0_E_clISt17integral_constantIbLb1EESX_EEDaSS_ST_EUlSS_E_NS1_11comp_targetILNS1_3genE9ELNS1_11target_archE1100ELNS1_3gpuE3ELNS1_3repE0EEENS1_30default_config_static_selectorELNS0_4arch9wavefront6targetE0EEEvT1_.has_recursion, 0
	.set _ZN7rocprim17ROCPRIM_400000_NS6detail17trampoline_kernelINS0_14default_configENS1_27scan_by_key_config_selectorIllEEZZNS1_16scan_by_key_implILNS1_25lookback_scan_determinismE0ELb0ES3_PKlN6hipcub16HIPCUB_304000_NS21ConstantInputIteratorIllEEPllNSB_3SumENSB_8EqualityElEE10hipError_tPvRmT2_T3_T4_T5_mT6_T7_P12ihipStream_tbENKUlT_T0_E_clISt17integral_constantIbLb1EESX_EEDaSS_ST_EUlSS_E_NS1_11comp_targetILNS1_3genE9ELNS1_11target_archE1100ELNS1_3gpuE3ELNS1_3repE0EEENS1_30default_config_static_selectorELNS0_4arch9wavefront6targetE0EEEvT1_.has_indirect_call, 0
	.section	.AMDGPU.csdata,"",@progbits
; Kernel info:
; codeLenInByte = 0
; TotalNumSgprs: 0
; NumVgprs: 0
; ScratchSize: 0
; MemoryBound: 0
; FloatMode: 240
; IeeeMode: 1
; LDSByteSize: 0 bytes/workgroup (compile time only)
; SGPRBlocks: 0
; VGPRBlocks: 0
; NumSGPRsForWavesPerEU: 1
; NumVGPRsForWavesPerEU: 1
; NamedBarCnt: 0
; Occupancy: 16
; WaveLimiterHint : 0
; COMPUTE_PGM_RSRC2:SCRATCH_EN: 0
; COMPUTE_PGM_RSRC2:USER_SGPR: 2
; COMPUTE_PGM_RSRC2:TRAP_HANDLER: 0
; COMPUTE_PGM_RSRC2:TGID_X_EN: 1
; COMPUTE_PGM_RSRC2:TGID_Y_EN: 0
; COMPUTE_PGM_RSRC2:TGID_Z_EN: 0
; COMPUTE_PGM_RSRC2:TIDIG_COMP_CNT: 0
	.section	.text._ZN7rocprim17ROCPRIM_400000_NS6detail17trampoline_kernelINS0_14default_configENS1_27scan_by_key_config_selectorIllEEZZNS1_16scan_by_key_implILNS1_25lookback_scan_determinismE0ELb0ES3_PKlN6hipcub16HIPCUB_304000_NS21ConstantInputIteratorIllEEPllNSB_3SumENSB_8EqualityElEE10hipError_tPvRmT2_T3_T4_T5_mT6_T7_P12ihipStream_tbENKUlT_T0_E_clISt17integral_constantIbLb1EESX_EEDaSS_ST_EUlSS_E_NS1_11comp_targetILNS1_3genE8ELNS1_11target_archE1030ELNS1_3gpuE2ELNS1_3repE0EEENS1_30default_config_static_selectorELNS0_4arch9wavefront6targetE0EEEvT1_,"axG",@progbits,_ZN7rocprim17ROCPRIM_400000_NS6detail17trampoline_kernelINS0_14default_configENS1_27scan_by_key_config_selectorIllEEZZNS1_16scan_by_key_implILNS1_25lookback_scan_determinismE0ELb0ES3_PKlN6hipcub16HIPCUB_304000_NS21ConstantInputIteratorIllEEPllNSB_3SumENSB_8EqualityElEE10hipError_tPvRmT2_T3_T4_T5_mT6_T7_P12ihipStream_tbENKUlT_T0_E_clISt17integral_constantIbLb1EESX_EEDaSS_ST_EUlSS_E_NS1_11comp_targetILNS1_3genE8ELNS1_11target_archE1030ELNS1_3gpuE2ELNS1_3repE0EEENS1_30default_config_static_selectorELNS0_4arch9wavefront6targetE0EEEvT1_,comdat
	.protected	_ZN7rocprim17ROCPRIM_400000_NS6detail17trampoline_kernelINS0_14default_configENS1_27scan_by_key_config_selectorIllEEZZNS1_16scan_by_key_implILNS1_25lookback_scan_determinismE0ELb0ES3_PKlN6hipcub16HIPCUB_304000_NS21ConstantInputIteratorIllEEPllNSB_3SumENSB_8EqualityElEE10hipError_tPvRmT2_T3_T4_T5_mT6_T7_P12ihipStream_tbENKUlT_T0_E_clISt17integral_constantIbLb1EESX_EEDaSS_ST_EUlSS_E_NS1_11comp_targetILNS1_3genE8ELNS1_11target_archE1030ELNS1_3gpuE2ELNS1_3repE0EEENS1_30default_config_static_selectorELNS0_4arch9wavefront6targetE0EEEvT1_ ; -- Begin function _ZN7rocprim17ROCPRIM_400000_NS6detail17trampoline_kernelINS0_14default_configENS1_27scan_by_key_config_selectorIllEEZZNS1_16scan_by_key_implILNS1_25lookback_scan_determinismE0ELb0ES3_PKlN6hipcub16HIPCUB_304000_NS21ConstantInputIteratorIllEEPllNSB_3SumENSB_8EqualityElEE10hipError_tPvRmT2_T3_T4_T5_mT6_T7_P12ihipStream_tbENKUlT_T0_E_clISt17integral_constantIbLb1EESX_EEDaSS_ST_EUlSS_E_NS1_11comp_targetILNS1_3genE8ELNS1_11target_archE1030ELNS1_3gpuE2ELNS1_3repE0EEENS1_30default_config_static_selectorELNS0_4arch9wavefront6targetE0EEEvT1_
	.globl	_ZN7rocprim17ROCPRIM_400000_NS6detail17trampoline_kernelINS0_14default_configENS1_27scan_by_key_config_selectorIllEEZZNS1_16scan_by_key_implILNS1_25lookback_scan_determinismE0ELb0ES3_PKlN6hipcub16HIPCUB_304000_NS21ConstantInputIteratorIllEEPllNSB_3SumENSB_8EqualityElEE10hipError_tPvRmT2_T3_T4_T5_mT6_T7_P12ihipStream_tbENKUlT_T0_E_clISt17integral_constantIbLb1EESX_EEDaSS_ST_EUlSS_E_NS1_11comp_targetILNS1_3genE8ELNS1_11target_archE1030ELNS1_3gpuE2ELNS1_3repE0EEENS1_30default_config_static_selectorELNS0_4arch9wavefront6targetE0EEEvT1_
	.p2align	8
	.type	_ZN7rocprim17ROCPRIM_400000_NS6detail17trampoline_kernelINS0_14default_configENS1_27scan_by_key_config_selectorIllEEZZNS1_16scan_by_key_implILNS1_25lookback_scan_determinismE0ELb0ES3_PKlN6hipcub16HIPCUB_304000_NS21ConstantInputIteratorIllEEPllNSB_3SumENSB_8EqualityElEE10hipError_tPvRmT2_T3_T4_T5_mT6_T7_P12ihipStream_tbENKUlT_T0_E_clISt17integral_constantIbLb1EESX_EEDaSS_ST_EUlSS_E_NS1_11comp_targetILNS1_3genE8ELNS1_11target_archE1030ELNS1_3gpuE2ELNS1_3repE0EEENS1_30default_config_static_selectorELNS0_4arch9wavefront6targetE0EEEvT1_,@function
_ZN7rocprim17ROCPRIM_400000_NS6detail17trampoline_kernelINS0_14default_configENS1_27scan_by_key_config_selectorIllEEZZNS1_16scan_by_key_implILNS1_25lookback_scan_determinismE0ELb0ES3_PKlN6hipcub16HIPCUB_304000_NS21ConstantInputIteratorIllEEPllNSB_3SumENSB_8EqualityElEE10hipError_tPvRmT2_T3_T4_T5_mT6_T7_P12ihipStream_tbENKUlT_T0_E_clISt17integral_constantIbLb1EESX_EEDaSS_ST_EUlSS_E_NS1_11comp_targetILNS1_3genE8ELNS1_11target_archE1030ELNS1_3gpuE2ELNS1_3repE0EEENS1_30default_config_static_selectorELNS0_4arch9wavefront6targetE0EEEvT1_: ; @_ZN7rocprim17ROCPRIM_400000_NS6detail17trampoline_kernelINS0_14default_configENS1_27scan_by_key_config_selectorIllEEZZNS1_16scan_by_key_implILNS1_25lookback_scan_determinismE0ELb0ES3_PKlN6hipcub16HIPCUB_304000_NS21ConstantInputIteratorIllEEPllNSB_3SumENSB_8EqualityElEE10hipError_tPvRmT2_T3_T4_T5_mT6_T7_P12ihipStream_tbENKUlT_T0_E_clISt17integral_constantIbLb1EESX_EEDaSS_ST_EUlSS_E_NS1_11comp_targetILNS1_3genE8ELNS1_11target_archE1030ELNS1_3gpuE2ELNS1_3repE0EEENS1_30default_config_static_selectorELNS0_4arch9wavefront6targetE0EEEvT1_
; %bb.0:
	.section	.rodata,"a",@progbits
	.p2align	6, 0x0
	.amdhsa_kernel _ZN7rocprim17ROCPRIM_400000_NS6detail17trampoline_kernelINS0_14default_configENS1_27scan_by_key_config_selectorIllEEZZNS1_16scan_by_key_implILNS1_25lookback_scan_determinismE0ELb0ES3_PKlN6hipcub16HIPCUB_304000_NS21ConstantInputIteratorIllEEPllNSB_3SumENSB_8EqualityElEE10hipError_tPvRmT2_T3_T4_T5_mT6_T7_P12ihipStream_tbENKUlT_T0_E_clISt17integral_constantIbLb1EESX_EEDaSS_ST_EUlSS_E_NS1_11comp_targetILNS1_3genE8ELNS1_11target_archE1030ELNS1_3gpuE2ELNS1_3repE0EEENS1_30default_config_static_selectorELNS0_4arch9wavefront6targetE0EEEvT1_
		.amdhsa_group_segment_fixed_size 0
		.amdhsa_private_segment_fixed_size 0
		.amdhsa_kernarg_size 144
		.amdhsa_user_sgpr_count 2
		.amdhsa_user_sgpr_dispatch_ptr 0
		.amdhsa_user_sgpr_queue_ptr 0
		.amdhsa_user_sgpr_kernarg_segment_ptr 1
		.amdhsa_user_sgpr_dispatch_id 0
		.amdhsa_user_sgpr_kernarg_preload_length 0
		.amdhsa_user_sgpr_kernarg_preload_offset 0
		.amdhsa_user_sgpr_private_segment_size 0
		.amdhsa_wavefront_size32 1
		.amdhsa_uses_dynamic_stack 0
		.amdhsa_enable_private_segment 0
		.amdhsa_system_sgpr_workgroup_id_x 1
		.amdhsa_system_sgpr_workgroup_id_y 0
		.amdhsa_system_sgpr_workgroup_id_z 0
		.amdhsa_system_sgpr_workgroup_info 0
		.amdhsa_system_vgpr_workitem_id 0
		.amdhsa_next_free_vgpr 1
		.amdhsa_next_free_sgpr 1
		.amdhsa_named_barrier_count 0
		.amdhsa_reserve_vcc 0
		.amdhsa_float_round_mode_32 0
		.amdhsa_float_round_mode_16_64 0
		.amdhsa_float_denorm_mode_32 3
		.amdhsa_float_denorm_mode_16_64 3
		.amdhsa_fp16_overflow 0
		.amdhsa_memory_ordered 1
		.amdhsa_forward_progress 1
		.amdhsa_inst_pref_size 0
		.amdhsa_round_robin_scheduling 0
		.amdhsa_exception_fp_ieee_invalid_op 0
		.amdhsa_exception_fp_denorm_src 0
		.amdhsa_exception_fp_ieee_div_zero 0
		.amdhsa_exception_fp_ieee_overflow 0
		.amdhsa_exception_fp_ieee_underflow 0
		.amdhsa_exception_fp_ieee_inexact 0
		.amdhsa_exception_int_div_zero 0
	.end_amdhsa_kernel
	.section	.text._ZN7rocprim17ROCPRIM_400000_NS6detail17trampoline_kernelINS0_14default_configENS1_27scan_by_key_config_selectorIllEEZZNS1_16scan_by_key_implILNS1_25lookback_scan_determinismE0ELb0ES3_PKlN6hipcub16HIPCUB_304000_NS21ConstantInputIteratorIllEEPllNSB_3SumENSB_8EqualityElEE10hipError_tPvRmT2_T3_T4_T5_mT6_T7_P12ihipStream_tbENKUlT_T0_E_clISt17integral_constantIbLb1EESX_EEDaSS_ST_EUlSS_E_NS1_11comp_targetILNS1_3genE8ELNS1_11target_archE1030ELNS1_3gpuE2ELNS1_3repE0EEENS1_30default_config_static_selectorELNS0_4arch9wavefront6targetE0EEEvT1_,"axG",@progbits,_ZN7rocprim17ROCPRIM_400000_NS6detail17trampoline_kernelINS0_14default_configENS1_27scan_by_key_config_selectorIllEEZZNS1_16scan_by_key_implILNS1_25lookback_scan_determinismE0ELb0ES3_PKlN6hipcub16HIPCUB_304000_NS21ConstantInputIteratorIllEEPllNSB_3SumENSB_8EqualityElEE10hipError_tPvRmT2_T3_T4_T5_mT6_T7_P12ihipStream_tbENKUlT_T0_E_clISt17integral_constantIbLb1EESX_EEDaSS_ST_EUlSS_E_NS1_11comp_targetILNS1_3genE8ELNS1_11target_archE1030ELNS1_3gpuE2ELNS1_3repE0EEENS1_30default_config_static_selectorELNS0_4arch9wavefront6targetE0EEEvT1_,comdat
.Lfunc_end113:
	.size	_ZN7rocprim17ROCPRIM_400000_NS6detail17trampoline_kernelINS0_14default_configENS1_27scan_by_key_config_selectorIllEEZZNS1_16scan_by_key_implILNS1_25lookback_scan_determinismE0ELb0ES3_PKlN6hipcub16HIPCUB_304000_NS21ConstantInputIteratorIllEEPllNSB_3SumENSB_8EqualityElEE10hipError_tPvRmT2_T3_T4_T5_mT6_T7_P12ihipStream_tbENKUlT_T0_E_clISt17integral_constantIbLb1EESX_EEDaSS_ST_EUlSS_E_NS1_11comp_targetILNS1_3genE8ELNS1_11target_archE1030ELNS1_3gpuE2ELNS1_3repE0EEENS1_30default_config_static_selectorELNS0_4arch9wavefront6targetE0EEEvT1_, .Lfunc_end113-_ZN7rocprim17ROCPRIM_400000_NS6detail17trampoline_kernelINS0_14default_configENS1_27scan_by_key_config_selectorIllEEZZNS1_16scan_by_key_implILNS1_25lookback_scan_determinismE0ELb0ES3_PKlN6hipcub16HIPCUB_304000_NS21ConstantInputIteratorIllEEPllNSB_3SumENSB_8EqualityElEE10hipError_tPvRmT2_T3_T4_T5_mT6_T7_P12ihipStream_tbENKUlT_T0_E_clISt17integral_constantIbLb1EESX_EEDaSS_ST_EUlSS_E_NS1_11comp_targetILNS1_3genE8ELNS1_11target_archE1030ELNS1_3gpuE2ELNS1_3repE0EEENS1_30default_config_static_selectorELNS0_4arch9wavefront6targetE0EEEvT1_
                                        ; -- End function
	.set _ZN7rocprim17ROCPRIM_400000_NS6detail17trampoline_kernelINS0_14default_configENS1_27scan_by_key_config_selectorIllEEZZNS1_16scan_by_key_implILNS1_25lookback_scan_determinismE0ELb0ES3_PKlN6hipcub16HIPCUB_304000_NS21ConstantInputIteratorIllEEPllNSB_3SumENSB_8EqualityElEE10hipError_tPvRmT2_T3_T4_T5_mT6_T7_P12ihipStream_tbENKUlT_T0_E_clISt17integral_constantIbLb1EESX_EEDaSS_ST_EUlSS_E_NS1_11comp_targetILNS1_3genE8ELNS1_11target_archE1030ELNS1_3gpuE2ELNS1_3repE0EEENS1_30default_config_static_selectorELNS0_4arch9wavefront6targetE0EEEvT1_.num_vgpr, 0
	.set _ZN7rocprim17ROCPRIM_400000_NS6detail17trampoline_kernelINS0_14default_configENS1_27scan_by_key_config_selectorIllEEZZNS1_16scan_by_key_implILNS1_25lookback_scan_determinismE0ELb0ES3_PKlN6hipcub16HIPCUB_304000_NS21ConstantInputIteratorIllEEPllNSB_3SumENSB_8EqualityElEE10hipError_tPvRmT2_T3_T4_T5_mT6_T7_P12ihipStream_tbENKUlT_T0_E_clISt17integral_constantIbLb1EESX_EEDaSS_ST_EUlSS_E_NS1_11comp_targetILNS1_3genE8ELNS1_11target_archE1030ELNS1_3gpuE2ELNS1_3repE0EEENS1_30default_config_static_selectorELNS0_4arch9wavefront6targetE0EEEvT1_.num_agpr, 0
	.set _ZN7rocprim17ROCPRIM_400000_NS6detail17trampoline_kernelINS0_14default_configENS1_27scan_by_key_config_selectorIllEEZZNS1_16scan_by_key_implILNS1_25lookback_scan_determinismE0ELb0ES3_PKlN6hipcub16HIPCUB_304000_NS21ConstantInputIteratorIllEEPllNSB_3SumENSB_8EqualityElEE10hipError_tPvRmT2_T3_T4_T5_mT6_T7_P12ihipStream_tbENKUlT_T0_E_clISt17integral_constantIbLb1EESX_EEDaSS_ST_EUlSS_E_NS1_11comp_targetILNS1_3genE8ELNS1_11target_archE1030ELNS1_3gpuE2ELNS1_3repE0EEENS1_30default_config_static_selectorELNS0_4arch9wavefront6targetE0EEEvT1_.numbered_sgpr, 0
	.set _ZN7rocprim17ROCPRIM_400000_NS6detail17trampoline_kernelINS0_14default_configENS1_27scan_by_key_config_selectorIllEEZZNS1_16scan_by_key_implILNS1_25lookback_scan_determinismE0ELb0ES3_PKlN6hipcub16HIPCUB_304000_NS21ConstantInputIteratorIllEEPllNSB_3SumENSB_8EqualityElEE10hipError_tPvRmT2_T3_T4_T5_mT6_T7_P12ihipStream_tbENKUlT_T0_E_clISt17integral_constantIbLb1EESX_EEDaSS_ST_EUlSS_E_NS1_11comp_targetILNS1_3genE8ELNS1_11target_archE1030ELNS1_3gpuE2ELNS1_3repE0EEENS1_30default_config_static_selectorELNS0_4arch9wavefront6targetE0EEEvT1_.num_named_barrier, 0
	.set _ZN7rocprim17ROCPRIM_400000_NS6detail17trampoline_kernelINS0_14default_configENS1_27scan_by_key_config_selectorIllEEZZNS1_16scan_by_key_implILNS1_25lookback_scan_determinismE0ELb0ES3_PKlN6hipcub16HIPCUB_304000_NS21ConstantInputIteratorIllEEPllNSB_3SumENSB_8EqualityElEE10hipError_tPvRmT2_T3_T4_T5_mT6_T7_P12ihipStream_tbENKUlT_T0_E_clISt17integral_constantIbLb1EESX_EEDaSS_ST_EUlSS_E_NS1_11comp_targetILNS1_3genE8ELNS1_11target_archE1030ELNS1_3gpuE2ELNS1_3repE0EEENS1_30default_config_static_selectorELNS0_4arch9wavefront6targetE0EEEvT1_.private_seg_size, 0
	.set _ZN7rocprim17ROCPRIM_400000_NS6detail17trampoline_kernelINS0_14default_configENS1_27scan_by_key_config_selectorIllEEZZNS1_16scan_by_key_implILNS1_25lookback_scan_determinismE0ELb0ES3_PKlN6hipcub16HIPCUB_304000_NS21ConstantInputIteratorIllEEPllNSB_3SumENSB_8EqualityElEE10hipError_tPvRmT2_T3_T4_T5_mT6_T7_P12ihipStream_tbENKUlT_T0_E_clISt17integral_constantIbLb1EESX_EEDaSS_ST_EUlSS_E_NS1_11comp_targetILNS1_3genE8ELNS1_11target_archE1030ELNS1_3gpuE2ELNS1_3repE0EEENS1_30default_config_static_selectorELNS0_4arch9wavefront6targetE0EEEvT1_.uses_vcc, 0
	.set _ZN7rocprim17ROCPRIM_400000_NS6detail17trampoline_kernelINS0_14default_configENS1_27scan_by_key_config_selectorIllEEZZNS1_16scan_by_key_implILNS1_25lookback_scan_determinismE0ELb0ES3_PKlN6hipcub16HIPCUB_304000_NS21ConstantInputIteratorIllEEPllNSB_3SumENSB_8EqualityElEE10hipError_tPvRmT2_T3_T4_T5_mT6_T7_P12ihipStream_tbENKUlT_T0_E_clISt17integral_constantIbLb1EESX_EEDaSS_ST_EUlSS_E_NS1_11comp_targetILNS1_3genE8ELNS1_11target_archE1030ELNS1_3gpuE2ELNS1_3repE0EEENS1_30default_config_static_selectorELNS0_4arch9wavefront6targetE0EEEvT1_.uses_flat_scratch, 0
	.set _ZN7rocprim17ROCPRIM_400000_NS6detail17trampoline_kernelINS0_14default_configENS1_27scan_by_key_config_selectorIllEEZZNS1_16scan_by_key_implILNS1_25lookback_scan_determinismE0ELb0ES3_PKlN6hipcub16HIPCUB_304000_NS21ConstantInputIteratorIllEEPllNSB_3SumENSB_8EqualityElEE10hipError_tPvRmT2_T3_T4_T5_mT6_T7_P12ihipStream_tbENKUlT_T0_E_clISt17integral_constantIbLb1EESX_EEDaSS_ST_EUlSS_E_NS1_11comp_targetILNS1_3genE8ELNS1_11target_archE1030ELNS1_3gpuE2ELNS1_3repE0EEENS1_30default_config_static_selectorELNS0_4arch9wavefront6targetE0EEEvT1_.has_dyn_sized_stack, 0
	.set _ZN7rocprim17ROCPRIM_400000_NS6detail17trampoline_kernelINS0_14default_configENS1_27scan_by_key_config_selectorIllEEZZNS1_16scan_by_key_implILNS1_25lookback_scan_determinismE0ELb0ES3_PKlN6hipcub16HIPCUB_304000_NS21ConstantInputIteratorIllEEPllNSB_3SumENSB_8EqualityElEE10hipError_tPvRmT2_T3_T4_T5_mT6_T7_P12ihipStream_tbENKUlT_T0_E_clISt17integral_constantIbLb1EESX_EEDaSS_ST_EUlSS_E_NS1_11comp_targetILNS1_3genE8ELNS1_11target_archE1030ELNS1_3gpuE2ELNS1_3repE0EEENS1_30default_config_static_selectorELNS0_4arch9wavefront6targetE0EEEvT1_.has_recursion, 0
	.set _ZN7rocprim17ROCPRIM_400000_NS6detail17trampoline_kernelINS0_14default_configENS1_27scan_by_key_config_selectorIllEEZZNS1_16scan_by_key_implILNS1_25lookback_scan_determinismE0ELb0ES3_PKlN6hipcub16HIPCUB_304000_NS21ConstantInputIteratorIllEEPllNSB_3SumENSB_8EqualityElEE10hipError_tPvRmT2_T3_T4_T5_mT6_T7_P12ihipStream_tbENKUlT_T0_E_clISt17integral_constantIbLb1EESX_EEDaSS_ST_EUlSS_E_NS1_11comp_targetILNS1_3genE8ELNS1_11target_archE1030ELNS1_3gpuE2ELNS1_3repE0EEENS1_30default_config_static_selectorELNS0_4arch9wavefront6targetE0EEEvT1_.has_indirect_call, 0
	.section	.AMDGPU.csdata,"",@progbits
; Kernel info:
; codeLenInByte = 0
; TotalNumSgprs: 0
; NumVgprs: 0
; ScratchSize: 0
; MemoryBound: 0
; FloatMode: 240
; IeeeMode: 1
; LDSByteSize: 0 bytes/workgroup (compile time only)
; SGPRBlocks: 0
; VGPRBlocks: 0
; NumSGPRsForWavesPerEU: 1
; NumVGPRsForWavesPerEU: 1
; NamedBarCnt: 0
; Occupancy: 16
; WaveLimiterHint : 0
; COMPUTE_PGM_RSRC2:SCRATCH_EN: 0
; COMPUTE_PGM_RSRC2:USER_SGPR: 2
; COMPUTE_PGM_RSRC2:TRAP_HANDLER: 0
; COMPUTE_PGM_RSRC2:TGID_X_EN: 1
; COMPUTE_PGM_RSRC2:TGID_Y_EN: 0
; COMPUTE_PGM_RSRC2:TGID_Z_EN: 0
; COMPUTE_PGM_RSRC2:TIDIG_COMP_CNT: 0
	.section	.text._ZN7rocprim17ROCPRIM_400000_NS6detail30init_device_scan_by_key_kernelINS1_19lookback_scan_stateINS0_5tupleIJlbEEELb1ELb0EEEPKljNS1_16block_id_wrapperIjLb0EEEEEvT_jjPNSB_10value_typeET0_PNSt15iterator_traitsISE_E10value_typeEmT1_T2_,"axG",@progbits,_ZN7rocprim17ROCPRIM_400000_NS6detail30init_device_scan_by_key_kernelINS1_19lookback_scan_stateINS0_5tupleIJlbEEELb1ELb0EEEPKljNS1_16block_id_wrapperIjLb0EEEEEvT_jjPNSB_10value_typeET0_PNSt15iterator_traitsISE_E10value_typeEmT1_T2_,comdat
	.protected	_ZN7rocprim17ROCPRIM_400000_NS6detail30init_device_scan_by_key_kernelINS1_19lookback_scan_stateINS0_5tupleIJlbEEELb1ELb0EEEPKljNS1_16block_id_wrapperIjLb0EEEEEvT_jjPNSB_10value_typeET0_PNSt15iterator_traitsISE_E10value_typeEmT1_T2_ ; -- Begin function _ZN7rocprim17ROCPRIM_400000_NS6detail30init_device_scan_by_key_kernelINS1_19lookback_scan_stateINS0_5tupleIJlbEEELb1ELb0EEEPKljNS1_16block_id_wrapperIjLb0EEEEEvT_jjPNSB_10value_typeET0_PNSt15iterator_traitsISE_E10value_typeEmT1_T2_
	.globl	_ZN7rocprim17ROCPRIM_400000_NS6detail30init_device_scan_by_key_kernelINS1_19lookback_scan_stateINS0_5tupleIJlbEEELb1ELb0EEEPKljNS1_16block_id_wrapperIjLb0EEEEEvT_jjPNSB_10value_typeET0_PNSt15iterator_traitsISE_E10value_typeEmT1_T2_
	.p2align	8
	.type	_ZN7rocprim17ROCPRIM_400000_NS6detail30init_device_scan_by_key_kernelINS1_19lookback_scan_stateINS0_5tupleIJlbEEELb1ELb0EEEPKljNS1_16block_id_wrapperIjLb0EEEEEvT_jjPNSB_10value_typeET0_PNSt15iterator_traitsISE_E10value_typeEmT1_T2_,@function
_ZN7rocprim17ROCPRIM_400000_NS6detail30init_device_scan_by_key_kernelINS1_19lookback_scan_stateINS0_5tupleIJlbEEELb1ELb0EEEPKljNS1_16block_id_wrapperIjLb0EEEEEvT_jjPNSB_10value_typeET0_PNSt15iterator_traitsISE_E10value_typeEmT1_T2_: ; @_ZN7rocprim17ROCPRIM_400000_NS6detail30init_device_scan_by_key_kernelINS1_19lookback_scan_stateINS0_5tupleIJlbEEELb1ELb0EEEPKljNS1_16block_id_wrapperIjLb0EEEEEvT_jjPNSB_10value_typeET0_PNSt15iterator_traitsISE_E10value_typeEmT1_T2_
; %bb.0:
	s_clause 0x2
	s_load_b32 s2, s[0:1], 0x54
	s_load_b32 s18, s[0:1], 0x48
	s_load_b256 s[4:11], s[0:1], 0x10
	s_bfe_u32 s3, ttmp6, 0x4000c
	s_and_b32 s12, ttmp6, 15
	s_add_co_i32 s3, s3, 1
	s_getreg_b32 s13, hwreg(HW_REG_IB_STS2, 6, 4)
	s_mul_i32 s3, ttmp9, s3
	s_delay_alu instid0(SALU_CYCLE_1)
	s_add_co_i32 s12, s12, s3
	s_wait_kmcnt 0x0
	s_and_b32 s19, s2, 0xffff
	s_cmp_eq_u32 s13, 0
	s_cselect_b32 s2, ttmp9, s12
	s_cmp_eq_u64 s[8:9], 0
	v_mad_u32 v0, s2, s19, v0
	s_cbranch_scc1 .LBB114_9
; %bb.1:
	s_cmp_lt_u32 s7, s6
	s_mov_b32 s20, exec_lo
	s_cselect_b32 s2, s7, 0
	s_delay_alu instid0(VALU_DEP_1) | instid1(SALU_CYCLE_1)
	v_cmpx_eq_u32_e64 s2, v0
	s_cbranch_execz .LBB114_8
; %bb.2:
	s_add_co_i32 s2, s7, 32
	s_load_b128 s[12:15], s[0:1], 0x0
	v_mov_b32_e32 v1, s2
	s_mov_b32 s3, 0
	global_load_u8 v1, v1, s[4:5] scope:SCOPE_DEV
	s_wait_loadcnt 0x0
	v_and_b32_e32 v2, 0xffff, v1
	v_readfirstlane_b32 s21, v1
	s_delay_alu instid0(VALU_DEP_2)
	v_cmp_ne_u32_e32 vcc_lo, 0, v2
	s_cbranch_vccnz .LBB114_7
; %bb.3:
	v_mov_b32_e32 v1, 0
	s_add_nc_u64 s[16:17], s[4:5], s[2:3]
	s_mov_b32 s7, 1
.LBB114_4:                              ; =>This Loop Header: Depth=1
                                        ;     Child Loop BB114_5 Depth 2
	s_delay_alu instid0(SALU_CYCLE_1)
	s_mov_b32 s21, s7
.LBB114_5:                              ;   Parent Loop BB114_4 Depth=1
                                        ; =>  This Inner Loop Header: Depth=2
	s_delay_alu instid0(SALU_CYCLE_1)
	s_add_co_i32 s21, s21, -1
	s_sleep 1
	s_cmp_eq_u32 s21, 0
	s_cbranch_scc0 .LBB114_5
; %bb.6:                                ;   in Loop: Header=BB114_4 Depth=1
	global_load_u8 v2, v1, s[16:17] scope:SCOPE_DEV
	s_cmp_lt_u32 s7, 32
	s_cselect_b32 s21, -1, 0
	s_delay_alu instid0(SALU_CYCLE_1) | instskip(SKIP_4) | instid1(VALU_DEP_2)
	s_cmp_lg_u32 s21, 0
	s_add_co_ci_u32 s7, s7, 0
	s_wait_loadcnt 0x0
	v_and_b32_e32 v3, 0xffff, v2
	v_readfirstlane_b32 s21, v2
	v_cmp_ne_u32_e32 vcc_lo, 0, v3
	s_cbranch_vccz .LBB114_4
.LBB114_7:
	s_and_b32 s7, 0xffff, s21
	v_mov_b32_e32 v1, 0
	s_cmp_eq_u32 s7, 1
	global_wb scope:SCOPE_DEV
	s_wait_storecnt 0x0
	global_inv scope:SCOPE_DEV
	s_wait_kmcnt 0x0
	s_cselect_b32 s13, s13, s15
	s_cselect_b32 s12, s12, s14
	s_lshl_b64 s[2:3], s[2:3], 4
	s_delay_alu instid0(SALU_CYCLE_1)
	s_add_nc_u64 s[2:3], s[12:13], s[2:3]
	s_clause 0x1
	global_load_b64 v[2:3], v1, s[2:3]
	global_load_u8 v4, v1, s[2:3] offset:8
	s_wait_loadcnt 0x1
	global_store_b64 v1, v[2:3], s[8:9]
	s_wait_loadcnt 0x0
	global_store_b8 v1, v4, s[8:9] offset:8
.LBB114_8:
	s_wait_xcnt 0x0
	s_or_b32 exec_lo, exec_lo, s20
.LBB114_9:
	s_delay_alu instid0(SALU_CYCLE_1) | instskip(NEXT) | instid1(VALU_DEP_1)
	s_mov_b32 s2, exec_lo
	v_cmpx_gt_u32_e64 s6, v0
	s_cbranch_execz .LBB114_11
; %bb.10:
	v_dual_mov_b32 v2, 0 :: v_dual_add_nc_u32 v1, 32, v0
	global_store_b8 v1, v2, s[4:5]
.LBB114_11:
	s_wait_xcnt 0x0
	s_or_b32 exec_lo, exec_lo, s2
	v_mov_b32_e32 v1, 0
	s_mov_b32 s2, exec_lo
	v_cmpx_gt_u32_e32 32, v0
	s_cbranch_execz .LBB114_13
; %bb.12:
	s_delay_alu instid0(VALU_DEP_2)
	v_add_nc_u64_e32 v[2:3], s[4:5], v[0:1]
	v_mov_b32_e32 v4, 0xff
	global_store_b8 v[2:3], v4, off
.LBB114_13:
	s_wait_xcnt 0x0
	s_or_b32 exec_lo, exec_lo, s2
	s_load_b64 s[2:3], s[0:1], 0x38
	s_mov_b32 s4, exec_lo
	s_wait_kmcnt 0x0
	v_cmpx_gt_u64_e64 s[2:3], v[0:1]
	s_cbranch_execz .LBB114_16
; %bb.14:
	s_clause 0x1
	s_load_b32 s4, s[0:1], 0x40
	s_load_b64 s[6:7], s[0:1], 0x30
	s_mov_b32 s5, 0
	s_wait_xcnt 0x0
	s_mul_i32 s0, s18, s19
	s_mov_b32 s9, s5
	s_mov_b32 s1, s5
	s_wait_kmcnt 0x0
	v_mul_u64_e32 v[2:3], s[4:5], v[0:1]
	s_add_co_i32 s8, s4, -1
	v_lshl_add_u64 v[4:5], v[0:1], 3, s[6:7]
	s_lshl_b64 s[8:9], s[8:9], 3
	s_delay_alu instid0(SALU_CYCLE_1) | instskip(SKIP_1) | instid1(SALU_CYCLE_1)
	s_add_nc_u64 s[8:9], s[10:11], s[8:9]
	s_mul_u64 s[10:11], s[4:5], s[0:1]
	s_lshl_b64 s[6:7], s[10:11], 3
	s_delay_alu instid0(VALU_DEP_2)
	v_lshl_add_u64 v[2:3], v[2:3], 3, s[8:9]
	s_lshl_b64 s[8:9], s[0:1], 3
.LBB114_15:                             ; =>This Inner Loop Header: Depth=1
	global_load_b64 v[6:7], v[2:3], off
	v_add_nc_u64_e32 v[0:1], s[0:1], v[0:1]
	s_wait_xcnt 0x0
	v_add_nc_u64_e32 v[2:3], s[6:7], v[2:3]
	s_delay_alu instid0(VALU_DEP_2)
	v_cmp_le_u64_e32 vcc_lo, s[2:3], v[0:1]
	s_or_b32 s5, vcc_lo, s5
	s_wait_loadcnt 0x0
	global_store_b64 v[4:5], v[6:7], off
	s_wait_xcnt 0x0
	v_add_nc_u64_e32 v[4:5], s[8:9], v[4:5]
	s_and_not1_b32 exec_lo, exec_lo, s5
	s_cbranch_execnz .LBB114_15
.LBB114_16:
	s_endpgm
	.section	.rodata,"a",@progbits
	.p2align	6, 0x0
	.amdhsa_kernel _ZN7rocprim17ROCPRIM_400000_NS6detail30init_device_scan_by_key_kernelINS1_19lookback_scan_stateINS0_5tupleIJlbEEELb1ELb0EEEPKljNS1_16block_id_wrapperIjLb0EEEEEvT_jjPNSB_10value_typeET0_PNSt15iterator_traitsISE_E10value_typeEmT1_T2_
		.amdhsa_group_segment_fixed_size 0
		.amdhsa_private_segment_fixed_size 0
		.amdhsa_kernarg_size 328
		.amdhsa_user_sgpr_count 2
		.amdhsa_user_sgpr_dispatch_ptr 0
		.amdhsa_user_sgpr_queue_ptr 0
		.amdhsa_user_sgpr_kernarg_segment_ptr 1
		.amdhsa_user_sgpr_dispatch_id 0
		.amdhsa_user_sgpr_kernarg_preload_length 0
		.amdhsa_user_sgpr_kernarg_preload_offset 0
		.amdhsa_user_sgpr_private_segment_size 0
		.amdhsa_wavefront_size32 1
		.amdhsa_uses_dynamic_stack 0
		.amdhsa_enable_private_segment 0
		.amdhsa_system_sgpr_workgroup_id_x 1
		.amdhsa_system_sgpr_workgroup_id_y 0
		.amdhsa_system_sgpr_workgroup_id_z 0
		.amdhsa_system_sgpr_workgroup_info 0
		.amdhsa_system_vgpr_workitem_id 0
		.amdhsa_next_free_vgpr 8
		.amdhsa_next_free_sgpr 22
		.amdhsa_named_barrier_count 0
		.amdhsa_reserve_vcc 1
		.amdhsa_float_round_mode_32 0
		.amdhsa_float_round_mode_16_64 0
		.amdhsa_float_denorm_mode_32 3
		.amdhsa_float_denorm_mode_16_64 3
		.amdhsa_fp16_overflow 0
		.amdhsa_memory_ordered 1
		.amdhsa_forward_progress 1
		.amdhsa_inst_pref_size 6
		.amdhsa_round_robin_scheduling 0
		.amdhsa_exception_fp_ieee_invalid_op 0
		.amdhsa_exception_fp_denorm_src 0
		.amdhsa_exception_fp_ieee_div_zero 0
		.amdhsa_exception_fp_ieee_overflow 0
		.amdhsa_exception_fp_ieee_underflow 0
		.amdhsa_exception_fp_ieee_inexact 0
		.amdhsa_exception_int_div_zero 0
	.end_amdhsa_kernel
	.section	.text._ZN7rocprim17ROCPRIM_400000_NS6detail30init_device_scan_by_key_kernelINS1_19lookback_scan_stateINS0_5tupleIJlbEEELb1ELb0EEEPKljNS1_16block_id_wrapperIjLb0EEEEEvT_jjPNSB_10value_typeET0_PNSt15iterator_traitsISE_E10value_typeEmT1_T2_,"axG",@progbits,_ZN7rocprim17ROCPRIM_400000_NS6detail30init_device_scan_by_key_kernelINS1_19lookback_scan_stateINS0_5tupleIJlbEEELb1ELb0EEEPKljNS1_16block_id_wrapperIjLb0EEEEEvT_jjPNSB_10value_typeET0_PNSt15iterator_traitsISE_E10value_typeEmT1_T2_,comdat
.Lfunc_end114:
	.size	_ZN7rocprim17ROCPRIM_400000_NS6detail30init_device_scan_by_key_kernelINS1_19lookback_scan_stateINS0_5tupleIJlbEEELb1ELb0EEEPKljNS1_16block_id_wrapperIjLb0EEEEEvT_jjPNSB_10value_typeET0_PNSt15iterator_traitsISE_E10value_typeEmT1_T2_, .Lfunc_end114-_ZN7rocprim17ROCPRIM_400000_NS6detail30init_device_scan_by_key_kernelINS1_19lookback_scan_stateINS0_5tupleIJlbEEELb1ELb0EEEPKljNS1_16block_id_wrapperIjLb0EEEEEvT_jjPNSB_10value_typeET0_PNSt15iterator_traitsISE_E10value_typeEmT1_T2_
                                        ; -- End function
	.set _ZN7rocprim17ROCPRIM_400000_NS6detail30init_device_scan_by_key_kernelINS1_19lookback_scan_stateINS0_5tupleIJlbEEELb1ELb0EEEPKljNS1_16block_id_wrapperIjLb0EEEEEvT_jjPNSB_10value_typeET0_PNSt15iterator_traitsISE_E10value_typeEmT1_T2_.num_vgpr, 8
	.set _ZN7rocprim17ROCPRIM_400000_NS6detail30init_device_scan_by_key_kernelINS1_19lookback_scan_stateINS0_5tupleIJlbEEELb1ELb0EEEPKljNS1_16block_id_wrapperIjLb0EEEEEvT_jjPNSB_10value_typeET0_PNSt15iterator_traitsISE_E10value_typeEmT1_T2_.num_agpr, 0
	.set _ZN7rocprim17ROCPRIM_400000_NS6detail30init_device_scan_by_key_kernelINS1_19lookback_scan_stateINS0_5tupleIJlbEEELb1ELb0EEEPKljNS1_16block_id_wrapperIjLb0EEEEEvT_jjPNSB_10value_typeET0_PNSt15iterator_traitsISE_E10value_typeEmT1_T2_.numbered_sgpr, 22
	.set _ZN7rocprim17ROCPRIM_400000_NS6detail30init_device_scan_by_key_kernelINS1_19lookback_scan_stateINS0_5tupleIJlbEEELb1ELb0EEEPKljNS1_16block_id_wrapperIjLb0EEEEEvT_jjPNSB_10value_typeET0_PNSt15iterator_traitsISE_E10value_typeEmT1_T2_.num_named_barrier, 0
	.set _ZN7rocprim17ROCPRIM_400000_NS6detail30init_device_scan_by_key_kernelINS1_19lookback_scan_stateINS0_5tupleIJlbEEELb1ELb0EEEPKljNS1_16block_id_wrapperIjLb0EEEEEvT_jjPNSB_10value_typeET0_PNSt15iterator_traitsISE_E10value_typeEmT1_T2_.private_seg_size, 0
	.set _ZN7rocprim17ROCPRIM_400000_NS6detail30init_device_scan_by_key_kernelINS1_19lookback_scan_stateINS0_5tupleIJlbEEELb1ELb0EEEPKljNS1_16block_id_wrapperIjLb0EEEEEvT_jjPNSB_10value_typeET0_PNSt15iterator_traitsISE_E10value_typeEmT1_T2_.uses_vcc, 1
	.set _ZN7rocprim17ROCPRIM_400000_NS6detail30init_device_scan_by_key_kernelINS1_19lookback_scan_stateINS0_5tupleIJlbEEELb1ELb0EEEPKljNS1_16block_id_wrapperIjLb0EEEEEvT_jjPNSB_10value_typeET0_PNSt15iterator_traitsISE_E10value_typeEmT1_T2_.uses_flat_scratch, 0
	.set _ZN7rocprim17ROCPRIM_400000_NS6detail30init_device_scan_by_key_kernelINS1_19lookback_scan_stateINS0_5tupleIJlbEEELb1ELb0EEEPKljNS1_16block_id_wrapperIjLb0EEEEEvT_jjPNSB_10value_typeET0_PNSt15iterator_traitsISE_E10value_typeEmT1_T2_.has_dyn_sized_stack, 0
	.set _ZN7rocprim17ROCPRIM_400000_NS6detail30init_device_scan_by_key_kernelINS1_19lookback_scan_stateINS0_5tupleIJlbEEELb1ELb0EEEPKljNS1_16block_id_wrapperIjLb0EEEEEvT_jjPNSB_10value_typeET0_PNSt15iterator_traitsISE_E10value_typeEmT1_T2_.has_recursion, 0
	.set _ZN7rocprim17ROCPRIM_400000_NS6detail30init_device_scan_by_key_kernelINS1_19lookback_scan_stateINS0_5tupleIJlbEEELb1ELb0EEEPKljNS1_16block_id_wrapperIjLb0EEEEEvT_jjPNSB_10value_typeET0_PNSt15iterator_traitsISE_E10value_typeEmT1_T2_.has_indirect_call, 0
	.section	.AMDGPU.csdata,"",@progbits
; Kernel info:
; codeLenInByte = 712
; TotalNumSgprs: 24
; NumVgprs: 8
; ScratchSize: 0
; MemoryBound: 0
; FloatMode: 240
; IeeeMode: 1
; LDSByteSize: 0 bytes/workgroup (compile time only)
; SGPRBlocks: 0
; VGPRBlocks: 0
; NumSGPRsForWavesPerEU: 24
; NumVGPRsForWavesPerEU: 8
; NamedBarCnt: 0
; Occupancy: 16
; WaveLimiterHint : 0
; COMPUTE_PGM_RSRC2:SCRATCH_EN: 0
; COMPUTE_PGM_RSRC2:USER_SGPR: 2
; COMPUTE_PGM_RSRC2:TRAP_HANDLER: 0
; COMPUTE_PGM_RSRC2:TGID_X_EN: 1
; COMPUTE_PGM_RSRC2:TGID_Y_EN: 0
; COMPUTE_PGM_RSRC2:TGID_Z_EN: 0
; COMPUTE_PGM_RSRC2:TIDIG_COMP_CNT: 0
	.section	.text._ZN7rocprim17ROCPRIM_400000_NS6detail30init_device_scan_by_key_kernelINS1_19lookback_scan_stateINS0_5tupleIJlbEEELb1ELb0EEENS1_16block_id_wrapperIjLb0EEEEEvT_jjPNS9_10value_typeET0_,"axG",@progbits,_ZN7rocprim17ROCPRIM_400000_NS6detail30init_device_scan_by_key_kernelINS1_19lookback_scan_stateINS0_5tupleIJlbEEELb1ELb0EEENS1_16block_id_wrapperIjLb0EEEEEvT_jjPNS9_10value_typeET0_,comdat
	.protected	_ZN7rocprim17ROCPRIM_400000_NS6detail30init_device_scan_by_key_kernelINS1_19lookback_scan_stateINS0_5tupleIJlbEEELb1ELb0EEENS1_16block_id_wrapperIjLb0EEEEEvT_jjPNS9_10value_typeET0_ ; -- Begin function _ZN7rocprim17ROCPRIM_400000_NS6detail30init_device_scan_by_key_kernelINS1_19lookback_scan_stateINS0_5tupleIJlbEEELb1ELb0EEENS1_16block_id_wrapperIjLb0EEEEEvT_jjPNS9_10value_typeET0_
	.globl	_ZN7rocprim17ROCPRIM_400000_NS6detail30init_device_scan_by_key_kernelINS1_19lookback_scan_stateINS0_5tupleIJlbEEELb1ELb0EEENS1_16block_id_wrapperIjLb0EEEEEvT_jjPNS9_10value_typeET0_
	.p2align	8
	.type	_ZN7rocprim17ROCPRIM_400000_NS6detail30init_device_scan_by_key_kernelINS1_19lookback_scan_stateINS0_5tupleIJlbEEELb1ELb0EEENS1_16block_id_wrapperIjLb0EEEEEvT_jjPNS9_10value_typeET0_,@function
_ZN7rocprim17ROCPRIM_400000_NS6detail30init_device_scan_by_key_kernelINS1_19lookback_scan_stateINS0_5tupleIJlbEEELb1ELb0EEENS1_16block_id_wrapperIjLb0EEEEEvT_jjPNS9_10value_typeET0_: ; @_ZN7rocprim17ROCPRIM_400000_NS6detail30init_device_scan_by_key_kernelINS1_19lookback_scan_stateINS0_5tupleIJlbEEELb1ELb0EEENS1_16block_id_wrapperIjLb0EEEEEvT_jjPNS9_10value_typeET0_
; %bb.0:
	s_clause 0x2
	s_load_b32 s8, s[0:1], 0x3c
	s_load_b128 s[4:7], s[0:1], 0x10
	s_load_b64 s[2:3], s[0:1], 0x20
	s_bfe_u32 s9, ttmp6, 0x4000c
	s_and_b32 s10, ttmp6, 15
	s_add_co_i32 s9, s9, 1
	s_getreg_b32 s11, hwreg(HW_REG_IB_STS2, 6, 4)
	s_mul_i32 s9, ttmp9, s9
	s_delay_alu instid0(SALU_CYCLE_1)
	s_add_co_i32 s10, s10, s9
	s_wait_kmcnt 0x0
	s_and_b32 s8, s8, 0xffff
	s_cmp_eq_u32 s11, 0
	s_cselect_b32 s9, ttmp9, s10
	s_cmp_eq_u64 s[2:3], 0
	v_mad_u32 v0, s9, s8, v0
	s_cbranch_scc1 .LBB115_9
; %bb.1:
	s_cmp_lt_u32 s7, s6
	s_mov_b32 s14, exec_lo
	s_cselect_b32 s8, s7, 0
	s_delay_alu instid0(VALU_DEP_1) | instid1(SALU_CYCLE_1)
	v_cmpx_eq_u32_e64 s8, v0
	s_cbranch_execz .LBB115_8
; %bb.2:
	s_add_co_i32 s12, s7, 32
	s_load_b128 s[8:11], s[0:1], 0x0
	v_mov_b32_e32 v1, s12
	s_mov_b32 s13, 0
	global_load_u8 v1, v1, s[4:5] scope:SCOPE_DEV
	s_wait_loadcnt 0x0
	v_and_b32_e32 v2, 0xffff, v1
	v_readfirstlane_b32 s15, v1
	s_delay_alu instid0(VALU_DEP_2)
	v_cmp_ne_u32_e32 vcc_lo, 0, v2
	s_cbranch_vccnz .LBB115_7
; %bb.3:
	v_mov_b32_e32 v1, 0
	s_add_nc_u64 s[0:1], s[4:5], s[12:13]
	s_mov_b32 s7, 1
.LBB115_4:                              ; =>This Loop Header: Depth=1
                                        ;     Child Loop BB115_5 Depth 2
	s_delay_alu instid0(SALU_CYCLE_1)
	s_mov_b32 s15, s7
.LBB115_5:                              ;   Parent Loop BB115_4 Depth=1
                                        ; =>  This Inner Loop Header: Depth=2
	s_delay_alu instid0(SALU_CYCLE_1)
	s_add_co_i32 s15, s15, -1
	s_sleep 1
	s_cmp_eq_u32 s15, 0
	s_cbranch_scc0 .LBB115_5
; %bb.6:                                ;   in Loop: Header=BB115_4 Depth=1
	global_load_u8 v2, v1, s[0:1] scope:SCOPE_DEV
	s_cmp_lt_u32 s7, 32
	s_cselect_b32 s15, -1, 0
	s_delay_alu instid0(SALU_CYCLE_1) | instskip(SKIP_4) | instid1(VALU_DEP_2)
	s_cmp_lg_u32 s15, 0
	s_add_co_ci_u32 s7, s7, 0
	s_wait_loadcnt 0x0
	v_and_b32_e32 v3, 0xffff, v2
	v_readfirstlane_b32 s15, v2
	v_cmp_ne_u32_e32 vcc_lo, 0, v3
	s_cbranch_vccz .LBB115_4
.LBB115_7:
	s_and_b32 s0, 0xffff, s15
	v_mov_b32_e32 v1, 0
	s_cmp_eq_u32 s0, 1
	global_wb scope:SCOPE_DEV
	s_wait_storecnt 0x0
	global_inv scope:SCOPE_DEV
	s_wait_kmcnt 0x0
	s_cselect_b32 s1, s9, s11
	s_cselect_b32 s0, s8, s10
	s_lshl_b64 s[8:9], s[12:13], 4
	s_delay_alu instid0(SALU_CYCLE_1)
	s_add_nc_u64 s[0:1], s[0:1], s[8:9]
	s_clause 0x1
	global_load_b64 v[2:3], v1, s[0:1]
	global_load_u8 v4, v1, s[0:1] offset:8
	s_wait_loadcnt 0x1
	global_store_b64 v1, v[2:3], s[2:3]
	s_wait_loadcnt 0x0
	global_store_b8 v1, v4, s[2:3] offset:8
.LBB115_8:
	s_wait_xcnt 0x0
	s_or_b32 exec_lo, exec_lo, s14
.LBB115_9:
	s_delay_alu instid0(SALU_CYCLE_1) | instskip(NEXT) | instid1(VALU_DEP_1)
	s_mov_b32 s0, exec_lo
	v_cmpx_gt_u32_e64 s6, v0
	s_cbranch_execz .LBB115_11
; %bb.10:
	v_dual_mov_b32 v2, 0 :: v_dual_add_nc_u32 v1, 32, v0
	global_store_b8 v1, v2, s[4:5]
.LBB115_11:
	s_wait_xcnt 0x0
	s_or_b32 exec_lo, exec_lo, s0
	s_delay_alu instid0(SALU_CYCLE_1)
	s_mov_b32 s0, exec_lo
	v_cmpx_gt_u32_e32 32, v0
	s_cbranch_execz .LBB115_13
; %bb.12:
	v_mov_b32_e32 v1, 0xff
	global_store_b8 v0, v1, s[4:5]
.LBB115_13:
	s_endpgm
	.section	.rodata,"a",@progbits
	.p2align	6, 0x0
	.amdhsa_kernel _ZN7rocprim17ROCPRIM_400000_NS6detail30init_device_scan_by_key_kernelINS1_19lookback_scan_stateINS0_5tupleIJlbEEELb1ELb0EEENS1_16block_id_wrapperIjLb0EEEEEvT_jjPNS9_10value_typeET0_
		.amdhsa_group_segment_fixed_size 0
		.amdhsa_private_segment_fixed_size 0
		.amdhsa_kernarg_size 304
		.amdhsa_user_sgpr_count 2
		.amdhsa_user_sgpr_dispatch_ptr 0
		.amdhsa_user_sgpr_queue_ptr 0
		.amdhsa_user_sgpr_kernarg_segment_ptr 1
		.amdhsa_user_sgpr_dispatch_id 0
		.amdhsa_user_sgpr_kernarg_preload_length 0
		.amdhsa_user_sgpr_kernarg_preload_offset 0
		.amdhsa_user_sgpr_private_segment_size 0
		.amdhsa_wavefront_size32 1
		.amdhsa_uses_dynamic_stack 0
		.amdhsa_enable_private_segment 0
		.amdhsa_system_sgpr_workgroup_id_x 1
		.amdhsa_system_sgpr_workgroup_id_y 0
		.amdhsa_system_sgpr_workgroup_id_z 0
		.amdhsa_system_sgpr_workgroup_info 0
		.amdhsa_system_vgpr_workitem_id 0
		.amdhsa_next_free_vgpr 5
		.amdhsa_next_free_sgpr 16
		.amdhsa_named_barrier_count 0
		.amdhsa_reserve_vcc 1
		.amdhsa_float_round_mode_32 0
		.amdhsa_float_round_mode_16_64 0
		.amdhsa_float_denorm_mode_32 3
		.amdhsa_float_denorm_mode_16_64 3
		.amdhsa_fp16_overflow 0
		.amdhsa_memory_ordered 1
		.amdhsa_forward_progress 1
		.amdhsa_inst_pref_size 4
		.amdhsa_round_robin_scheduling 0
		.amdhsa_exception_fp_ieee_invalid_op 0
		.amdhsa_exception_fp_denorm_src 0
		.amdhsa_exception_fp_ieee_div_zero 0
		.amdhsa_exception_fp_ieee_overflow 0
		.amdhsa_exception_fp_ieee_underflow 0
		.amdhsa_exception_fp_ieee_inexact 0
		.amdhsa_exception_int_div_zero 0
	.end_amdhsa_kernel
	.section	.text._ZN7rocprim17ROCPRIM_400000_NS6detail30init_device_scan_by_key_kernelINS1_19lookback_scan_stateINS0_5tupleIJlbEEELb1ELb0EEENS1_16block_id_wrapperIjLb0EEEEEvT_jjPNS9_10value_typeET0_,"axG",@progbits,_ZN7rocprim17ROCPRIM_400000_NS6detail30init_device_scan_by_key_kernelINS1_19lookback_scan_stateINS0_5tupleIJlbEEELb1ELb0EEENS1_16block_id_wrapperIjLb0EEEEEvT_jjPNS9_10value_typeET0_,comdat
.Lfunc_end115:
	.size	_ZN7rocprim17ROCPRIM_400000_NS6detail30init_device_scan_by_key_kernelINS1_19lookback_scan_stateINS0_5tupleIJlbEEELb1ELb0EEENS1_16block_id_wrapperIjLb0EEEEEvT_jjPNS9_10value_typeET0_, .Lfunc_end115-_ZN7rocprim17ROCPRIM_400000_NS6detail30init_device_scan_by_key_kernelINS1_19lookback_scan_stateINS0_5tupleIJlbEEELb1ELb0EEENS1_16block_id_wrapperIjLb0EEEEEvT_jjPNS9_10value_typeET0_
                                        ; -- End function
	.set _ZN7rocprim17ROCPRIM_400000_NS6detail30init_device_scan_by_key_kernelINS1_19lookback_scan_stateINS0_5tupleIJlbEEELb1ELb0EEENS1_16block_id_wrapperIjLb0EEEEEvT_jjPNS9_10value_typeET0_.num_vgpr, 5
	.set _ZN7rocprim17ROCPRIM_400000_NS6detail30init_device_scan_by_key_kernelINS1_19lookback_scan_stateINS0_5tupleIJlbEEELb1ELb0EEENS1_16block_id_wrapperIjLb0EEEEEvT_jjPNS9_10value_typeET0_.num_agpr, 0
	.set _ZN7rocprim17ROCPRIM_400000_NS6detail30init_device_scan_by_key_kernelINS1_19lookback_scan_stateINS0_5tupleIJlbEEELb1ELb0EEENS1_16block_id_wrapperIjLb0EEEEEvT_jjPNS9_10value_typeET0_.numbered_sgpr, 16
	.set _ZN7rocprim17ROCPRIM_400000_NS6detail30init_device_scan_by_key_kernelINS1_19lookback_scan_stateINS0_5tupleIJlbEEELb1ELb0EEENS1_16block_id_wrapperIjLb0EEEEEvT_jjPNS9_10value_typeET0_.num_named_barrier, 0
	.set _ZN7rocprim17ROCPRIM_400000_NS6detail30init_device_scan_by_key_kernelINS1_19lookback_scan_stateINS0_5tupleIJlbEEELb1ELb0EEENS1_16block_id_wrapperIjLb0EEEEEvT_jjPNS9_10value_typeET0_.private_seg_size, 0
	.set _ZN7rocprim17ROCPRIM_400000_NS6detail30init_device_scan_by_key_kernelINS1_19lookback_scan_stateINS0_5tupleIJlbEEELb1ELb0EEENS1_16block_id_wrapperIjLb0EEEEEvT_jjPNS9_10value_typeET0_.uses_vcc, 1
	.set _ZN7rocprim17ROCPRIM_400000_NS6detail30init_device_scan_by_key_kernelINS1_19lookback_scan_stateINS0_5tupleIJlbEEELb1ELb0EEENS1_16block_id_wrapperIjLb0EEEEEvT_jjPNS9_10value_typeET0_.uses_flat_scratch, 0
	.set _ZN7rocprim17ROCPRIM_400000_NS6detail30init_device_scan_by_key_kernelINS1_19lookback_scan_stateINS0_5tupleIJlbEEELb1ELb0EEENS1_16block_id_wrapperIjLb0EEEEEvT_jjPNS9_10value_typeET0_.has_dyn_sized_stack, 0
	.set _ZN7rocprim17ROCPRIM_400000_NS6detail30init_device_scan_by_key_kernelINS1_19lookback_scan_stateINS0_5tupleIJlbEEELb1ELb0EEENS1_16block_id_wrapperIjLb0EEEEEvT_jjPNS9_10value_typeET0_.has_recursion, 0
	.set _ZN7rocprim17ROCPRIM_400000_NS6detail30init_device_scan_by_key_kernelINS1_19lookback_scan_stateINS0_5tupleIJlbEEELb1ELb0EEENS1_16block_id_wrapperIjLb0EEEEEvT_jjPNS9_10value_typeET0_.has_indirect_call, 0
	.section	.AMDGPU.csdata,"",@progbits
; Kernel info:
; codeLenInByte = 504
; TotalNumSgprs: 18
; NumVgprs: 5
; ScratchSize: 0
; MemoryBound: 0
; FloatMode: 240
; IeeeMode: 1
; LDSByteSize: 0 bytes/workgroup (compile time only)
; SGPRBlocks: 0
; VGPRBlocks: 0
; NumSGPRsForWavesPerEU: 18
; NumVGPRsForWavesPerEU: 5
; NamedBarCnt: 0
; Occupancy: 16
; WaveLimiterHint : 0
; COMPUTE_PGM_RSRC2:SCRATCH_EN: 0
; COMPUTE_PGM_RSRC2:USER_SGPR: 2
; COMPUTE_PGM_RSRC2:TRAP_HANDLER: 0
; COMPUTE_PGM_RSRC2:TGID_X_EN: 1
; COMPUTE_PGM_RSRC2:TGID_Y_EN: 0
; COMPUTE_PGM_RSRC2:TGID_Z_EN: 0
; COMPUTE_PGM_RSRC2:TIDIG_COMP_CNT: 0
	.section	.text._ZN7rocprim17ROCPRIM_400000_NS6detail17trampoline_kernelINS0_14default_configENS1_27scan_by_key_config_selectorIllEEZZNS1_16scan_by_key_implILNS1_25lookback_scan_determinismE0ELb0ES3_PKlN6hipcub16HIPCUB_304000_NS21ConstantInputIteratorIllEEPllNSB_3SumENSB_8EqualityElEE10hipError_tPvRmT2_T3_T4_T5_mT6_T7_P12ihipStream_tbENKUlT_T0_E_clISt17integral_constantIbLb1EESW_IbLb0EEEEDaSS_ST_EUlSS_E_NS1_11comp_targetILNS1_3genE0ELNS1_11target_archE4294967295ELNS1_3gpuE0ELNS1_3repE0EEENS1_30default_config_static_selectorELNS0_4arch9wavefront6targetE0EEEvT1_,"axG",@progbits,_ZN7rocprim17ROCPRIM_400000_NS6detail17trampoline_kernelINS0_14default_configENS1_27scan_by_key_config_selectorIllEEZZNS1_16scan_by_key_implILNS1_25lookback_scan_determinismE0ELb0ES3_PKlN6hipcub16HIPCUB_304000_NS21ConstantInputIteratorIllEEPllNSB_3SumENSB_8EqualityElEE10hipError_tPvRmT2_T3_T4_T5_mT6_T7_P12ihipStream_tbENKUlT_T0_E_clISt17integral_constantIbLb1EESW_IbLb0EEEEDaSS_ST_EUlSS_E_NS1_11comp_targetILNS1_3genE0ELNS1_11target_archE4294967295ELNS1_3gpuE0ELNS1_3repE0EEENS1_30default_config_static_selectorELNS0_4arch9wavefront6targetE0EEEvT1_,comdat
	.protected	_ZN7rocprim17ROCPRIM_400000_NS6detail17trampoline_kernelINS0_14default_configENS1_27scan_by_key_config_selectorIllEEZZNS1_16scan_by_key_implILNS1_25lookback_scan_determinismE0ELb0ES3_PKlN6hipcub16HIPCUB_304000_NS21ConstantInputIteratorIllEEPllNSB_3SumENSB_8EqualityElEE10hipError_tPvRmT2_T3_T4_T5_mT6_T7_P12ihipStream_tbENKUlT_T0_E_clISt17integral_constantIbLb1EESW_IbLb0EEEEDaSS_ST_EUlSS_E_NS1_11comp_targetILNS1_3genE0ELNS1_11target_archE4294967295ELNS1_3gpuE0ELNS1_3repE0EEENS1_30default_config_static_selectorELNS0_4arch9wavefront6targetE0EEEvT1_ ; -- Begin function _ZN7rocprim17ROCPRIM_400000_NS6detail17trampoline_kernelINS0_14default_configENS1_27scan_by_key_config_selectorIllEEZZNS1_16scan_by_key_implILNS1_25lookback_scan_determinismE0ELb0ES3_PKlN6hipcub16HIPCUB_304000_NS21ConstantInputIteratorIllEEPllNSB_3SumENSB_8EqualityElEE10hipError_tPvRmT2_T3_T4_T5_mT6_T7_P12ihipStream_tbENKUlT_T0_E_clISt17integral_constantIbLb1EESW_IbLb0EEEEDaSS_ST_EUlSS_E_NS1_11comp_targetILNS1_3genE0ELNS1_11target_archE4294967295ELNS1_3gpuE0ELNS1_3repE0EEENS1_30default_config_static_selectorELNS0_4arch9wavefront6targetE0EEEvT1_
	.globl	_ZN7rocprim17ROCPRIM_400000_NS6detail17trampoline_kernelINS0_14default_configENS1_27scan_by_key_config_selectorIllEEZZNS1_16scan_by_key_implILNS1_25lookback_scan_determinismE0ELb0ES3_PKlN6hipcub16HIPCUB_304000_NS21ConstantInputIteratorIllEEPllNSB_3SumENSB_8EqualityElEE10hipError_tPvRmT2_T3_T4_T5_mT6_T7_P12ihipStream_tbENKUlT_T0_E_clISt17integral_constantIbLb1EESW_IbLb0EEEEDaSS_ST_EUlSS_E_NS1_11comp_targetILNS1_3genE0ELNS1_11target_archE4294967295ELNS1_3gpuE0ELNS1_3repE0EEENS1_30default_config_static_selectorELNS0_4arch9wavefront6targetE0EEEvT1_
	.p2align	8
	.type	_ZN7rocprim17ROCPRIM_400000_NS6detail17trampoline_kernelINS0_14default_configENS1_27scan_by_key_config_selectorIllEEZZNS1_16scan_by_key_implILNS1_25lookback_scan_determinismE0ELb0ES3_PKlN6hipcub16HIPCUB_304000_NS21ConstantInputIteratorIllEEPllNSB_3SumENSB_8EqualityElEE10hipError_tPvRmT2_T3_T4_T5_mT6_T7_P12ihipStream_tbENKUlT_T0_E_clISt17integral_constantIbLb1EESW_IbLb0EEEEDaSS_ST_EUlSS_E_NS1_11comp_targetILNS1_3genE0ELNS1_11target_archE4294967295ELNS1_3gpuE0ELNS1_3repE0EEENS1_30default_config_static_selectorELNS0_4arch9wavefront6targetE0EEEvT1_,@function
_ZN7rocprim17ROCPRIM_400000_NS6detail17trampoline_kernelINS0_14default_configENS1_27scan_by_key_config_selectorIllEEZZNS1_16scan_by_key_implILNS1_25lookback_scan_determinismE0ELb0ES3_PKlN6hipcub16HIPCUB_304000_NS21ConstantInputIteratorIllEEPllNSB_3SumENSB_8EqualityElEE10hipError_tPvRmT2_T3_T4_T5_mT6_T7_P12ihipStream_tbENKUlT_T0_E_clISt17integral_constantIbLb1EESW_IbLb0EEEEDaSS_ST_EUlSS_E_NS1_11comp_targetILNS1_3genE0ELNS1_11target_archE4294967295ELNS1_3gpuE0ELNS1_3repE0EEENS1_30default_config_static_selectorELNS0_4arch9wavefront6targetE0EEEvT1_: ; @_ZN7rocprim17ROCPRIM_400000_NS6detail17trampoline_kernelINS0_14default_configENS1_27scan_by_key_config_selectorIllEEZZNS1_16scan_by_key_implILNS1_25lookback_scan_determinismE0ELb0ES3_PKlN6hipcub16HIPCUB_304000_NS21ConstantInputIteratorIllEEPllNSB_3SumENSB_8EqualityElEE10hipError_tPvRmT2_T3_T4_T5_mT6_T7_P12ihipStream_tbENKUlT_T0_E_clISt17integral_constantIbLb1EESW_IbLb0EEEEDaSS_ST_EUlSS_E_NS1_11comp_targetILNS1_3genE0ELNS1_11target_archE4294967295ELNS1_3gpuE0ELNS1_3repE0EEENS1_30default_config_static_selectorELNS0_4arch9wavefront6targetE0EEEvT1_
; %bb.0:
	s_endpgm
	.section	.rodata,"a",@progbits
	.p2align	6, 0x0
	.amdhsa_kernel _ZN7rocprim17ROCPRIM_400000_NS6detail17trampoline_kernelINS0_14default_configENS1_27scan_by_key_config_selectorIllEEZZNS1_16scan_by_key_implILNS1_25lookback_scan_determinismE0ELb0ES3_PKlN6hipcub16HIPCUB_304000_NS21ConstantInputIteratorIllEEPllNSB_3SumENSB_8EqualityElEE10hipError_tPvRmT2_T3_T4_T5_mT6_T7_P12ihipStream_tbENKUlT_T0_E_clISt17integral_constantIbLb1EESW_IbLb0EEEEDaSS_ST_EUlSS_E_NS1_11comp_targetILNS1_3genE0ELNS1_11target_archE4294967295ELNS1_3gpuE0ELNS1_3repE0EEENS1_30default_config_static_selectorELNS0_4arch9wavefront6targetE0EEEvT1_
		.amdhsa_group_segment_fixed_size 0
		.amdhsa_private_segment_fixed_size 0
		.amdhsa_kernarg_size 144
		.amdhsa_user_sgpr_count 2
		.amdhsa_user_sgpr_dispatch_ptr 0
		.amdhsa_user_sgpr_queue_ptr 0
		.amdhsa_user_sgpr_kernarg_segment_ptr 1
		.amdhsa_user_sgpr_dispatch_id 0
		.amdhsa_user_sgpr_kernarg_preload_length 0
		.amdhsa_user_sgpr_kernarg_preload_offset 0
		.amdhsa_user_sgpr_private_segment_size 0
		.amdhsa_wavefront_size32 1
		.amdhsa_uses_dynamic_stack 0
		.amdhsa_enable_private_segment 0
		.amdhsa_system_sgpr_workgroup_id_x 1
		.amdhsa_system_sgpr_workgroup_id_y 0
		.amdhsa_system_sgpr_workgroup_id_z 0
		.amdhsa_system_sgpr_workgroup_info 0
		.amdhsa_system_vgpr_workitem_id 0
		.amdhsa_next_free_vgpr 1
		.amdhsa_next_free_sgpr 1
		.amdhsa_named_barrier_count 0
		.amdhsa_reserve_vcc 0
		.amdhsa_float_round_mode_32 0
		.amdhsa_float_round_mode_16_64 0
		.amdhsa_float_denorm_mode_32 3
		.amdhsa_float_denorm_mode_16_64 3
		.amdhsa_fp16_overflow 0
		.amdhsa_memory_ordered 1
		.amdhsa_forward_progress 1
		.amdhsa_inst_pref_size 1
		.amdhsa_round_robin_scheduling 0
		.amdhsa_exception_fp_ieee_invalid_op 0
		.amdhsa_exception_fp_denorm_src 0
		.amdhsa_exception_fp_ieee_div_zero 0
		.amdhsa_exception_fp_ieee_overflow 0
		.amdhsa_exception_fp_ieee_underflow 0
		.amdhsa_exception_fp_ieee_inexact 0
		.amdhsa_exception_int_div_zero 0
	.end_amdhsa_kernel
	.section	.text._ZN7rocprim17ROCPRIM_400000_NS6detail17trampoline_kernelINS0_14default_configENS1_27scan_by_key_config_selectorIllEEZZNS1_16scan_by_key_implILNS1_25lookback_scan_determinismE0ELb0ES3_PKlN6hipcub16HIPCUB_304000_NS21ConstantInputIteratorIllEEPllNSB_3SumENSB_8EqualityElEE10hipError_tPvRmT2_T3_T4_T5_mT6_T7_P12ihipStream_tbENKUlT_T0_E_clISt17integral_constantIbLb1EESW_IbLb0EEEEDaSS_ST_EUlSS_E_NS1_11comp_targetILNS1_3genE0ELNS1_11target_archE4294967295ELNS1_3gpuE0ELNS1_3repE0EEENS1_30default_config_static_selectorELNS0_4arch9wavefront6targetE0EEEvT1_,"axG",@progbits,_ZN7rocprim17ROCPRIM_400000_NS6detail17trampoline_kernelINS0_14default_configENS1_27scan_by_key_config_selectorIllEEZZNS1_16scan_by_key_implILNS1_25lookback_scan_determinismE0ELb0ES3_PKlN6hipcub16HIPCUB_304000_NS21ConstantInputIteratorIllEEPllNSB_3SumENSB_8EqualityElEE10hipError_tPvRmT2_T3_T4_T5_mT6_T7_P12ihipStream_tbENKUlT_T0_E_clISt17integral_constantIbLb1EESW_IbLb0EEEEDaSS_ST_EUlSS_E_NS1_11comp_targetILNS1_3genE0ELNS1_11target_archE4294967295ELNS1_3gpuE0ELNS1_3repE0EEENS1_30default_config_static_selectorELNS0_4arch9wavefront6targetE0EEEvT1_,comdat
.Lfunc_end116:
	.size	_ZN7rocprim17ROCPRIM_400000_NS6detail17trampoline_kernelINS0_14default_configENS1_27scan_by_key_config_selectorIllEEZZNS1_16scan_by_key_implILNS1_25lookback_scan_determinismE0ELb0ES3_PKlN6hipcub16HIPCUB_304000_NS21ConstantInputIteratorIllEEPllNSB_3SumENSB_8EqualityElEE10hipError_tPvRmT2_T3_T4_T5_mT6_T7_P12ihipStream_tbENKUlT_T0_E_clISt17integral_constantIbLb1EESW_IbLb0EEEEDaSS_ST_EUlSS_E_NS1_11comp_targetILNS1_3genE0ELNS1_11target_archE4294967295ELNS1_3gpuE0ELNS1_3repE0EEENS1_30default_config_static_selectorELNS0_4arch9wavefront6targetE0EEEvT1_, .Lfunc_end116-_ZN7rocprim17ROCPRIM_400000_NS6detail17trampoline_kernelINS0_14default_configENS1_27scan_by_key_config_selectorIllEEZZNS1_16scan_by_key_implILNS1_25lookback_scan_determinismE0ELb0ES3_PKlN6hipcub16HIPCUB_304000_NS21ConstantInputIteratorIllEEPllNSB_3SumENSB_8EqualityElEE10hipError_tPvRmT2_T3_T4_T5_mT6_T7_P12ihipStream_tbENKUlT_T0_E_clISt17integral_constantIbLb1EESW_IbLb0EEEEDaSS_ST_EUlSS_E_NS1_11comp_targetILNS1_3genE0ELNS1_11target_archE4294967295ELNS1_3gpuE0ELNS1_3repE0EEENS1_30default_config_static_selectorELNS0_4arch9wavefront6targetE0EEEvT1_
                                        ; -- End function
	.set _ZN7rocprim17ROCPRIM_400000_NS6detail17trampoline_kernelINS0_14default_configENS1_27scan_by_key_config_selectorIllEEZZNS1_16scan_by_key_implILNS1_25lookback_scan_determinismE0ELb0ES3_PKlN6hipcub16HIPCUB_304000_NS21ConstantInputIteratorIllEEPllNSB_3SumENSB_8EqualityElEE10hipError_tPvRmT2_T3_T4_T5_mT6_T7_P12ihipStream_tbENKUlT_T0_E_clISt17integral_constantIbLb1EESW_IbLb0EEEEDaSS_ST_EUlSS_E_NS1_11comp_targetILNS1_3genE0ELNS1_11target_archE4294967295ELNS1_3gpuE0ELNS1_3repE0EEENS1_30default_config_static_selectorELNS0_4arch9wavefront6targetE0EEEvT1_.num_vgpr, 0
	.set _ZN7rocprim17ROCPRIM_400000_NS6detail17trampoline_kernelINS0_14default_configENS1_27scan_by_key_config_selectorIllEEZZNS1_16scan_by_key_implILNS1_25lookback_scan_determinismE0ELb0ES3_PKlN6hipcub16HIPCUB_304000_NS21ConstantInputIteratorIllEEPllNSB_3SumENSB_8EqualityElEE10hipError_tPvRmT2_T3_T4_T5_mT6_T7_P12ihipStream_tbENKUlT_T0_E_clISt17integral_constantIbLb1EESW_IbLb0EEEEDaSS_ST_EUlSS_E_NS1_11comp_targetILNS1_3genE0ELNS1_11target_archE4294967295ELNS1_3gpuE0ELNS1_3repE0EEENS1_30default_config_static_selectorELNS0_4arch9wavefront6targetE0EEEvT1_.num_agpr, 0
	.set _ZN7rocprim17ROCPRIM_400000_NS6detail17trampoline_kernelINS0_14default_configENS1_27scan_by_key_config_selectorIllEEZZNS1_16scan_by_key_implILNS1_25lookback_scan_determinismE0ELb0ES3_PKlN6hipcub16HIPCUB_304000_NS21ConstantInputIteratorIllEEPllNSB_3SumENSB_8EqualityElEE10hipError_tPvRmT2_T3_T4_T5_mT6_T7_P12ihipStream_tbENKUlT_T0_E_clISt17integral_constantIbLb1EESW_IbLb0EEEEDaSS_ST_EUlSS_E_NS1_11comp_targetILNS1_3genE0ELNS1_11target_archE4294967295ELNS1_3gpuE0ELNS1_3repE0EEENS1_30default_config_static_selectorELNS0_4arch9wavefront6targetE0EEEvT1_.numbered_sgpr, 0
	.set _ZN7rocprim17ROCPRIM_400000_NS6detail17trampoline_kernelINS0_14default_configENS1_27scan_by_key_config_selectorIllEEZZNS1_16scan_by_key_implILNS1_25lookback_scan_determinismE0ELb0ES3_PKlN6hipcub16HIPCUB_304000_NS21ConstantInputIteratorIllEEPllNSB_3SumENSB_8EqualityElEE10hipError_tPvRmT2_T3_T4_T5_mT6_T7_P12ihipStream_tbENKUlT_T0_E_clISt17integral_constantIbLb1EESW_IbLb0EEEEDaSS_ST_EUlSS_E_NS1_11comp_targetILNS1_3genE0ELNS1_11target_archE4294967295ELNS1_3gpuE0ELNS1_3repE0EEENS1_30default_config_static_selectorELNS0_4arch9wavefront6targetE0EEEvT1_.num_named_barrier, 0
	.set _ZN7rocprim17ROCPRIM_400000_NS6detail17trampoline_kernelINS0_14default_configENS1_27scan_by_key_config_selectorIllEEZZNS1_16scan_by_key_implILNS1_25lookback_scan_determinismE0ELb0ES3_PKlN6hipcub16HIPCUB_304000_NS21ConstantInputIteratorIllEEPllNSB_3SumENSB_8EqualityElEE10hipError_tPvRmT2_T3_T4_T5_mT6_T7_P12ihipStream_tbENKUlT_T0_E_clISt17integral_constantIbLb1EESW_IbLb0EEEEDaSS_ST_EUlSS_E_NS1_11comp_targetILNS1_3genE0ELNS1_11target_archE4294967295ELNS1_3gpuE0ELNS1_3repE0EEENS1_30default_config_static_selectorELNS0_4arch9wavefront6targetE0EEEvT1_.private_seg_size, 0
	.set _ZN7rocprim17ROCPRIM_400000_NS6detail17trampoline_kernelINS0_14default_configENS1_27scan_by_key_config_selectorIllEEZZNS1_16scan_by_key_implILNS1_25lookback_scan_determinismE0ELb0ES3_PKlN6hipcub16HIPCUB_304000_NS21ConstantInputIteratorIllEEPllNSB_3SumENSB_8EqualityElEE10hipError_tPvRmT2_T3_T4_T5_mT6_T7_P12ihipStream_tbENKUlT_T0_E_clISt17integral_constantIbLb1EESW_IbLb0EEEEDaSS_ST_EUlSS_E_NS1_11comp_targetILNS1_3genE0ELNS1_11target_archE4294967295ELNS1_3gpuE0ELNS1_3repE0EEENS1_30default_config_static_selectorELNS0_4arch9wavefront6targetE0EEEvT1_.uses_vcc, 0
	.set _ZN7rocprim17ROCPRIM_400000_NS6detail17trampoline_kernelINS0_14default_configENS1_27scan_by_key_config_selectorIllEEZZNS1_16scan_by_key_implILNS1_25lookback_scan_determinismE0ELb0ES3_PKlN6hipcub16HIPCUB_304000_NS21ConstantInputIteratorIllEEPllNSB_3SumENSB_8EqualityElEE10hipError_tPvRmT2_T3_T4_T5_mT6_T7_P12ihipStream_tbENKUlT_T0_E_clISt17integral_constantIbLb1EESW_IbLb0EEEEDaSS_ST_EUlSS_E_NS1_11comp_targetILNS1_3genE0ELNS1_11target_archE4294967295ELNS1_3gpuE0ELNS1_3repE0EEENS1_30default_config_static_selectorELNS0_4arch9wavefront6targetE0EEEvT1_.uses_flat_scratch, 0
	.set _ZN7rocprim17ROCPRIM_400000_NS6detail17trampoline_kernelINS0_14default_configENS1_27scan_by_key_config_selectorIllEEZZNS1_16scan_by_key_implILNS1_25lookback_scan_determinismE0ELb0ES3_PKlN6hipcub16HIPCUB_304000_NS21ConstantInputIteratorIllEEPllNSB_3SumENSB_8EqualityElEE10hipError_tPvRmT2_T3_T4_T5_mT6_T7_P12ihipStream_tbENKUlT_T0_E_clISt17integral_constantIbLb1EESW_IbLb0EEEEDaSS_ST_EUlSS_E_NS1_11comp_targetILNS1_3genE0ELNS1_11target_archE4294967295ELNS1_3gpuE0ELNS1_3repE0EEENS1_30default_config_static_selectorELNS0_4arch9wavefront6targetE0EEEvT1_.has_dyn_sized_stack, 0
	.set _ZN7rocprim17ROCPRIM_400000_NS6detail17trampoline_kernelINS0_14default_configENS1_27scan_by_key_config_selectorIllEEZZNS1_16scan_by_key_implILNS1_25lookback_scan_determinismE0ELb0ES3_PKlN6hipcub16HIPCUB_304000_NS21ConstantInputIteratorIllEEPllNSB_3SumENSB_8EqualityElEE10hipError_tPvRmT2_T3_T4_T5_mT6_T7_P12ihipStream_tbENKUlT_T0_E_clISt17integral_constantIbLb1EESW_IbLb0EEEEDaSS_ST_EUlSS_E_NS1_11comp_targetILNS1_3genE0ELNS1_11target_archE4294967295ELNS1_3gpuE0ELNS1_3repE0EEENS1_30default_config_static_selectorELNS0_4arch9wavefront6targetE0EEEvT1_.has_recursion, 0
	.set _ZN7rocprim17ROCPRIM_400000_NS6detail17trampoline_kernelINS0_14default_configENS1_27scan_by_key_config_selectorIllEEZZNS1_16scan_by_key_implILNS1_25lookback_scan_determinismE0ELb0ES3_PKlN6hipcub16HIPCUB_304000_NS21ConstantInputIteratorIllEEPllNSB_3SumENSB_8EqualityElEE10hipError_tPvRmT2_T3_T4_T5_mT6_T7_P12ihipStream_tbENKUlT_T0_E_clISt17integral_constantIbLb1EESW_IbLb0EEEEDaSS_ST_EUlSS_E_NS1_11comp_targetILNS1_3genE0ELNS1_11target_archE4294967295ELNS1_3gpuE0ELNS1_3repE0EEENS1_30default_config_static_selectorELNS0_4arch9wavefront6targetE0EEEvT1_.has_indirect_call, 0
	.section	.AMDGPU.csdata,"",@progbits
; Kernel info:
; codeLenInByte = 4
; TotalNumSgprs: 0
; NumVgprs: 0
; ScratchSize: 0
; MemoryBound: 0
; FloatMode: 240
; IeeeMode: 1
; LDSByteSize: 0 bytes/workgroup (compile time only)
; SGPRBlocks: 0
; VGPRBlocks: 0
; NumSGPRsForWavesPerEU: 1
; NumVGPRsForWavesPerEU: 1
; NamedBarCnt: 0
; Occupancy: 16
; WaveLimiterHint : 0
; COMPUTE_PGM_RSRC2:SCRATCH_EN: 0
; COMPUTE_PGM_RSRC2:USER_SGPR: 2
; COMPUTE_PGM_RSRC2:TRAP_HANDLER: 0
; COMPUTE_PGM_RSRC2:TGID_X_EN: 1
; COMPUTE_PGM_RSRC2:TGID_Y_EN: 0
; COMPUTE_PGM_RSRC2:TGID_Z_EN: 0
; COMPUTE_PGM_RSRC2:TIDIG_COMP_CNT: 0
	.section	.text._ZN7rocprim17ROCPRIM_400000_NS6detail17trampoline_kernelINS0_14default_configENS1_27scan_by_key_config_selectorIllEEZZNS1_16scan_by_key_implILNS1_25lookback_scan_determinismE0ELb0ES3_PKlN6hipcub16HIPCUB_304000_NS21ConstantInputIteratorIllEEPllNSB_3SumENSB_8EqualityElEE10hipError_tPvRmT2_T3_T4_T5_mT6_T7_P12ihipStream_tbENKUlT_T0_E_clISt17integral_constantIbLb1EESW_IbLb0EEEEDaSS_ST_EUlSS_E_NS1_11comp_targetILNS1_3genE10ELNS1_11target_archE1201ELNS1_3gpuE5ELNS1_3repE0EEENS1_30default_config_static_selectorELNS0_4arch9wavefront6targetE0EEEvT1_,"axG",@progbits,_ZN7rocprim17ROCPRIM_400000_NS6detail17trampoline_kernelINS0_14default_configENS1_27scan_by_key_config_selectorIllEEZZNS1_16scan_by_key_implILNS1_25lookback_scan_determinismE0ELb0ES3_PKlN6hipcub16HIPCUB_304000_NS21ConstantInputIteratorIllEEPllNSB_3SumENSB_8EqualityElEE10hipError_tPvRmT2_T3_T4_T5_mT6_T7_P12ihipStream_tbENKUlT_T0_E_clISt17integral_constantIbLb1EESW_IbLb0EEEEDaSS_ST_EUlSS_E_NS1_11comp_targetILNS1_3genE10ELNS1_11target_archE1201ELNS1_3gpuE5ELNS1_3repE0EEENS1_30default_config_static_selectorELNS0_4arch9wavefront6targetE0EEEvT1_,comdat
	.protected	_ZN7rocprim17ROCPRIM_400000_NS6detail17trampoline_kernelINS0_14default_configENS1_27scan_by_key_config_selectorIllEEZZNS1_16scan_by_key_implILNS1_25lookback_scan_determinismE0ELb0ES3_PKlN6hipcub16HIPCUB_304000_NS21ConstantInputIteratorIllEEPllNSB_3SumENSB_8EqualityElEE10hipError_tPvRmT2_T3_T4_T5_mT6_T7_P12ihipStream_tbENKUlT_T0_E_clISt17integral_constantIbLb1EESW_IbLb0EEEEDaSS_ST_EUlSS_E_NS1_11comp_targetILNS1_3genE10ELNS1_11target_archE1201ELNS1_3gpuE5ELNS1_3repE0EEENS1_30default_config_static_selectorELNS0_4arch9wavefront6targetE0EEEvT1_ ; -- Begin function _ZN7rocprim17ROCPRIM_400000_NS6detail17trampoline_kernelINS0_14default_configENS1_27scan_by_key_config_selectorIllEEZZNS1_16scan_by_key_implILNS1_25lookback_scan_determinismE0ELb0ES3_PKlN6hipcub16HIPCUB_304000_NS21ConstantInputIteratorIllEEPllNSB_3SumENSB_8EqualityElEE10hipError_tPvRmT2_T3_T4_T5_mT6_T7_P12ihipStream_tbENKUlT_T0_E_clISt17integral_constantIbLb1EESW_IbLb0EEEEDaSS_ST_EUlSS_E_NS1_11comp_targetILNS1_3genE10ELNS1_11target_archE1201ELNS1_3gpuE5ELNS1_3repE0EEENS1_30default_config_static_selectorELNS0_4arch9wavefront6targetE0EEEvT1_
	.globl	_ZN7rocprim17ROCPRIM_400000_NS6detail17trampoline_kernelINS0_14default_configENS1_27scan_by_key_config_selectorIllEEZZNS1_16scan_by_key_implILNS1_25lookback_scan_determinismE0ELb0ES3_PKlN6hipcub16HIPCUB_304000_NS21ConstantInputIteratorIllEEPllNSB_3SumENSB_8EqualityElEE10hipError_tPvRmT2_T3_T4_T5_mT6_T7_P12ihipStream_tbENKUlT_T0_E_clISt17integral_constantIbLb1EESW_IbLb0EEEEDaSS_ST_EUlSS_E_NS1_11comp_targetILNS1_3genE10ELNS1_11target_archE1201ELNS1_3gpuE5ELNS1_3repE0EEENS1_30default_config_static_selectorELNS0_4arch9wavefront6targetE0EEEvT1_
	.p2align	8
	.type	_ZN7rocprim17ROCPRIM_400000_NS6detail17trampoline_kernelINS0_14default_configENS1_27scan_by_key_config_selectorIllEEZZNS1_16scan_by_key_implILNS1_25lookback_scan_determinismE0ELb0ES3_PKlN6hipcub16HIPCUB_304000_NS21ConstantInputIteratorIllEEPllNSB_3SumENSB_8EqualityElEE10hipError_tPvRmT2_T3_T4_T5_mT6_T7_P12ihipStream_tbENKUlT_T0_E_clISt17integral_constantIbLb1EESW_IbLb0EEEEDaSS_ST_EUlSS_E_NS1_11comp_targetILNS1_3genE10ELNS1_11target_archE1201ELNS1_3gpuE5ELNS1_3repE0EEENS1_30default_config_static_selectorELNS0_4arch9wavefront6targetE0EEEvT1_,@function
_ZN7rocprim17ROCPRIM_400000_NS6detail17trampoline_kernelINS0_14default_configENS1_27scan_by_key_config_selectorIllEEZZNS1_16scan_by_key_implILNS1_25lookback_scan_determinismE0ELb0ES3_PKlN6hipcub16HIPCUB_304000_NS21ConstantInputIteratorIllEEPllNSB_3SumENSB_8EqualityElEE10hipError_tPvRmT2_T3_T4_T5_mT6_T7_P12ihipStream_tbENKUlT_T0_E_clISt17integral_constantIbLb1EESW_IbLb0EEEEDaSS_ST_EUlSS_E_NS1_11comp_targetILNS1_3genE10ELNS1_11target_archE1201ELNS1_3gpuE5ELNS1_3repE0EEENS1_30default_config_static_selectorELNS0_4arch9wavefront6targetE0EEEvT1_: ; @_ZN7rocprim17ROCPRIM_400000_NS6detail17trampoline_kernelINS0_14default_configENS1_27scan_by_key_config_selectorIllEEZZNS1_16scan_by_key_implILNS1_25lookback_scan_determinismE0ELb0ES3_PKlN6hipcub16HIPCUB_304000_NS21ConstantInputIteratorIllEEPllNSB_3SumENSB_8EqualityElEE10hipError_tPvRmT2_T3_T4_T5_mT6_T7_P12ihipStream_tbENKUlT_T0_E_clISt17integral_constantIbLb1EESW_IbLb0EEEEDaSS_ST_EUlSS_E_NS1_11comp_targetILNS1_3genE10ELNS1_11target_archE1201ELNS1_3gpuE5ELNS1_3repE0EEENS1_30default_config_static_selectorELNS0_4arch9wavefront6targetE0EEEvT1_
; %bb.0:
	.section	.rodata,"a",@progbits
	.p2align	6, 0x0
	.amdhsa_kernel _ZN7rocprim17ROCPRIM_400000_NS6detail17trampoline_kernelINS0_14default_configENS1_27scan_by_key_config_selectorIllEEZZNS1_16scan_by_key_implILNS1_25lookback_scan_determinismE0ELb0ES3_PKlN6hipcub16HIPCUB_304000_NS21ConstantInputIteratorIllEEPllNSB_3SumENSB_8EqualityElEE10hipError_tPvRmT2_T3_T4_T5_mT6_T7_P12ihipStream_tbENKUlT_T0_E_clISt17integral_constantIbLb1EESW_IbLb0EEEEDaSS_ST_EUlSS_E_NS1_11comp_targetILNS1_3genE10ELNS1_11target_archE1201ELNS1_3gpuE5ELNS1_3repE0EEENS1_30default_config_static_selectorELNS0_4arch9wavefront6targetE0EEEvT1_
		.amdhsa_group_segment_fixed_size 0
		.amdhsa_private_segment_fixed_size 0
		.amdhsa_kernarg_size 144
		.amdhsa_user_sgpr_count 2
		.amdhsa_user_sgpr_dispatch_ptr 0
		.amdhsa_user_sgpr_queue_ptr 0
		.amdhsa_user_sgpr_kernarg_segment_ptr 1
		.amdhsa_user_sgpr_dispatch_id 0
		.amdhsa_user_sgpr_kernarg_preload_length 0
		.amdhsa_user_sgpr_kernarg_preload_offset 0
		.amdhsa_user_sgpr_private_segment_size 0
		.amdhsa_wavefront_size32 1
		.amdhsa_uses_dynamic_stack 0
		.amdhsa_enable_private_segment 0
		.amdhsa_system_sgpr_workgroup_id_x 1
		.amdhsa_system_sgpr_workgroup_id_y 0
		.amdhsa_system_sgpr_workgroup_id_z 0
		.amdhsa_system_sgpr_workgroup_info 0
		.amdhsa_system_vgpr_workitem_id 0
		.amdhsa_next_free_vgpr 1
		.amdhsa_next_free_sgpr 1
		.amdhsa_named_barrier_count 0
		.amdhsa_reserve_vcc 0
		.amdhsa_float_round_mode_32 0
		.amdhsa_float_round_mode_16_64 0
		.amdhsa_float_denorm_mode_32 3
		.amdhsa_float_denorm_mode_16_64 3
		.amdhsa_fp16_overflow 0
		.amdhsa_memory_ordered 1
		.amdhsa_forward_progress 1
		.amdhsa_inst_pref_size 0
		.amdhsa_round_robin_scheduling 0
		.amdhsa_exception_fp_ieee_invalid_op 0
		.amdhsa_exception_fp_denorm_src 0
		.amdhsa_exception_fp_ieee_div_zero 0
		.amdhsa_exception_fp_ieee_overflow 0
		.amdhsa_exception_fp_ieee_underflow 0
		.amdhsa_exception_fp_ieee_inexact 0
		.amdhsa_exception_int_div_zero 0
	.end_amdhsa_kernel
	.section	.text._ZN7rocprim17ROCPRIM_400000_NS6detail17trampoline_kernelINS0_14default_configENS1_27scan_by_key_config_selectorIllEEZZNS1_16scan_by_key_implILNS1_25lookback_scan_determinismE0ELb0ES3_PKlN6hipcub16HIPCUB_304000_NS21ConstantInputIteratorIllEEPllNSB_3SumENSB_8EqualityElEE10hipError_tPvRmT2_T3_T4_T5_mT6_T7_P12ihipStream_tbENKUlT_T0_E_clISt17integral_constantIbLb1EESW_IbLb0EEEEDaSS_ST_EUlSS_E_NS1_11comp_targetILNS1_3genE10ELNS1_11target_archE1201ELNS1_3gpuE5ELNS1_3repE0EEENS1_30default_config_static_selectorELNS0_4arch9wavefront6targetE0EEEvT1_,"axG",@progbits,_ZN7rocprim17ROCPRIM_400000_NS6detail17trampoline_kernelINS0_14default_configENS1_27scan_by_key_config_selectorIllEEZZNS1_16scan_by_key_implILNS1_25lookback_scan_determinismE0ELb0ES3_PKlN6hipcub16HIPCUB_304000_NS21ConstantInputIteratorIllEEPllNSB_3SumENSB_8EqualityElEE10hipError_tPvRmT2_T3_T4_T5_mT6_T7_P12ihipStream_tbENKUlT_T0_E_clISt17integral_constantIbLb1EESW_IbLb0EEEEDaSS_ST_EUlSS_E_NS1_11comp_targetILNS1_3genE10ELNS1_11target_archE1201ELNS1_3gpuE5ELNS1_3repE0EEENS1_30default_config_static_selectorELNS0_4arch9wavefront6targetE0EEEvT1_,comdat
.Lfunc_end117:
	.size	_ZN7rocprim17ROCPRIM_400000_NS6detail17trampoline_kernelINS0_14default_configENS1_27scan_by_key_config_selectorIllEEZZNS1_16scan_by_key_implILNS1_25lookback_scan_determinismE0ELb0ES3_PKlN6hipcub16HIPCUB_304000_NS21ConstantInputIteratorIllEEPllNSB_3SumENSB_8EqualityElEE10hipError_tPvRmT2_T3_T4_T5_mT6_T7_P12ihipStream_tbENKUlT_T0_E_clISt17integral_constantIbLb1EESW_IbLb0EEEEDaSS_ST_EUlSS_E_NS1_11comp_targetILNS1_3genE10ELNS1_11target_archE1201ELNS1_3gpuE5ELNS1_3repE0EEENS1_30default_config_static_selectorELNS0_4arch9wavefront6targetE0EEEvT1_, .Lfunc_end117-_ZN7rocprim17ROCPRIM_400000_NS6detail17trampoline_kernelINS0_14default_configENS1_27scan_by_key_config_selectorIllEEZZNS1_16scan_by_key_implILNS1_25lookback_scan_determinismE0ELb0ES3_PKlN6hipcub16HIPCUB_304000_NS21ConstantInputIteratorIllEEPllNSB_3SumENSB_8EqualityElEE10hipError_tPvRmT2_T3_T4_T5_mT6_T7_P12ihipStream_tbENKUlT_T0_E_clISt17integral_constantIbLb1EESW_IbLb0EEEEDaSS_ST_EUlSS_E_NS1_11comp_targetILNS1_3genE10ELNS1_11target_archE1201ELNS1_3gpuE5ELNS1_3repE0EEENS1_30default_config_static_selectorELNS0_4arch9wavefront6targetE0EEEvT1_
                                        ; -- End function
	.set _ZN7rocprim17ROCPRIM_400000_NS6detail17trampoline_kernelINS0_14default_configENS1_27scan_by_key_config_selectorIllEEZZNS1_16scan_by_key_implILNS1_25lookback_scan_determinismE0ELb0ES3_PKlN6hipcub16HIPCUB_304000_NS21ConstantInputIteratorIllEEPllNSB_3SumENSB_8EqualityElEE10hipError_tPvRmT2_T3_T4_T5_mT6_T7_P12ihipStream_tbENKUlT_T0_E_clISt17integral_constantIbLb1EESW_IbLb0EEEEDaSS_ST_EUlSS_E_NS1_11comp_targetILNS1_3genE10ELNS1_11target_archE1201ELNS1_3gpuE5ELNS1_3repE0EEENS1_30default_config_static_selectorELNS0_4arch9wavefront6targetE0EEEvT1_.num_vgpr, 0
	.set _ZN7rocprim17ROCPRIM_400000_NS6detail17trampoline_kernelINS0_14default_configENS1_27scan_by_key_config_selectorIllEEZZNS1_16scan_by_key_implILNS1_25lookback_scan_determinismE0ELb0ES3_PKlN6hipcub16HIPCUB_304000_NS21ConstantInputIteratorIllEEPllNSB_3SumENSB_8EqualityElEE10hipError_tPvRmT2_T3_T4_T5_mT6_T7_P12ihipStream_tbENKUlT_T0_E_clISt17integral_constantIbLb1EESW_IbLb0EEEEDaSS_ST_EUlSS_E_NS1_11comp_targetILNS1_3genE10ELNS1_11target_archE1201ELNS1_3gpuE5ELNS1_3repE0EEENS1_30default_config_static_selectorELNS0_4arch9wavefront6targetE0EEEvT1_.num_agpr, 0
	.set _ZN7rocprim17ROCPRIM_400000_NS6detail17trampoline_kernelINS0_14default_configENS1_27scan_by_key_config_selectorIllEEZZNS1_16scan_by_key_implILNS1_25lookback_scan_determinismE0ELb0ES3_PKlN6hipcub16HIPCUB_304000_NS21ConstantInputIteratorIllEEPllNSB_3SumENSB_8EqualityElEE10hipError_tPvRmT2_T3_T4_T5_mT6_T7_P12ihipStream_tbENKUlT_T0_E_clISt17integral_constantIbLb1EESW_IbLb0EEEEDaSS_ST_EUlSS_E_NS1_11comp_targetILNS1_3genE10ELNS1_11target_archE1201ELNS1_3gpuE5ELNS1_3repE0EEENS1_30default_config_static_selectorELNS0_4arch9wavefront6targetE0EEEvT1_.numbered_sgpr, 0
	.set _ZN7rocprim17ROCPRIM_400000_NS6detail17trampoline_kernelINS0_14default_configENS1_27scan_by_key_config_selectorIllEEZZNS1_16scan_by_key_implILNS1_25lookback_scan_determinismE0ELb0ES3_PKlN6hipcub16HIPCUB_304000_NS21ConstantInputIteratorIllEEPllNSB_3SumENSB_8EqualityElEE10hipError_tPvRmT2_T3_T4_T5_mT6_T7_P12ihipStream_tbENKUlT_T0_E_clISt17integral_constantIbLb1EESW_IbLb0EEEEDaSS_ST_EUlSS_E_NS1_11comp_targetILNS1_3genE10ELNS1_11target_archE1201ELNS1_3gpuE5ELNS1_3repE0EEENS1_30default_config_static_selectorELNS0_4arch9wavefront6targetE0EEEvT1_.num_named_barrier, 0
	.set _ZN7rocprim17ROCPRIM_400000_NS6detail17trampoline_kernelINS0_14default_configENS1_27scan_by_key_config_selectorIllEEZZNS1_16scan_by_key_implILNS1_25lookback_scan_determinismE0ELb0ES3_PKlN6hipcub16HIPCUB_304000_NS21ConstantInputIteratorIllEEPllNSB_3SumENSB_8EqualityElEE10hipError_tPvRmT2_T3_T4_T5_mT6_T7_P12ihipStream_tbENKUlT_T0_E_clISt17integral_constantIbLb1EESW_IbLb0EEEEDaSS_ST_EUlSS_E_NS1_11comp_targetILNS1_3genE10ELNS1_11target_archE1201ELNS1_3gpuE5ELNS1_3repE0EEENS1_30default_config_static_selectorELNS0_4arch9wavefront6targetE0EEEvT1_.private_seg_size, 0
	.set _ZN7rocprim17ROCPRIM_400000_NS6detail17trampoline_kernelINS0_14default_configENS1_27scan_by_key_config_selectorIllEEZZNS1_16scan_by_key_implILNS1_25lookback_scan_determinismE0ELb0ES3_PKlN6hipcub16HIPCUB_304000_NS21ConstantInputIteratorIllEEPllNSB_3SumENSB_8EqualityElEE10hipError_tPvRmT2_T3_T4_T5_mT6_T7_P12ihipStream_tbENKUlT_T0_E_clISt17integral_constantIbLb1EESW_IbLb0EEEEDaSS_ST_EUlSS_E_NS1_11comp_targetILNS1_3genE10ELNS1_11target_archE1201ELNS1_3gpuE5ELNS1_3repE0EEENS1_30default_config_static_selectorELNS0_4arch9wavefront6targetE0EEEvT1_.uses_vcc, 0
	.set _ZN7rocprim17ROCPRIM_400000_NS6detail17trampoline_kernelINS0_14default_configENS1_27scan_by_key_config_selectorIllEEZZNS1_16scan_by_key_implILNS1_25lookback_scan_determinismE0ELb0ES3_PKlN6hipcub16HIPCUB_304000_NS21ConstantInputIteratorIllEEPllNSB_3SumENSB_8EqualityElEE10hipError_tPvRmT2_T3_T4_T5_mT6_T7_P12ihipStream_tbENKUlT_T0_E_clISt17integral_constantIbLb1EESW_IbLb0EEEEDaSS_ST_EUlSS_E_NS1_11comp_targetILNS1_3genE10ELNS1_11target_archE1201ELNS1_3gpuE5ELNS1_3repE0EEENS1_30default_config_static_selectorELNS0_4arch9wavefront6targetE0EEEvT1_.uses_flat_scratch, 0
	.set _ZN7rocprim17ROCPRIM_400000_NS6detail17trampoline_kernelINS0_14default_configENS1_27scan_by_key_config_selectorIllEEZZNS1_16scan_by_key_implILNS1_25lookback_scan_determinismE0ELb0ES3_PKlN6hipcub16HIPCUB_304000_NS21ConstantInputIteratorIllEEPllNSB_3SumENSB_8EqualityElEE10hipError_tPvRmT2_T3_T4_T5_mT6_T7_P12ihipStream_tbENKUlT_T0_E_clISt17integral_constantIbLb1EESW_IbLb0EEEEDaSS_ST_EUlSS_E_NS1_11comp_targetILNS1_3genE10ELNS1_11target_archE1201ELNS1_3gpuE5ELNS1_3repE0EEENS1_30default_config_static_selectorELNS0_4arch9wavefront6targetE0EEEvT1_.has_dyn_sized_stack, 0
	.set _ZN7rocprim17ROCPRIM_400000_NS6detail17trampoline_kernelINS0_14default_configENS1_27scan_by_key_config_selectorIllEEZZNS1_16scan_by_key_implILNS1_25lookback_scan_determinismE0ELb0ES3_PKlN6hipcub16HIPCUB_304000_NS21ConstantInputIteratorIllEEPllNSB_3SumENSB_8EqualityElEE10hipError_tPvRmT2_T3_T4_T5_mT6_T7_P12ihipStream_tbENKUlT_T0_E_clISt17integral_constantIbLb1EESW_IbLb0EEEEDaSS_ST_EUlSS_E_NS1_11comp_targetILNS1_3genE10ELNS1_11target_archE1201ELNS1_3gpuE5ELNS1_3repE0EEENS1_30default_config_static_selectorELNS0_4arch9wavefront6targetE0EEEvT1_.has_recursion, 0
	.set _ZN7rocprim17ROCPRIM_400000_NS6detail17trampoline_kernelINS0_14default_configENS1_27scan_by_key_config_selectorIllEEZZNS1_16scan_by_key_implILNS1_25lookback_scan_determinismE0ELb0ES3_PKlN6hipcub16HIPCUB_304000_NS21ConstantInputIteratorIllEEPllNSB_3SumENSB_8EqualityElEE10hipError_tPvRmT2_T3_T4_T5_mT6_T7_P12ihipStream_tbENKUlT_T0_E_clISt17integral_constantIbLb1EESW_IbLb0EEEEDaSS_ST_EUlSS_E_NS1_11comp_targetILNS1_3genE10ELNS1_11target_archE1201ELNS1_3gpuE5ELNS1_3repE0EEENS1_30default_config_static_selectorELNS0_4arch9wavefront6targetE0EEEvT1_.has_indirect_call, 0
	.section	.AMDGPU.csdata,"",@progbits
; Kernel info:
; codeLenInByte = 0
; TotalNumSgprs: 0
; NumVgprs: 0
; ScratchSize: 0
; MemoryBound: 0
; FloatMode: 240
; IeeeMode: 1
; LDSByteSize: 0 bytes/workgroup (compile time only)
; SGPRBlocks: 0
; VGPRBlocks: 0
; NumSGPRsForWavesPerEU: 1
; NumVGPRsForWavesPerEU: 1
; NamedBarCnt: 0
; Occupancy: 16
; WaveLimiterHint : 0
; COMPUTE_PGM_RSRC2:SCRATCH_EN: 0
; COMPUTE_PGM_RSRC2:USER_SGPR: 2
; COMPUTE_PGM_RSRC2:TRAP_HANDLER: 0
; COMPUTE_PGM_RSRC2:TGID_X_EN: 1
; COMPUTE_PGM_RSRC2:TGID_Y_EN: 0
; COMPUTE_PGM_RSRC2:TGID_Z_EN: 0
; COMPUTE_PGM_RSRC2:TIDIG_COMP_CNT: 0
	.section	.text._ZN7rocprim17ROCPRIM_400000_NS6detail17trampoline_kernelINS0_14default_configENS1_27scan_by_key_config_selectorIllEEZZNS1_16scan_by_key_implILNS1_25lookback_scan_determinismE0ELb0ES3_PKlN6hipcub16HIPCUB_304000_NS21ConstantInputIteratorIllEEPllNSB_3SumENSB_8EqualityElEE10hipError_tPvRmT2_T3_T4_T5_mT6_T7_P12ihipStream_tbENKUlT_T0_E_clISt17integral_constantIbLb1EESW_IbLb0EEEEDaSS_ST_EUlSS_E_NS1_11comp_targetILNS1_3genE5ELNS1_11target_archE942ELNS1_3gpuE9ELNS1_3repE0EEENS1_30default_config_static_selectorELNS0_4arch9wavefront6targetE0EEEvT1_,"axG",@progbits,_ZN7rocprim17ROCPRIM_400000_NS6detail17trampoline_kernelINS0_14default_configENS1_27scan_by_key_config_selectorIllEEZZNS1_16scan_by_key_implILNS1_25lookback_scan_determinismE0ELb0ES3_PKlN6hipcub16HIPCUB_304000_NS21ConstantInputIteratorIllEEPllNSB_3SumENSB_8EqualityElEE10hipError_tPvRmT2_T3_T4_T5_mT6_T7_P12ihipStream_tbENKUlT_T0_E_clISt17integral_constantIbLb1EESW_IbLb0EEEEDaSS_ST_EUlSS_E_NS1_11comp_targetILNS1_3genE5ELNS1_11target_archE942ELNS1_3gpuE9ELNS1_3repE0EEENS1_30default_config_static_selectorELNS0_4arch9wavefront6targetE0EEEvT1_,comdat
	.protected	_ZN7rocprim17ROCPRIM_400000_NS6detail17trampoline_kernelINS0_14default_configENS1_27scan_by_key_config_selectorIllEEZZNS1_16scan_by_key_implILNS1_25lookback_scan_determinismE0ELb0ES3_PKlN6hipcub16HIPCUB_304000_NS21ConstantInputIteratorIllEEPllNSB_3SumENSB_8EqualityElEE10hipError_tPvRmT2_T3_T4_T5_mT6_T7_P12ihipStream_tbENKUlT_T0_E_clISt17integral_constantIbLb1EESW_IbLb0EEEEDaSS_ST_EUlSS_E_NS1_11comp_targetILNS1_3genE5ELNS1_11target_archE942ELNS1_3gpuE9ELNS1_3repE0EEENS1_30default_config_static_selectorELNS0_4arch9wavefront6targetE0EEEvT1_ ; -- Begin function _ZN7rocprim17ROCPRIM_400000_NS6detail17trampoline_kernelINS0_14default_configENS1_27scan_by_key_config_selectorIllEEZZNS1_16scan_by_key_implILNS1_25lookback_scan_determinismE0ELb0ES3_PKlN6hipcub16HIPCUB_304000_NS21ConstantInputIteratorIllEEPllNSB_3SumENSB_8EqualityElEE10hipError_tPvRmT2_T3_T4_T5_mT6_T7_P12ihipStream_tbENKUlT_T0_E_clISt17integral_constantIbLb1EESW_IbLb0EEEEDaSS_ST_EUlSS_E_NS1_11comp_targetILNS1_3genE5ELNS1_11target_archE942ELNS1_3gpuE9ELNS1_3repE0EEENS1_30default_config_static_selectorELNS0_4arch9wavefront6targetE0EEEvT1_
	.globl	_ZN7rocprim17ROCPRIM_400000_NS6detail17trampoline_kernelINS0_14default_configENS1_27scan_by_key_config_selectorIllEEZZNS1_16scan_by_key_implILNS1_25lookback_scan_determinismE0ELb0ES3_PKlN6hipcub16HIPCUB_304000_NS21ConstantInputIteratorIllEEPllNSB_3SumENSB_8EqualityElEE10hipError_tPvRmT2_T3_T4_T5_mT6_T7_P12ihipStream_tbENKUlT_T0_E_clISt17integral_constantIbLb1EESW_IbLb0EEEEDaSS_ST_EUlSS_E_NS1_11comp_targetILNS1_3genE5ELNS1_11target_archE942ELNS1_3gpuE9ELNS1_3repE0EEENS1_30default_config_static_selectorELNS0_4arch9wavefront6targetE0EEEvT1_
	.p2align	8
	.type	_ZN7rocprim17ROCPRIM_400000_NS6detail17trampoline_kernelINS0_14default_configENS1_27scan_by_key_config_selectorIllEEZZNS1_16scan_by_key_implILNS1_25lookback_scan_determinismE0ELb0ES3_PKlN6hipcub16HIPCUB_304000_NS21ConstantInputIteratorIllEEPllNSB_3SumENSB_8EqualityElEE10hipError_tPvRmT2_T3_T4_T5_mT6_T7_P12ihipStream_tbENKUlT_T0_E_clISt17integral_constantIbLb1EESW_IbLb0EEEEDaSS_ST_EUlSS_E_NS1_11comp_targetILNS1_3genE5ELNS1_11target_archE942ELNS1_3gpuE9ELNS1_3repE0EEENS1_30default_config_static_selectorELNS0_4arch9wavefront6targetE0EEEvT1_,@function
_ZN7rocprim17ROCPRIM_400000_NS6detail17trampoline_kernelINS0_14default_configENS1_27scan_by_key_config_selectorIllEEZZNS1_16scan_by_key_implILNS1_25lookback_scan_determinismE0ELb0ES3_PKlN6hipcub16HIPCUB_304000_NS21ConstantInputIteratorIllEEPllNSB_3SumENSB_8EqualityElEE10hipError_tPvRmT2_T3_T4_T5_mT6_T7_P12ihipStream_tbENKUlT_T0_E_clISt17integral_constantIbLb1EESW_IbLb0EEEEDaSS_ST_EUlSS_E_NS1_11comp_targetILNS1_3genE5ELNS1_11target_archE942ELNS1_3gpuE9ELNS1_3repE0EEENS1_30default_config_static_selectorELNS0_4arch9wavefront6targetE0EEEvT1_: ; @_ZN7rocprim17ROCPRIM_400000_NS6detail17trampoline_kernelINS0_14default_configENS1_27scan_by_key_config_selectorIllEEZZNS1_16scan_by_key_implILNS1_25lookback_scan_determinismE0ELb0ES3_PKlN6hipcub16HIPCUB_304000_NS21ConstantInputIteratorIllEEPllNSB_3SumENSB_8EqualityElEE10hipError_tPvRmT2_T3_T4_T5_mT6_T7_P12ihipStream_tbENKUlT_T0_E_clISt17integral_constantIbLb1EESW_IbLb0EEEEDaSS_ST_EUlSS_E_NS1_11comp_targetILNS1_3genE5ELNS1_11target_archE942ELNS1_3gpuE9ELNS1_3repE0EEENS1_30default_config_static_selectorELNS0_4arch9wavefront6targetE0EEEvT1_
; %bb.0:
	.section	.rodata,"a",@progbits
	.p2align	6, 0x0
	.amdhsa_kernel _ZN7rocprim17ROCPRIM_400000_NS6detail17trampoline_kernelINS0_14default_configENS1_27scan_by_key_config_selectorIllEEZZNS1_16scan_by_key_implILNS1_25lookback_scan_determinismE0ELb0ES3_PKlN6hipcub16HIPCUB_304000_NS21ConstantInputIteratorIllEEPllNSB_3SumENSB_8EqualityElEE10hipError_tPvRmT2_T3_T4_T5_mT6_T7_P12ihipStream_tbENKUlT_T0_E_clISt17integral_constantIbLb1EESW_IbLb0EEEEDaSS_ST_EUlSS_E_NS1_11comp_targetILNS1_3genE5ELNS1_11target_archE942ELNS1_3gpuE9ELNS1_3repE0EEENS1_30default_config_static_selectorELNS0_4arch9wavefront6targetE0EEEvT1_
		.amdhsa_group_segment_fixed_size 0
		.amdhsa_private_segment_fixed_size 0
		.amdhsa_kernarg_size 144
		.amdhsa_user_sgpr_count 2
		.amdhsa_user_sgpr_dispatch_ptr 0
		.amdhsa_user_sgpr_queue_ptr 0
		.amdhsa_user_sgpr_kernarg_segment_ptr 1
		.amdhsa_user_sgpr_dispatch_id 0
		.amdhsa_user_sgpr_kernarg_preload_length 0
		.amdhsa_user_sgpr_kernarg_preload_offset 0
		.amdhsa_user_sgpr_private_segment_size 0
		.amdhsa_wavefront_size32 1
		.amdhsa_uses_dynamic_stack 0
		.amdhsa_enable_private_segment 0
		.amdhsa_system_sgpr_workgroup_id_x 1
		.amdhsa_system_sgpr_workgroup_id_y 0
		.amdhsa_system_sgpr_workgroup_id_z 0
		.amdhsa_system_sgpr_workgroup_info 0
		.amdhsa_system_vgpr_workitem_id 0
		.amdhsa_next_free_vgpr 1
		.amdhsa_next_free_sgpr 1
		.amdhsa_named_barrier_count 0
		.amdhsa_reserve_vcc 0
		.amdhsa_float_round_mode_32 0
		.amdhsa_float_round_mode_16_64 0
		.amdhsa_float_denorm_mode_32 3
		.amdhsa_float_denorm_mode_16_64 3
		.amdhsa_fp16_overflow 0
		.amdhsa_memory_ordered 1
		.amdhsa_forward_progress 1
		.amdhsa_inst_pref_size 0
		.amdhsa_round_robin_scheduling 0
		.amdhsa_exception_fp_ieee_invalid_op 0
		.amdhsa_exception_fp_denorm_src 0
		.amdhsa_exception_fp_ieee_div_zero 0
		.amdhsa_exception_fp_ieee_overflow 0
		.amdhsa_exception_fp_ieee_underflow 0
		.amdhsa_exception_fp_ieee_inexact 0
		.amdhsa_exception_int_div_zero 0
	.end_amdhsa_kernel
	.section	.text._ZN7rocprim17ROCPRIM_400000_NS6detail17trampoline_kernelINS0_14default_configENS1_27scan_by_key_config_selectorIllEEZZNS1_16scan_by_key_implILNS1_25lookback_scan_determinismE0ELb0ES3_PKlN6hipcub16HIPCUB_304000_NS21ConstantInputIteratorIllEEPllNSB_3SumENSB_8EqualityElEE10hipError_tPvRmT2_T3_T4_T5_mT6_T7_P12ihipStream_tbENKUlT_T0_E_clISt17integral_constantIbLb1EESW_IbLb0EEEEDaSS_ST_EUlSS_E_NS1_11comp_targetILNS1_3genE5ELNS1_11target_archE942ELNS1_3gpuE9ELNS1_3repE0EEENS1_30default_config_static_selectorELNS0_4arch9wavefront6targetE0EEEvT1_,"axG",@progbits,_ZN7rocprim17ROCPRIM_400000_NS6detail17trampoline_kernelINS0_14default_configENS1_27scan_by_key_config_selectorIllEEZZNS1_16scan_by_key_implILNS1_25lookback_scan_determinismE0ELb0ES3_PKlN6hipcub16HIPCUB_304000_NS21ConstantInputIteratorIllEEPllNSB_3SumENSB_8EqualityElEE10hipError_tPvRmT2_T3_T4_T5_mT6_T7_P12ihipStream_tbENKUlT_T0_E_clISt17integral_constantIbLb1EESW_IbLb0EEEEDaSS_ST_EUlSS_E_NS1_11comp_targetILNS1_3genE5ELNS1_11target_archE942ELNS1_3gpuE9ELNS1_3repE0EEENS1_30default_config_static_selectorELNS0_4arch9wavefront6targetE0EEEvT1_,comdat
.Lfunc_end118:
	.size	_ZN7rocprim17ROCPRIM_400000_NS6detail17trampoline_kernelINS0_14default_configENS1_27scan_by_key_config_selectorIllEEZZNS1_16scan_by_key_implILNS1_25lookback_scan_determinismE0ELb0ES3_PKlN6hipcub16HIPCUB_304000_NS21ConstantInputIteratorIllEEPllNSB_3SumENSB_8EqualityElEE10hipError_tPvRmT2_T3_T4_T5_mT6_T7_P12ihipStream_tbENKUlT_T0_E_clISt17integral_constantIbLb1EESW_IbLb0EEEEDaSS_ST_EUlSS_E_NS1_11comp_targetILNS1_3genE5ELNS1_11target_archE942ELNS1_3gpuE9ELNS1_3repE0EEENS1_30default_config_static_selectorELNS0_4arch9wavefront6targetE0EEEvT1_, .Lfunc_end118-_ZN7rocprim17ROCPRIM_400000_NS6detail17trampoline_kernelINS0_14default_configENS1_27scan_by_key_config_selectorIllEEZZNS1_16scan_by_key_implILNS1_25lookback_scan_determinismE0ELb0ES3_PKlN6hipcub16HIPCUB_304000_NS21ConstantInputIteratorIllEEPllNSB_3SumENSB_8EqualityElEE10hipError_tPvRmT2_T3_T4_T5_mT6_T7_P12ihipStream_tbENKUlT_T0_E_clISt17integral_constantIbLb1EESW_IbLb0EEEEDaSS_ST_EUlSS_E_NS1_11comp_targetILNS1_3genE5ELNS1_11target_archE942ELNS1_3gpuE9ELNS1_3repE0EEENS1_30default_config_static_selectorELNS0_4arch9wavefront6targetE0EEEvT1_
                                        ; -- End function
	.set _ZN7rocprim17ROCPRIM_400000_NS6detail17trampoline_kernelINS0_14default_configENS1_27scan_by_key_config_selectorIllEEZZNS1_16scan_by_key_implILNS1_25lookback_scan_determinismE0ELb0ES3_PKlN6hipcub16HIPCUB_304000_NS21ConstantInputIteratorIllEEPllNSB_3SumENSB_8EqualityElEE10hipError_tPvRmT2_T3_T4_T5_mT6_T7_P12ihipStream_tbENKUlT_T0_E_clISt17integral_constantIbLb1EESW_IbLb0EEEEDaSS_ST_EUlSS_E_NS1_11comp_targetILNS1_3genE5ELNS1_11target_archE942ELNS1_3gpuE9ELNS1_3repE0EEENS1_30default_config_static_selectorELNS0_4arch9wavefront6targetE0EEEvT1_.num_vgpr, 0
	.set _ZN7rocprim17ROCPRIM_400000_NS6detail17trampoline_kernelINS0_14default_configENS1_27scan_by_key_config_selectorIllEEZZNS1_16scan_by_key_implILNS1_25lookback_scan_determinismE0ELb0ES3_PKlN6hipcub16HIPCUB_304000_NS21ConstantInputIteratorIllEEPllNSB_3SumENSB_8EqualityElEE10hipError_tPvRmT2_T3_T4_T5_mT6_T7_P12ihipStream_tbENKUlT_T0_E_clISt17integral_constantIbLb1EESW_IbLb0EEEEDaSS_ST_EUlSS_E_NS1_11comp_targetILNS1_3genE5ELNS1_11target_archE942ELNS1_3gpuE9ELNS1_3repE0EEENS1_30default_config_static_selectorELNS0_4arch9wavefront6targetE0EEEvT1_.num_agpr, 0
	.set _ZN7rocprim17ROCPRIM_400000_NS6detail17trampoline_kernelINS0_14default_configENS1_27scan_by_key_config_selectorIllEEZZNS1_16scan_by_key_implILNS1_25lookback_scan_determinismE0ELb0ES3_PKlN6hipcub16HIPCUB_304000_NS21ConstantInputIteratorIllEEPllNSB_3SumENSB_8EqualityElEE10hipError_tPvRmT2_T3_T4_T5_mT6_T7_P12ihipStream_tbENKUlT_T0_E_clISt17integral_constantIbLb1EESW_IbLb0EEEEDaSS_ST_EUlSS_E_NS1_11comp_targetILNS1_3genE5ELNS1_11target_archE942ELNS1_3gpuE9ELNS1_3repE0EEENS1_30default_config_static_selectorELNS0_4arch9wavefront6targetE0EEEvT1_.numbered_sgpr, 0
	.set _ZN7rocprim17ROCPRIM_400000_NS6detail17trampoline_kernelINS0_14default_configENS1_27scan_by_key_config_selectorIllEEZZNS1_16scan_by_key_implILNS1_25lookback_scan_determinismE0ELb0ES3_PKlN6hipcub16HIPCUB_304000_NS21ConstantInputIteratorIllEEPllNSB_3SumENSB_8EqualityElEE10hipError_tPvRmT2_T3_T4_T5_mT6_T7_P12ihipStream_tbENKUlT_T0_E_clISt17integral_constantIbLb1EESW_IbLb0EEEEDaSS_ST_EUlSS_E_NS1_11comp_targetILNS1_3genE5ELNS1_11target_archE942ELNS1_3gpuE9ELNS1_3repE0EEENS1_30default_config_static_selectorELNS0_4arch9wavefront6targetE0EEEvT1_.num_named_barrier, 0
	.set _ZN7rocprim17ROCPRIM_400000_NS6detail17trampoline_kernelINS0_14default_configENS1_27scan_by_key_config_selectorIllEEZZNS1_16scan_by_key_implILNS1_25lookback_scan_determinismE0ELb0ES3_PKlN6hipcub16HIPCUB_304000_NS21ConstantInputIteratorIllEEPllNSB_3SumENSB_8EqualityElEE10hipError_tPvRmT2_T3_T4_T5_mT6_T7_P12ihipStream_tbENKUlT_T0_E_clISt17integral_constantIbLb1EESW_IbLb0EEEEDaSS_ST_EUlSS_E_NS1_11comp_targetILNS1_3genE5ELNS1_11target_archE942ELNS1_3gpuE9ELNS1_3repE0EEENS1_30default_config_static_selectorELNS0_4arch9wavefront6targetE0EEEvT1_.private_seg_size, 0
	.set _ZN7rocprim17ROCPRIM_400000_NS6detail17trampoline_kernelINS0_14default_configENS1_27scan_by_key_config_selectorIllEEZZNS1_16scan_by_key_implILNS1_25lookback_scan_determinismE0ELb0ES3_PKlN6hipcub16HIPCUB_304000_NS21ConstantInputIteratorIllEEPllNSB_3SumENSB_8EqualityElEE10hipError_tPvRmT2_T3_T4_T5_mT6_T7_P12ihipStream_tbENKUlT_T0_E_clISt17integral_constantIbLb1EESW_IbLb0EEEEDaSS_ST_EUlSS_E_NS1_11comp_targetILNS1_3genE5ELNS1_11target_archE942ELNS1_3gpuE9ELNS1_3repE0EEENS1_30default_config_static_selectorELNS0_4arch9wavefront6targetE0EEEvT1_.uses_vcc, 0
	.set _ZN7rocprim17ROCPRIM_400000_NS6detail17trampoline_kernelINS0_14default_configENS1_27scan_by_key_config_selectorIllEEZZNS1_16scan_by_key_implILNS1_25lookback_scan_determinismE0ELb0ES3_PKlN6hipcub16HIPCUB_304000_NS21ConstantInputIteratorIllEEPllNSB_3SumENSB_8EqualityElEE10hipError_tPvRmT2_T3_T4_T5_mT6_T7_P12ihipStream_tbENKUlT_T0_E_clISt17integral_constantIbLb1EESW_IbLb0EEEEDaSS_ST_EUlSS_E_NS1_11comp_targetILNS1_3genE5ELNS1_11target_archE942ELNS1_3gpuE9ELNS1_3repE0EEENS1_30default_config_static_selectorELNS0_4arch9wavefront6targetE0EEEvT1_.uses_flat_scratch, 0
	.set _ZN7rocprim17ROCPRIM_400000_NS6detail17trampoline_kernelINS0_14default_configENS1_27scan_by_key_config_selectorIllEEZZNS1_16scan_by_key_implILNS1_25lookback_scan_determinismE0ELb0ES3_PKlN6hipcub16HIPCUB_304000_NS21ConstantInputIteratorIllEEPllNSB_3SumENSB_8EqualityElEE10hipError_tPvRmT2_T3_T4_T5_mT6_T7_P12ihipStream_tbENKUlT_T0_E_clISt17integral_constantIbLb1EESW_IbLb0EEEEDaSS_ST_EUlSS_E_NS1_11comp_targetILNS1_3genE5ELNS1_11target_archE942ELNS1_3gpuE9ELNS1_3repE0EEENS1_30default_config_static_selectorELNS0_4arch9wavefront6targetE0EEEvT1_.has_dyn_sized_stack, 0
	.set _ZN7rocprim17ROCPRIM_400000_NS6detail17trampoline_kernelINS0_14default_configENS1_27scan_by_key_config_selectorIllEEZZNS1_16scan_by_key_implILNS1_25lookback_scan_determinismE0ELb0ES3_PKlN6hipcub16HIPCUB_304000_NS21ConstantInputIteratorIllEEPllNSB_3SumENSB_8EqualityElEE10hipError_tPvRmT2_T3_T4_T5_mT6_T7_P12ihipStream_tbENKUlT_T0_E_clISt17integral_constantIbLb1EESW_IbLb0EEEEDaSS_ST_EUlSS_E_NS1_11comp_targetILNS1_3genE5ELNS1_11target_archE942ELNS1_3gpuE9ELNS1_3repE0EEENS1_30default_config_static_selectorELNS0_4arch9wavefront6targetE0EEEvT1_.has_recursion, 0
	.set _ZN7rocprim17ROCPRIM_400000_NS6detail17trampoline_kernelINS0_14default_configENS1_27scan_by_key_config_selectorIllEEZZNS1_16scan_by_key_implILNS1_25lookback_scan_determinismE0ELb0ES3_PKlN6hipcub16HIPCUB_304000_NS21ConstantInputIteratorIllEEPllNSB_3SumENSB_8EqualityElEE10hipError_tPvRmT2_T3_T4_T5_mT6_T7_P12ihipStream_tbENKUlT_T0_E_clISt17integral_constantIbLb1EESW_IbLb0EEEEDaSS_ST_EUlSS_E_NS1_11comp_targetILNS1_3genE5ELNS1_11target_archE942ELNS1_3gpuE9ELNS1_3repE0EEENS1_30default_config_static_selectorELNS0_4arch9wavefront6targetE0EEEvT1_.has_indirect_call, 0
	.section	.AMDGPU.csdata,"",@progbits
; Kernel info:
; codeLenInByte = 0
; TotalNumSgprs: 0
; NumVgprs: 0
; ScratchSize: 0
; MemoryBound: 0
; FloatMode: 240
; IeeeMode: 1
; LDSByteSize: 0 bytes/workgroup (compile time only)
; SGPRBlocks: 0
; VGPRBlocks: 0
; NumSGPRsForWavesPerEU: 1
; NumVGPRsForWavesPerEU: 1
; NamedBarCnt: 0
; Occupancy: 16
; WaveLimiterHint : 0
; COMPUTE_PGM_RSRC2:SCRATCH_EN: 0
; COMPUTE_PGM_RSRC2:USER_SGPR: 2
; COMPUTE_PGM_RSRC2:TRAP_HANDLER: 0
; COMPUTE_PGM_RSRC2:TGID_X_EN: 1
; COMPUTE_PGM_RSRC2:TGID_Y_EN: 0
; COMPUTE_PGM_RSRC2:TGID_Z_EN: 0
; COMPUTE_PGM_RSRC2:TIDIG_COMP_CNT: 0
	.section	.text._ZN7rocprim17ROCPRIM_400000_NS6detail17trampoline_kernelINS0_14default_configENS1_27scan_by_key_config_selectorIllEEZZNS1_16scan_by_key_implILNS1_25lookback_scan_determinismE0ELb0ES3_PKlN6hipcub16HIPCUB_304000_NS21ConstantInputIteratorIllEEPllNSB_3SumENSB_8EqualityElEE10hipError_tPvRmT2_T3_T4_T5_mT6_T7_P12ihipStream_tbENKUlT_T0_E_clISt17integral_constantIbLb1EESW_IbLb0EEEEDaSS_ST_EUlSS_E_NS1_11comp_targetILNS1_3genE4ELNS1_11target_archE910ELNS1_3gpuE8ELNS1_3repE0EEENS1_30default_config_static_selectorELNS0_4arch9wavefront6targetE0EEEvT1_,"axG",@progbits,_ZN7rocprim17ROCPRIM_400000_NS6detail17trampoline_kernelINS0_14default_configENS1_27scan_by_key_config_selectorIllEEZZNS1_16scan_by_key_implILNS1_25lookback_scan_determinismE0ELb0ES3_PKlN6hipcub16HIPCUB_304000_NS21ConstantInputIteratorIllEEPllNSB_3SumENSB_8EqualityElEE10hipError_tPvRmT2_T3_T4_T5_mT6_T7_P12ihipStream_tbENKUlT_T0_E_clISt17integral_constantIbLb1EESW_IbLb0EEEEDaSS_ST_EUlSS_E_NS1_11comp_targetILNS1_3genE4ELNS1_11target_archE910ELNS1_3gpuE8ELNS1_3repE0EEENS1_30default_config_static_selectorELNS0_4arch9wavefront6targetE0EEEvT1_,comdat
	.protected	_ZN7rocprim17ROCPRIM_400000_NS6detail17trampoline_kernelINS0_14default_configENS1_27scan_by_key_config_selectorIllEEZZNS1_16scan_by_key_implILNS1_25lookback_scan_determinismE0ELb0ES3_PKlN6hipcub16HIPCUB_304000_NS21ConstantInputIteratorIllEEPllNSB_3SumENSB_8EqualityElEE10hipError_tPvRmT2_T3_T4_T5_mT6_T7_P12ihipStream_tbENKUlT_T0_E_clISt17integral_constantIbLb1EESW_IbLb0EEEEDaSS_ST_EUlSS_E_NS1_11comp_targetILNS1_3genE4ELNS1_11target_archE910ELNS1_3gpuE8ELNS1_3repE0EEENS1_30default_config_static_selectorELNS0_4arch9wavefront6targetE0EEEvT1_ ; -- Begin function _ZN7rocprim17ROCPRIM_400000_NS6detail17trampoline_kernelINS0_14default_configENS1_27scan_by_key_config_selectorIllEEZZNS1_16scan_by_key_implILNS1_25lookback_scan_determinismE0ELb0ES3_PKlN6hipcub16HIPCUB_304000_NS21ConstantInputIteratorIllEEPllNSB_3SumENSB_8EqualityElEE10hipError_tPvRmT2_T3_T4_T5_mT6_T7_P12ihipStream_tbENKUlT_T0_E_clISt17integral_constantIbLb1EESW_IbLb0EEEEDaSS_ST_EUlSS_E_NS1_11comp_targetILNS1_3genE4ELNS1_11target_archE910ELNS1_3gpuE8ELNS1_3repE0EEENS1_30default_config_static_selectorELNS0_4arch9wavefront6targetE0EEEvT1_
	.globl	_ZN7rocprim17ROCPRIM_400000_NS6detail17trampoline_kernelINS0_14default_configENS1_27scan_by_key_config_selectorIllEEZZNS1_16scan_by_key_implILNS1_25lookback_scan_determinismE0ELb0ES3_PKlN6hipcub16HIPCUB_304000_NS21ConstantInputIteratorIllEEPllNSB_3SumENSB_8EqualityElEE10hipError_tPvRmT2_T3_T4_T5_mT6_T7_P12ihipStream_tbENKUlT_T0_E_clISt17integral_constantIbLb1EESW_IbLb0EEEEDaSS_ST_EUlSS_E_NS1_11comp_targetILNS1_3genE4ELNS1_11target_archE910ELNS1_3gpuE8ELNS1_3repE0EEENS1_30default_config_static_selectorELNS0_4arch9wavefront6targetE0EEEvT1_
	.p2align	8
	.type	_ZN7rocprim17ROCPRIM_400000_NS6detail17trampoline_kernelINS0_14default_configENS1_27scan_by_key_config_selectorIllEEZZNS1_16scan_by_key_implILNS1_25lookback_scan_determinismE0ELb0ES3_PKlN6hipcub16HIPCUB_304000_NS21ConstantInputIteratorIllEEPllNSB_3SumENSB_8EqualityElEE10hipError_tPvRmT2_T3_T4_T5_mT6_T7_P12ihipStream_tbENKUlT_T0_E_clISt17integral_constantIbLb1EESW_IbLb0EEEEDaSS_ST_EUlSS_E_NS1_11comp_targetILNS1_3genE4ELNS1_11target_archE910ELNS1_3gpuE8ELNS1_3repE0EEENS1_30default_config_static_selectorELNS0_4arch9wavefront6targetE0EEEvT1_,@function
_ZN7rocprim17ROCPRIM_400000_NS6detail17trampoline_kernelINS0_14default_configENS1_27scan_by_key_config_selectorIllEEZZNS1_16scan_by_key_implILNS1_25lookback_scan_determinismE0ELb0ES3_PKlN6hipcub16HIPCUB_304000_NS21ConstantInputIteratorIllEEPllNSB_3SumENSB_8EqualityElEE10hipError_tPvRmT2_T3_T4_T5_mT6_T7_P12ihipStream_tbENKUlT_T0_E_clISt17integral_constantIbLb1EESW_IbLb0EEEEDaSS_ST_EUlSS_E_NS1_11comp_targetILNS1_3genE4ELNS1_11target_archE910ELNS1_3gpuE8ELNS1_3repE0EEENS1_30default_config_static_selectorELNS0_4arch9wavefront6targetE0EEEvT1_: ; @_ZN7rocprim17ROCPRIM_400000_NS6detail17trampoline_kernelINS0_14default_configENS1_27scan_by_key_config_selectorIllEEZZNS1_16scan_by_key_implILNS1_25lookback_scan_determinismE0ELb0ES3_PKlN6hipcub16HIPCUB_304000_NS21ConstantInputIteratorIllEEPllNSB_3SumENSB_8EqualityElEE10hipError_tPvRmT2_T3_T4_T5_mT6_T7_P12ihipStream_tbENKUlT_T0_E_clISt17integral_constantIbLb1EESW_IbLb0EEEEDaSS_ST_EUlSS_E_NS1_11comp_targetILNS1_3genE4ELNS1_11target_archE910ELNS1_3gpuE8ELNS1_3repE0EEENS1_30default_config_static_selectorELNS0_4arch9wavefront6targetE0EEEvT1_
; %bb.0:
	.section	.rodata,"a",@progbits
	.p2align	6, 0x0
	.amdhsa_kernel _ZN7rocprim17ROCPRIM_400000_NS6detail17trampoline_kernelINS0_14default_configENS1_27scan_by_key_config_selectorIllEEZZNS1_16scan_by_key_implILNS1_25lookback_scan_determinismE0ELb0ES3_PKlN6hipcub16HIPCUB_304000_NS21ConstantInputIteratorIllEEPllNSB_3SumENSB_8EqualityElEE10hipError_tPvRmT2_T3_T4_T5_mT6_T7_P12ihipStream_tbENKUlT_T0_E_clISt17integral_constantIbLb1EESW_IbLb0EEEEDaSS_ST_EUlSS_E_NS1_11comp_targetILNS1_3genE4ELNS1_11target_archE910ELNS1_3gpuE8ELNS1_3repE0EEENS1_30default_config_static_selectorELNS0_4arch9wavefront6targetE0EEEvT1_
		.amdhsa_group_segment_fixed_size 0
		.amdhsa_private_segment_fixed_size 0
		.amdhsa_kernarg_size 144
		.amdhsa_user_sgpr_count 2
		.amdhsa_user_sgpr_dispatch_ptr 0
		.amdhsa_user_sgpr_queue_ptr 0
		.amdhsa_user_sgpr_kernarg_segment_ptr 1
		.amdhsa_user_sgpr_dispatch_id 0
		.amdhsa_user_sgpr_kernarg_preload_length 0
		.amdhsa_user_sgpr_kernarg_preload_offset 0
		.amdhsa_user_sgpr_private_segment_size 0
		.amdhsa_wavefront_size32 1
		.amdhsa_uses_dynamic_stack 0
		.amdhsa_enable_private_segment 0
		.amdhsa_system_sgpr_workgroup_id_x 1
		.amdhsa_system_sgpr_workgroup_id_y 0
		.amdhsa_system_sgpr_workgroup_id_z 0
		.amdhsa_system_sgpr_workgroup_info 0
		.amdhsa_system_vgpr_workitem_id 0
		.amdhsa_next_free_vgpr 1
		.amdhsa_next_free_sgpr 1
		.amdhsa_named_barrier_count 0
		.amdhsa_reserve_vcc 0
		.amdhsa_float_round_mode_32 0
		.amdhsa_float_round_mode_16_64 0
		.amdhsa_float_denorm_mode_32 3
		.amdhsa_float_denorm_mode_16_64 3
		.amdhsa_fp16_overflow 0
		.amdhsa_memory_ordered 1
		.amdhsa_forward_progress 1
		.amdhsa_inst_pref_size 0
		.amdhsa_round_robin_scheduling 0
		.amdhsa_exception_fp_ieee_invalid_op 0
		.amdhsa_exception_fp_denorm_src 0
		.amdhsa_exception_fp_ieee_div_zero 0
		.amdhsa_exception_fp_ieee_overflow 0
		.amdhsa_exception_fp_ieee_underflow 0
		.amdhsa_exception_fp_ieee_inexact 0
		.amdhsa_exception_int_div_zero 0
	.end_amdhsa_kernel
	.section	.text._ZN7rocprim17ROCPRIM_400000_NS6detail17trampoline_kernelINS0_14default_configENS1_27scan_by_key_config_selectorIllEEZZNS1_16scan_by_key_implILNS1_25lookback_scan_determinismE0ELb0ES3_PKlN6hipcub16HIPCUB_304000_NS21ConstantInputIteratorIllEEPllNSB_3SumENSB_8EqualityElEE10hipError_tPvRmT2_T3_T4_T5_mT6_T7_P12ihipStream_tbENKUlT_T0_E_clISt17integral_constantIbLb1EESW_IbLb0EEEEDaSS_ST_EUlSS_E_NS1_11comp_targetILNS1_3genE4ELNS1_11target_archE910ELNS1_3gpuE8ELNS1_3repE0EEENS1_30default_config_static_selectorELNS0_4arch9wavefront6targetE0EEEvT1_,"axG",@progbits,_ZN7rocprim17ROCPRIM_400000_NS6detail17trampoline_kernelINS0_14default_configENS1_27scan_by_key_config_selectorIllEEZZNS1_16scan_by_key_implILNS1_25lookback_scan_determinismE0ELb0ES3_PKlN6hipcub16HIPCUB_304000_NS21ConstantInputIteratorIllEEPllNSB_3SumENSB_8EqualityElEE10hipError_tPvRmT2_T3_T4_T5_mT6_T7_P12ihipStream_tbENKUlT_T0_E_clISt17integral_constantIbLb1EESW_IbLb0EEEEDaSS_ST_EUlSS_E_NS1_11comp_targetILNS1_3genE4ELNS1_11target_archE910ELNS1_3gpuE8ELNS1_3repE0EEENS1_30default_config_static_selectorELNS0_4arch9wavefront6targetE0EEEvT1_,comdat
.Lfunc_end119:
	.size	_ZN7rocprim17ROCPRIM_400000_NS6detail17trampoline_kernelINS0_14default_configENS1_27scan_by_key_config_selectorIllEEZZNS1_16scan_by_key_implILNS1_25lookback_scan_determinismE0ELb0ES3_PKlN6hipcub16HIPCUB_304000_NS21ConstantInputIteratorIllEEPllNSB_3SumENSB_8EqualityElEE10hipError_tPvRmT2_T3_T4_T5_mT6_T7_P12ihipStream_tbENKUlT_T0_E_clISt17integral_constantIbLb1EESW_IbLb0EEEEDaSS_ST_EUlSS_E_NS1_11comp_targetILNS1_3genE4ELNS1_11target_archE910ELNS1_3gpuE8ELNS1_3repE0EEENS1_30default_config_static_selectorELNS0_4arch9wavefront6targetE0EEEvT1_, .Lfunc_end119-_ZN7rocprim17ROCPRIM_400000_NS6detail17trampoline_kernelINS0_14default_configENS1_27scan_by_key_config_selectorIllEEZZNS1_16scan_by_key_implILNS1_25lookback_scan_determinismE0ELb0ES3_PKlN6hipcub16HIPCUB_304000_NS21ConstantInputIteratorIllEEPllNSB_3SumENSB_8EqualityElEE10hipError_tPvRmT2_T3_T4_T5_mT6_T7_P12ihipStream_tbENKUlT_T0_E_clISt17integral_constantIbLb1EESW_IbLb0EEEEDaSS_ST_EUlSS_E_NS1_11comp_targetILNS1_3genE4ELNS1_11target_archE910ELNS1_3gpuE8ELNS1_3repE0EEENS1_30default_config_static_selectorELNS0_4arch9wavefront6targetE0EEEvT1_
                                        ; -- End function
	.set _ZN7rocprim17ROCPRIM_400000_NS6detail17trampoline_kernelINS0_14default_configENS1_27scan_by_key_config_selectorIllEEZZNS1_16scan_by_key_implILNS1_25lookback_scan_determinismE0ELb0ES3_PKlN6hipcub16HIPCUB_304000_NS21ConstantInputIteratorIllEEPllNSB_3SumENSB_8EqualityElEE10hipError_tPvRmT2_T3_T4_T5_mT6_T7_P12ihipStream_tbENKUlT_T0_E_clISt17integral_constantIbLb1EESW_IbLb0EEEEDaSS_ST_EUlSS_E_NS1_11comp_targetILNS1_3genE4ELNS1_11target_archE910ELNS1_3gpuE8ELNS1_3repE0EEENS1_30default_config_static_selectorELNS0_4arch9wavefront6targetE0EEEvT1_.num_vgpr, 0
	.set _ZN7rocprim17ROCPRIM_400000_NS6detail17trampoline_kernelINS0_14default_configENS1_27scan_by_key_config_selectorIllEEZZNS1_16scan_by_key_implILNS1_25lookback_scan_determinismE0ELb0ES3_PKlN6hipcub16HIPCUB_304000_NS21ConstantInputIteratorIllEEPllNSB_3SumENSB_8EqualityElEE10hipError_tPvRmT2_T3_T4_T5_mT6_T7_P12ihipStream_tbENKUlT_T0_E_clISt17integral_constantIbLb1EESW_IbLb0EEEEDaSS_ST_EUlSS_E_NS1_11comp_targetILNS1_3genE4ELNS1_11target_archE910ELNS1_3gpuE8ELNS1_3repE0EEENS1_30default_config_static_selectorELNS0_4arch9wavefront6targetE0EEEvT1_.num_agpr, 0
	.set _ZN7rocprim17ROCPRIM_400000_NS6detail17trampoline_kernelINS0_14default_configENS1_27scan_by_key_config_selectorIllEEZZNS1_16scan_by_key_implILNS1_25lookback_scan_determinismE0ELb0ES3_PKlN6hipcub16HIPCUB_304000_NS21ConstantInputIteratorIllEEPllNSB_3SumENSB_8EqualityElEE10hipError_tPvRmT2_T3_T4_T5_mT6_T7_P12ihipStream_tbENKUlT_T0_E_clISt17integral_constantIbLb1EESW_IbLb0EEEEDaSS_ST_EUlSS_E_NS1_11comp_targetILNS1_3genE4ELNS1_11target_archE910ELNS1_3gpuE8ELNS1_3repE0EEENS1_30default_config_static_selectorELNS0_4arch9wavefront6targetE0EEEvT1_.numbered_sgpr, 0
	.set _ZN7rocprim17ROCPRIM_400000_NS6detail17trampoline_kernelINS0_14default_configENS1_27scan_by_key_config_selectorIllEEZZNS1_16scan_by_key_implILNS1_25lookback_scan_determinismE0ELb0ES3_PKlN6hipcub16HIPCUB_304000_NS21ConstantInputIteratorIllEEPllNSB_3SumENSB_8EqualityElEE10hipError_tPvRmT2_T3_T4_T5_mT6_T7_P12ihipStream_tbENKUlT_T0_E_clISt17integral_constantIbLb1EESW_IbLb0EEEEDaSS_ST_EUlSS_E_NS1_11comp_targetILNS1_3genE4ELNS1_11target_archE910ELNS1_3gpuE8ELNS1_3repE0EEENS1_30default_config_static_selectorELNS0_4arch9wavefront6targetE0EEEvT1_.num_named_barrier, 0
	.set _ZN7rocprim17ROCPRIM_400000_NS6detail17trampoline_kernelINS0_14default_configENS1_27scan_by_key_config_selectorIllEEZZNS1_16scan_by_key_implILNS1_25lookback_scan_determinismE0ELb0ES3_PKlN6hipcub16HIPCUB_304000_NS21ConstantInputIteratorIllEEPllNSB_3SumENSB_8EqualityElEE10hipError_tPvRmT2_T3_T4_T5_mT6_T7_P12ihipStream_tbENKUlT_T0_E_clISt17integral_constantIbLb1EESW_IbLb0EEEEDaSS_ST_EUlSS_E_NS1_11comp_targetILNS1_3genE4ELNS1_11target_archE910ELNS1_3gpuE8ELNS1_3repE0EEENS1_30default_config_static_selectorELNS0_4arch9wavefront6targetE0EEEvT1_.private_seg_size, 0
	.set _ZN7rocprim17ROCPRIM_400000_NS6detail17trampoline_kernelINS0_14default_configENS1_27scan_by_key_config_selectorIllEEZZNS1_16scan_by_key_implILNS1_25lookback_scan_determinismE0ELb0ES3_PKlN6hipcub16HIPCUB_304000_NS21ConstantInputIteratorIllEEPllNSB_3SumENSB_8EqualityElEE10hipError_tPvRmT2_T3_T4_T5_mT6_T7_P12ihipStream_tbENKUlT_T0_E_clISt17integral_constantIbLb1EESW_IbLb0EEEEDaSS_ST_EUlSS_E_NS1_11comp_targetILNS1_3genE4ELNS1_11target_archE910ELNS1_3gpuE8ELNS1_3repE0EEENS1_30default_config_static_selectorELNS0_4arch9wavefront6targetE0EEEvT1_.uses_vcc, 0
	.set _ZN7rocprim17ROCPRIM_400000_NS6detail17trampoline_kernelINS0_14default_configENS1_27scan_by_key_config_selectorIllEEZZNS1_16scan_by_key_implILNS1_25lookback_scan_determinismE0ELb0ES3_PKlN6hipcub16HIPCUB_304000_NS21ConstantInputIteratorIllEEPllNSB_3SumENSB_8EqualityElEE10hipError_tPvRmT2_T3_T4_T5_mT6_T7_P12ihipStream_tbENKUlT_T0_E_clISt17integral_constantIbLb1EESW_IbLb0EEEEDaSS_ST_EUlSS_E_NS1_11comp_targetILNS1_3genE4ELNS1_11target_archE910ELNS1_3gpuE8ELNS1_3repE0EEENS1_30default_config_static_selectorELNS0_4arch9wavefront6targetE0EEEvT1_.uses_flat_scratch, 0
	.set _ZN7rocprim17ROCPRIM_400000_NS6detail17trampoline_kernelINS0_14default_configENS1_27scan_by_key_config_selectorIllEEZZNS1_16scan_by_key_implILNS1_25lookback_scan_determinismE0ELb0ES3_PKlN6hipcub16HIPCUB_304000_NS21ConstantInputIteratorIllEEPllNSB_3SumENSB_8EqualityElEE10hipError_tPvRmT2_T3_T4_T5_mT6_T7_P12ihipStream_tbENKUlT_T0_E_clISt17integral_constantIbLb1EESW_IbLb0EEEEDaSS_ST_EUlSS_E_NS1_11comp_targetILNS1_3genE4ELNS1_11target_archE910ELNS1_3gpuE8ELNS1_3repE0EEENS1_30default_config_static_selectorELNS0_4arch9wavefront6targetE0EEEvT1_.has_dyn_sized_stack, 0
	.set _ZN7rocprim17ROCPRIM_400000_NS6detail17trampoline_kernelINS0_14default_configENS1_27scan_by_key_config_selectorIllEEZZNS1_16scan_by_key_implILNS1_25lookback_scan_determinismE0ELb0ES3_PKlN6hipcub16HIPCUB_304000_NS21ConstantInputIteratorIllEEPllNSB_3SumENSB_8EqualityElEE10hipError_tPvRmT2_T3_T4_T5_mT6_T7_P12ihipStream_tbENKUlT_T0_E_clISt17integral_constantIbLb1EESW_IbLb0EEEEDaSS_ST_EUlSS_E_NS1_11comp_targetILNS1_3genE4ELNS1_11target_archE910ELNS1_3gpuE8ELNS1_3repE0EEENS1_30default_config_static_selectorELNS0_4arch9wavefront6targetE0EEEvT1_.has_recursion, 0
	.set _ZN7rocprim17ROCPRIM_400000_NS6detail17trampoline_kernelINS0_14default_configENS1_27scan_by_key_config_selectorIllEEZZNS1_16scan_by_key_implILNS1_25lookback_scan_determinismE0ELb0ES3_PKlN6hipcub16HIPCUB_304000_NS21ConstantInputIteratorIllEEPllNSB_3SumENSB_8EqualityElEE10hipError_tPvRmT2_T3_T4_T5_mT6_T7_P12ihipStream_tbENKUlT_T0_E_clISt17integral_constantIbLb1EESW_IbLb0EEEEDaSS_ST_EUlSS_E_NS1_11comp_targetILNS1_3genE4ELNS1_11target_archE910ELNS1_3gpuE8ELNS1_3repE0EEENS1_30default_config_static_selectorELNS0_4arch9wavefront6targetE0EEEvT1_.has_indirect_call, 0
	.section	.AMDGPU.csdata,"",@progbits
; Kernel info:
; codeLenInByte = 0
; TotalNumSgprs: 0
; NumVgprs: 0
; ScratchSize: 0
; MemoryBound: 0
; FloatMode: 240
; IeeeMode: 1
; LDSByteSize: 0 bytes/workgroup (compile time only)
; SGPRBlocks: 0
; VGPRBlocks: 0
; NumSGPRsForWavesPerEU: 1
; NumVGPRsForWavesPerEU: 1
; NamedBarCnt: 0
; Occupancy: 16
; WaveLimiterHint : 0
; COMPUTE_PGM_RSRC2:SCRATCH_EN: 0
; COMPUTE_PGM_RSRC2:USER_SGPR: 2
; COMPUTE_PGM_RSRC2:TRAP_HANDLER: 0
; COMPUTE_PGM_RSRC2:TGID_X_EN: 1
; COMPUTE_PGM_RSRC2:TGID_Y_EN: 0
; COMPUTE_PGM_RSRC2:TGID_Z_EN: 0
; COMPUTE_PGM_RSRC2:TIDIG_COMP_CNT: 0
	.section	.text._ZN7rocprim17ROCPRIM_400000_NS6detail17trampoline_kernelINS0_14default_configENS1_27scan_by_key_config_selectorIllEEZZNS1_16scan_by_key_implILNS1_25lookback_scan_determinismE0ELb0ES3_PKlN6hipcub16HIPCUB_304000_NS21ConstantInputIteratorIllEEPllNSB_3SumENSB_8EqualityElEE10hipError_tPvRmT2_T3_T4_T5_mT6_T7_P12ihipStream_tbENKUlT_T0_E_clISt17integral_constantIbLb1EESW_IbLb0EEEEDaSS_ST_EUlSS_E_NS1_11comp_targetILNS1_3genE3ELNS1_11target_archE908ELNS1_3gpuE7ELNS1_3repE0EEENS1_30default_config_static_selectorELNS0_4arch9wavefront6targetE0EEEvT1_,"axG",@progbits,_ZN7rocprim17ROCPRIM_400000_NS6detail17trampoline_kernelINS0_14default_configENS1_27scan_by_key_config_selectorIllEEZZNS1_16scan_by_key_implILNS1_25lookback_scan_determinismE0ELb0ES3_PKlN6hipcub16HIPCUB_304000_NS21ConstantInputIteratorIllEEPllNSB_3SumENSB_8EqualityElEE10hipError_tPvRmT2_T3_T4_T5_mT6_T7_P12ihipStream_tbENKUlT_T0_E_clISt17integral_constantIbLb1EESW_IbLb0EEEEDaSS_ST_EUlSS_E_NS1_11comp_targetILNS1_3genE3ELNS1_11target_archE908ELNS1_3gpuE7ELNS1_3repE0EEENS1_30default_config_static_selectorELNS0_4arch9wavefront6targetE0EEEvT1_,comdat
	.protected	_ZN7rocprim17ROCPRIM_400000_NS6detail17trampoline_kernelINS0_14default_configENS1_27scan_by_key_config_selectorIllEEZZNS1_16scan_by_key_implILNS1_25lookback_scan_determinismE0ELb0ES3_PKlN6hipcub16HIPCUB_304000_NS21ConstantInputIteratorIllEEPllNSB_3SumENSB_8EqualityElEE10hipError_tPvRmT2_T3_T4_T5_mT6_T7_P12ihipStream_tbENKUlT_T0_E_clISt17integral_constantIbLb1EESW_IbLb0EEEEDaSS_ST_EUlSS_E_NS1_11comp_targetILNS1_3genE3ELNS1_11target_archE908ELNS1_3gpuE7ELNS1_3repE0EEENS1_30default_config_static_selectorELNS0_4arch9wavefront6targetE0EEEvT1_ ; -- Begin function _ZN7rocprim17ROCPRIM_400000_NS6detail17trampoline_kernelINS0_14default_configENS1_27scan_by_key_config_selectorIllEEZZNS1_16scan_by_key_implILNS1_25lookback_scan_determinismE0ELb0ES3_PKlN6hipcub16HIPCUB_304000_NS21ConstantInputIteratorIllEEPllNSB_3SumENSB_8EqualityElEE10hipError_tPvRmT2_T3_T4_T5_mT6_T7_P12ihipStream_tbENKUlT_T0_E_clISt17integral_constantIbLb1EESW_IbLb0EEEEDaSS_ST_EUlSS_E_NS1_11comp_targetILNS1_3genE3ELNS1_11target_archE908ELNS1_3gpuE7ELNS1_3repE0EEENS1_30default_config_static_selectorELNS0_4arch9wavefront6targetE0EEEvT1_
	.globl	_ZN7rocprim17ROCPRIM_400000_NS6detail17trampoline_kernelINS0_14default_configENS1_27scan_by_key_config_selectorIllEEZZNS1_16scan_by_key_implILNS1_25lookback_scan_determinismE0ELb0ES3_PKlN6hipcub16HIPCUB_304000_NS21ConstantInputIteratorIllEEPllNSB_3SumENSB_8EqualityElEE10hipError_tPvRmT2_T3_T4_T5_mT6_T7_P12ihipStream_tbENKUlT_T0_E_clISt17integral_constantIbLb1EESW_IbLb0EEEEDaSS_ST_EUlSS_E_NS1_11comp_targetILNS1_3genE3ELNS1_11target_archE908ELNS1_3gpuE7ELNS1_3repE0EEENS1_30default_config_static_selectorELNS0_4arch9wavefront6targetE0EEEvT1_
	.p2align	8
	.type	_ZN7rocprim17ROCPRIM_400000_NS6detail17trampoline_kernelINS0_14default_configENS1_27scan_by_key_config_selectorIllEEZZNS1_16scan_by_key_implILNS1_25lookback_scan_determinismE0ELb0ES3_PKlN6hipcub16HIPCUB_304000_NS21ConstantInputIteratorIllEEPllNSB_3SumENSB_8EqualityElEE10hipError_tPvRmT2_T3_T4_T5_mT6_T7_P12ihipStream_tbENKUlT_T0_E_clISt17integral_constantIbLb1EESW_IbLb0EEEEDaSS_ST_EUlSS_E_NS1_11comp_targetILNS1_3genE3ELNS1_11target_archE908ELNS1_3gpuE7ELNS1_3repE0EEENS1_30default_config_static_selectorELNS0_4arch9wavefront6targetE0EEEvT1_,@function
_ZN7rocprim17ROCPRIM_400000_NS6detail17trampoline_kernelINS0_14default_configENS1_27scan_by_key_config_selectorIllEEZZNS1_16scan_by_key_implILNS1_25lookback_scan_determinismE0ELb0ES3_PKlN6hipcub16HIPCUB_304000_NS21ConstantInputIteratorIllEEPllNSB_3SumENSB_8EqualityElEE10hipError_tPvRmT2_T3_T4_T5_mT6_T7_P12ihipStream_tbENKUlT_T0_E_clISt17integral_constantIbLb1EESW_IbLb0EEEEDaSS_ST_EUlSS_E_NS1_11comp_targetILNS1_3genE3ELNS1_11target_archE908ELNS1_3gpuE7ELNS1_3repE0EEENS1_30default_config_static_selectorELNS0_4arch9wavefront6targetE0EEEvT1_: ; @_ZN7rocprim17ROCPRIM_400000_NS6detail17trampoline_kernelINS0_14default_configENS1_27scan_by_key_config_selectorIllEEZZNS1_16scan_by_key_implILNS1_25lookback_scan_determinismE0ELb0ES3_PKlN6hipcub16HIPCUB_304000_NS21ConstantInputIteratorIllEEPllNSB_3SumENSB_8EqualityElEE10hipError_tPvRmT2_T3_T4_T5_mT6_T7_P12ihipStream_tbENKUlT_T0_E_clISt17integral_constantIbLb1EESW_IbLb0EEEEDaSS_ST_EUlSS_E_NS1_11comp_targetILNS1_3genE3ELNS1_11target_archE908ELNS1_3gpuE7ELNS1_3repE0EEENS1_30default_config_static_selectorELNS0_4arch9wavefront6targetE0EEEvT1_
; %bb.0:
	.section	.rodata,"a",@progbits
	.p2align	6, 0x0
	.amdhsa_kernel _ZN7rocprim17ROCPRIM_400000_NS6detail17trampoline_kernelINS0_14default_configENS1_27scan_by_key_config_selectorIllEEZZNS1_16scan_by_key_implILNS1_25lookback_scan_determinismE0ELb0ES3_PKlN6hipcub16HIPCUB_304000_NS21ConstantInputIteratorIllEEPllNSB_3SumENSB_8EqualityElEE10hipError_tPvRmT2_T3_T4_T5_mT6_T7_P12ihipStream_tbENKUlT_T0_E_clISt17integral_constantIbLb1EESW_IbLb0EEEEDaSS_ST_EUlSS_E_NS1_11comp_targetILNS1_3genE3ELNS1_11target_archE908ELNS1_3gpuE7ELNS1_3repE0EEENS1_30default_config_static_selectorELNS0_4arch9wavefront6targetE0EEEvT1_
		.amdhsa_group_segment_fixed_size 0
		.amdhsa_private_segment_fixed_size 0
		.amdhsa_kernarg_size 144
		.amdhsa_user_sgpr_count 2
		.amdhsa_user_sgpr_dispatch_ptr 0
		.amdhsa_user_sgpr_queue_ptr 0
		.amdhsa_user_sgpr_kernarg_segment_ptr 1
		.amdhsa_user_sgpr_dispatch_id 0
		.amdhsa_user_sgpr_kernarg_preload_length 0
		.amdhsa_user_sgpr_kernarg_preload_offset 0
		.amdhsa_user_sgpr_private_segment_size 0
		.amdhsa_wavefront_size32 1
		.amdhsa_uses_dynamic_stack 0
		.amdhsa_enable_private_segment 0
		.amdhsa_system_sgpr_workgroup_id_x 1
		.amdhsa_system_sgpr_workgroup_id_y 0
		.amdhsa_system_sgpr_workgroup_id_z 0
		.amdhsa_system_sgpr_workgroup_info 0
		.amdhsa_system_vgpr_workitem_id 0
		.amdhsa_next_free_vgpr 1
		.amdhsa_next_free_sgpr 1
		.amdhsa_named_barrier_count 0
		.amdhsa_reserve_vcc 0
		.amdhsa_float_round_mode_32 0
		.amdhsa_float_round_mode_16_64 0
		.amdhsa_float_denorm_mode_32 3
		.amdhsa_float_denorm_mode_16_64 3
		.amdhsa_fp16_overflow 0
		.amdhsa_memory_ordered 1
		.amdhsa_forward_progress 1
		.amdhsa_inst_pref_size 0
		.amdhsa_round_robin_scheduling 0
		.amdhsa_exception_fp_ieee_invalid_op 0
		.amdhsa_exception_fp_denorm_src 0
		.amdhsa_exception_fp_ieee_div_zero 0
		.amdhsa_exception_fp_ieee_overflow 0
		.amdhsa_exception_fp_ieee_underflow 0
		.amdhsa_exception_fp_ieee_inexact 0
		.amdhsa_exception_int_div_zero 0
	.end_amdhsa_kernel
	.section	.text._ZN7rocprim17ROCPRIM_400000_NS6detail17trampoline_kernelINS0_14default_configENS1_27scan_by_key_config_selectorIllEEZZNS1_16scan_by_key_implILNS1_25lookback_scan_determinismE0ELb0ES3_PKlN6hipcub16HIPCUB_304000_NS21ConstantInputIteratorIllEEPllNSB_3SumENSB_8EqualityElEE10hipError_tPvRmT2_T3_T4_T5_mT6_T7_P12ihipStream_tbENKUlT_T0_E_clISt17integral_constantIbLb1EESW_IbLb0EEEEDaSS_ST_EUlSS_E_NS1_11comp_targetILNS1_3genE3ELNS1_11target_archE908ELNS1_3gpuE7ELNS1_3repE0EEENS1_30default_config_static_selectorELNS0_4arch9wavefront6targetE0EEEvT1_,"axG",@progbits,_ZN7rocprim17ROCPRIM_400000_NS6detail17trampoline_kernelINS0_14default_configENS1_27scan_by_key_config_selectorIllEEZZNS1_16scan_by_key_implILNS1_25lookback_scan_determinismE0ELb0ES3_PKlN6hipcub16HIPCUB_304000_NS21ConstantInputIteratorIllEEPllNSB_3SumENSB_8EqualityElEE10hipError_tPvRmT2_T3_T4_T5_mT6_T7_P12ihipStream_tbENKUlT_T0_E_clISt17integral_constantIbLb1EESW_IbLb0EEEEDaSS_ST_EUlSS_E_NS1_11comp_targetILNS1_3genE3ELNS1_11target_archE908ELNS1_3gpuE7ELNS1_3repE0EEENS1_30default_config_static_selectorELNS0_4arch9wavefront6targetE0EEEvT1_,comdat
.Lfunc_end120:
	.size	_ZN7rocprim17ROCPRIM_400000_NS6detail17trampoline_kernelINS0_14default_configENS1_27scan_by_key_config_selectorIllEEZZNS1_16scan_by_key_implILNS1_25lookback_scan_determinismE0ELb0ES3_PKlN6hipcub16HIPCUB_304000_NS21ConstantInputIteratorIllEEPllNSB_3SumENSB_8EqualityElEE10hipError_tPvRmT2_T3_T4_T5_mT6_T7_P12ihipStream_tbENKUlT_T0_E_clISt17integral_constantIbLb1EESW_IbLb0EEEEDaSS_ST_EUlSS_E_NS1_11comp_targetILNS1_3genE3ELNS1_11target_archE908ELNS1_3gpuE7ELNS1_3repE0EEENS1_30default_config_static_selectorELNS0_4arch9wavefront6targetE0EEEvT1_, .Lfunc_end120-_ZN7rocprim17ROCPRIM_400000_NS6detail17trampoline_kernelINS0_14default_configENS1_27scan_by_key_config_selectorIllEEZZNS1_16scan_by_key_implILNS1_25lookback_scan_determinismE0ELb0ES3_PKlN6hipcub16HIPCUB_304000_NS21ConstantInputIteratorIllEEPllNSB_3SumENSB_8EqualityElEE10hipError_tPvRmT2_T3_T4_T5_mT6_T7_P12ihipStream_tbENKUlT_T0_E_clISt17integral_constantIbLb1EESW_IbLb0EEEEDaSS_ST_EUlSS_E_NS1_11comp_targetILNS1_3genE3ELNS1_11target_archE908ELNS1_3gpuE7ELNS1_3repE0EEENS1_30default_config_static_selectorELNS0_4arch9wavefront6targetE0EEEvT1_
                                        ; -- End function
	.set _ZN7rocprim17ROCPRIM_400000_NS6detail17trampoline_kernelINS0_14default_configENS1_27scan_by_key_config_selectorIllEEZZNS1_16scan_by_key_implILNS1_25lookback_scan_determinismE0ELb0ES3_PKlN6hipcub16HIPCUB_304000_NS21ConstantInputIteratorIllEEPllNSB_3SumENSB_8EqualityElEE10hipError_tPvRmT2_T3_T4_T5_mT6_T7_P12ihipStream_tbENKUlT_T0_E_clISt17integral_constantIbLb1EESW_IbLb0EEEEDaSS_ST_EUlSS_E_NS1_11comp_targetILNS1_3genE3ELNS1_11target_archE908ELNS1_3gpuE7ELNS1_3repE0EEENS1_30default_config_static_selectorELNS0_4arch9wavefront6targetE0EEEvT1_.num_vgpr, 0
	.set _ZN7rocprim17ROCPRIM_400000_NS6detail17trampoline_kernelINS0_14default_configENS1_27scan_by_key_config_selectorIllEEZZNS1_16scan_by_key_implILNS1_25lookback_scan_determinismE0ELb0ES3_PKlN6hipcub16HIPCUB_304000_NS21ConstantInputIteratorIllEEPllNSB_3SumENSB_8EqualityElEE10hipError_tPvRmT2_T3_T4_T5_mT6_T7_P12ihipStream_tbENKUlT_T0_E_clISt17integral_constantIbLb1EESW_IbLb0EEEEDaSS_ST_EUlSS_E_NS1_11comp_targetILNS1_3genE3ELNS1_11target_archE908ELNS1_3gpuE7ELNS1_3repE0EEENS1_30default_config_static_selectorELNS0_4arch9wavefront6targetE0EEEvT1_.num_agpr, 0
	.set _ZN7rocprim17ROCPRIM_400000_NS6detail17trampoline_kernelINS0_14default_configENS1_27scan_by_key_config_selectorIllEEZZNS1_16scan_by_key_implILNS1_25lookback_scan_determinismE0ELb0ES3_PKlN6hipcub16HIPCUB_304000_NS21ConstantInputIteratorIllEEPllNSB_3SumENSB_8EqualityElEE10hipError_tPvRmT2_T3_T4_T5_mT6_T7_P12ihipStream_tbENKUlT_T0_E_clISt17integral_constantIbLb1EESW_IbLb0EEEEDaSS_ST_EUlSS_E_NS1_11comp_targetILNS1_3genE3ELNS1_11target_archE908ELNS1_3gpuE7ELNS1_3repE0EEENS1_30default_config_static_selectorELNS0_4arch9wavefront6targetE0EEEvT1_.numbered_sgpr, 0
	.set _ZN7rocprim17ROCPRIM_400000_NS6detail17trampoline_kernelINS0_14default_configENS1_27scan_by_key_config_selectorIllEEZZNS1_16scan_by_key_implILNS1_25lookback_scan_determinismE0ELb0ES3_PKlN6hipcub16HIPCUB_304000_NS21ConstantInputIteratorIllEEPllNSB_3SumENSB_8EqualityElEE10hipError_tPvRmT2_T3_T4_T5_mT6_T7_P12ihipStream_tbENKUlT_T0_E_clISt17integral_constantIbLb1EESW_IbLb0EEEEDaSS_ST_EUlSS_E_NS1_11comp_targetILNS1_3genE3ELNS1_11target_archE908ELNS1_3gpuE7ELNS1_3repE0EEENS1_30default_config_static_selectorELNS0_4arch9wavefront6targetE0EEEvT1_.num_named_barrier, 0
	.set _ZN7rocprim17ROCPRIM_400000_NS6detail17trampoline_kernelINS0_14default_configENS1_27scan_by_key_config_selectorIllEEZZNS1_16scan_by_key_implILNS1_25lookback_scan_determinismE0ELb0ES3_PKlN6hipcub16HIPCUB_304000_NS21ConstantInputIteratorIllEEPllNSB_3SumENSB_8EqualityElEE10hipError_tPvRmT2_T3_T4_T5_mT6_T7_P12ihipStream_tbENKUlT_T0_E_clISt17integral_constantIbLb1EESW_IbLb0EEEEDaSS_ST_EUlSS_E_NS1_11comp_targetILNS1_3genE3ELNS1_11target_archE908ELNS1_3gpuE7ELNS1_3repE0EEENS1_30default_config_static_selectorELNS0_4arch9wavefront6targetE0EEEvT1_.private_seg_size, 0
	.set _ZN7rocprim17ROCPRIM_400000_NS6detail17trampoline_kernelINS0_14default_configENS1_27scan_by_key_config_selectorIllEEZZNS1_16scan_by_key_implILNS1_25lookback_scan_determinismE0ELb0ES3_PKlN6hipcub16HIPCUB_304000_NS21ConstantInputIteratorIllEEPllNSB_3SumENSB_8EqualityElEE10hipError_tPvRmT2_T3_T4_T5_mT6_T7_P12ihipStream_tbENKUlT_T0_E_clISt17integral_constantIbLb1EESW_IbLb0EEEEDaSS_ST_EUlSS_E_NS1_11comp_targetILNS1_3genE3ELNS1_11target_archE908ELNS1_3gpuE7ELNS1_3repE0EEENS1_30default_config_static_selectorELNS0_4arch9wavefront6targetE0EEEvT1_.uses_vcc, 0
	.set _ZN7rocprim17ROCPRIM_400000_NS6detail17trampoline_kernelINS0_14default_configENS1_27scan_by_key_config_selectorIllEEZZNS1_16scan_by_key_implILNS1_25lookback_scan_determinismE0ELb0ES3_PKlN6hipcub16HIPCUB_304000_NS21ConstantInputIteratorIllEEPllNSB_3SumENSB_8EqualityElEE10hipError_tPvRmT2_T3_T4_T5_mT6_T7_P12ihipStream_tbENKUlT_T0_E_clISt17integral_constantIbLb1EESW_IbLb0EEEEDaSS_ST_EUlSS_E_NS1_11comp_targetILNS1_3genE3ELNS1_11target_archE908ELNS1_3gpuE7ELNS1_3repE0EEENS1_30default_config_static_selectorELNS0_4arch9wavefront6targetE0EEEvT1_.uses_flat_scratch, 0
	.set _ZN7rocprim17ROCPRIM_400000_NS6detail17trampoline_kernelINS0_14default_configENS1_27scan_by_key_config_selectorIllEEZZNS1_16scan_by_key_implILNS1_25lookback_scan_determinismE0ELb0ES3_PKlN6hipcub16HIPCUB_304000_NS21ConstantInputIteratorIllEEPllNSB_3SumENSB_8EqualityElEE10hipError_tPvRmT2_T3_T4_T5_mT6_T7_P12ihipStream_tbENKUlT_T0_E_clISt17integral_constantIbLb1EESW_IbLb0EEEEDaSS_ST_EUlSS_E_NS1_11comp_targetILNS1_3genE3ELNS1_11target_archE908ELNS1_3gpuE7ELNS1_3repE0EEENS1_30default_config_static_selectorELNS0_4arch9wavefront6targetE0EEEvT1_.has_dyn_sized_stack, 0
	.set _ZN7rocprim17ROCPRIM_400000_NS6detail17trampoline_kernelINS0_14default_configENS1_27scan_by_key_config_selectorIllEEZZNS1_16scan_by_key_implILNS1_25lookback_scan_determinismE0ELb0ES3_PKlN6hipcub16HIPCUB_304000_NS21ConstantInputIteratorIllEEPllNSB_3SumENSB_8EqualityElEE10hipError_tPvRmT2_T3_T4_T5_mT6_T7_P12ihipStream_tbENKUlT_T0_E_clISt17integral_constantIbLb1EESW_IbLb0EEEEDaSS_ST_EUlSS_E_NS1_11comp_targetILNS1_3genE3ELNS1_11target_archE908ELNS1_3gpuE7ELNS1_3repE0EEENS1_30default_config_static_selectorELNS0_4arch9wavefront6targetE0EEEvT1_.has_recursion, 0
	.set _ZN7rocprim17ROCPRIM_400000_NS6detail17trampoline_kernelINS0_14default_configENS1_27scan_by_key_config_selectorIllEEZZNS1_16scan_by_key_implILNS1_25lookback_scan_determinismE0ELb0ES3_PKlN6hipcub16HIPCUB_304000_NS21ConstantInputIteratorIllEEPllNSB_3SumENSB_8EqualityElEE10hipError_tPvRmT2_T3_T4_T5_mT6_T7_P12ihipStream_tbENKUlT_T0_E_clISt17integral_constantIbLb1EESW_IbLb0EEEEDaSS_ST_EUlSS_E_NS1_11comp_targetILNS1_3genE3ELNS1_11target_archE908ELNS1_3gpuE7ELNS1_3repE0EEENS1_30default_config_static_selectorELNS0_4arch9wavefront6targetE0EEEvT1_.has_indirect_call, 0
	.section	.AMDGPU.csdata,"",@progbits
; Kernel info:
; codeLenInByte = 0
; TotalNumSgprs: 0
; NumVgprs: 0
; ScratchSize: 0
; MemoryBound: 0
; FloatMode: 240
; IeeeMode: 1
; LDSByteSize: 0 bytes/workgroup (compile time only)
; SGPRBlocks: 0
; VGPRBlocks: 0
; NumSGPRsForWavesPerEU: 1
; NumVGPRsForWavesPerEU: 1
; NamedBarCnt: 0
; Occupancy: 16
; WaveLimiterHint : 0
; COMPUTE_PGM_RSRC2:SCRATCH_EN: 0
; COMPUTE_PGM_RSRC2:USER_SGPR: 2
; COMPUTE_PGM_RSRC2:TRAP_HANDLER: 0
; COMPUTE_PGM_RSRC2:TGID_X_EN: 1
; COMPUTE_PGM_RSRC2:TGID_Y_EN: 0
; COMPUTE_PGM_RSRC2:TGID_Z_EN: 0
; COMPUTE_PGM_RSRC2:TIDIG_COMP_CNT: 0
	.section	.text._ZN7rocprim17ROCPRIM_400000_NS6detail17trampoline_kernelINS0_14default_configENS1_27scan_by_key_config_selectorIllEEZZNS1_16scan_by_key_implILNS1_25lookback_scan_determinismE0ELb0ES3_PKlN6hipcub16HIPCUB_304000_NS21ConstantInputIteratorIllEEPllNSB_3SumENSB_8EqualityElEE10hipError_tPvRmT2_T3_T4_T5_mT6_T7_P12ihipStream_tbENKUlT_T0_E_clISt17integral_constantIbLb1EESW_IbLb0EEEEDaSS_ST_EUlSS_E_NS1_11comp_targetILNS1_3genE2ELNS1_11target_archE906ELNS1_3gpuE6ELNS1_3repE0EEENS1_30default_config_static_selectorELNS0_4arch9wavefront6targetE0EEEvT1_,"axG",@progbits,_ZN7rocprim17ROCPRIM_400000_NS6detail17trampoline_kernelINS0_14default_configENS1_27scan_by_key_config_selectorIllEEZZNS1_16scan_by_key_implILNS1_25lookback_scan_determinismE0ELb0ES3_PKlN6hipcub16HIPCUB_304000_NS21ConstantInputIteratorIllEEPllNSB_3SumENSB_8EqualityElEE10hipError_tPvRmT2_T3_T4_T5_mT6_T7_P12ihipStream_tbENKUlT_T0_E_clISt17integral_constantIbLb1EESW_IbLb0EEEEDaSS_ST_EUlSS_E_NS1_11comp_targetILNS1_3genE2ELNS1_11target_archE906ELNS1_3gpuE6ELNS1_3repE0EEENS1_30default_config_static_selectorELNS0_4arch9wavefront6targetE0EEEvT1_,comdat
	.protected	_ZN7rocprim17ROCPRIM_400000_NS6detail17trampoline_kernelINS0_14default_configENS1_27scan_by_key_config_selectorIllEEZZNS1_16scan_by_key_implILNS1_25lookback_scan_determinismE0ELb0ES3_PKlN6hipcub16HIPCUB_304000_NS21ConstantInputIteratorIllEEPllNSB_3SumENSB_8EqualityElEE10hipError_tPvRmT2_T3_T4_T5_mT6_T7_P12ihipStream_tbENKUlT_T0_E_clISt17integral_constantIbLb1EESW_IbLb0EEEEDaSS_ST_EUlSS_E_NS1_11comp_targetILNS1_3genE2ELNS1_11target_archE906ELNS1_3gpuE6ELNS1_3repE0EEENS1_30default_config_static_selectorELNS0_4arch9wavefront6targetE0EEEvT1_ ; -- Begin function _ZN7rocprim17ROCPRIM_400000_NS6detail17trampoline_kernelINS0_14default_configENS1_27scan_by_key_config_selectorIllEEZZNS1_16scan_by_key_implILNS1_25lookback_scan_determinismE0ELb0ES3_PKlN6hipcub16HIPCUB_304000_NS21ConstantInputIteratorIllEEPllNSB_3SumENSB_8EqualityElEE10hipError_tPvRmT2_T3_T4_T5_mT6_T7_P12ihipStream_tbENKUlT_T0_E_clISt17integral_constantIbLb1EESW_IbLb0EEEEDaSS_ST_EUlSS_E_NS1_11comp_targetILNS1_3genE2ELNS1_11target_archE906ELNS1_3gpuE6ELNS1_3repE0EEENS1_30default_config_static_selectorELNS0_4arch9wavefront6targetE0EEEvT1_
	.globl	_ZN7rocprim17ROCPRIM_400000_NS6detail17trampoline_kernelINS0_14default_configENS1_27scan_by_key_config_selectorIllEEZZNS1_16scan_by_key_implILNS1_25lookback_scan_determinismE0ELb0ES3_PKlN6hipcub16HIPCUB_304000_NS21ConstantInputIteratorIllEEPllNSB_3SumENSB_8EqualityElEE10hipError_tPvRmT2_T3_T4_T5_mT6_T7_P12ihipStream_tbENKUlT_T0_E_clISt17integral_constantIbLb1EESW_IbLb0EEEEDaSS_ST_EUlSS_E_NS1_11comp_targetILNS1_3genE2ELNS1_11target_archE906ELNS1_3gpuE6ELNS1_3repE0EEENS1_30default_config_static_selectorELNS0_4arch9wavefront6targetE0EEEvT1_
	.p2align	8
	.type	_ZN7rocprim17ROCPRIM_400000_NS6detail17trampoline_kernelINS0_14default_configENS1_27scan_by_key_config_selectorIllEEZZNS1_16scan_by_key_implILNS1_25lookback_scan_determinismE0ELb0ES3_PKlN6hipcub16HIPCUB_304000_NS21ConstantInputIteratorIllEEPllNSB_3SumENSB_8EqualityElEE10hipError_tPvRmT2_T3_T4_T5_mT6_T7_P12ihipStream_tbENKUlT_T0_E_clISt17integral_constantIbLb1EESW_IbLb0EEEEDaSS_ST_EUlSS_E_NS1_11comp_targetILNS1_3genE2ELNS1_11target_archE906ELNS1_3gpuE6ELNS1_3repE0EEENS1_30default_config_static_selectorELNS0_4arch9wavefront6targetE0EEEvT1_,@function
_ZN7rocprim17ROCPRIM_400000_NS6detail17trampoline_kernelINS0_14default_configENS1_27scan_by_key_config_selectorIllEEZZNS1_16scan_by_key_implILNS1_25lookback_scan_determinismE0ELb0ES3_PKlN6hipcub16HIPCUB_304000_NS21ConstantInputIteratorIllEEPllNSB_3SumENSB_8EqualityElEE10hipError_tPvRmT2_T3_T4_T5_mT6_T7_P12ihipStream_tbENKUlT_T0_E_clISt17integral_constantIbLb1EESW_IbLb0EEEEDaSS_ST_EUlSS_E_NS1_11comp_targetILNS1_3genE2ELNS1_11target_archE906ELNS1_3gpuE6ELNS1_3repE0EEENS1_30default_config_static_selectorELNS0_4arch9wavefront6targetE0EEEvT1_: ; @_ZN7rocprim17ROCPRIM_400000_NS6detail17trampoline_kernelINS0_14default_configENS1_27scan_by_key_config_selectorIllEEZZNS1_16scan_by_key_implILNS1_25lookback_scan_determinismE0ELb0ES3_PKlN6hipcub16HIPCUB_304000_NS21ConstantInputIteratorIllEEPllNSB_3SumENSB_8EqualityElEE10hipError_tPvRmT2_T3_T4_T5_mT6_T7_P12ihipStream_tbENKUlT_T0_E_clISt17integral_constantIbLb1EESW_IbLb0EEEEDaSS_ST_EUlSS_E_NS1_11comp_targetILNS1_3genE2ELNS1_11target_archE906ELNS1_3gpuE6ELNS1_3repE0EEENS1_30default_config_static_selectorELNS0_4arch9wavefront6targetE0EEEvT1_
; %bb.0:
	.section	.rodata,"a",@progbits
	.p2align	6, 0x0
	.amdhsa_kernel _ZN7rocprim17ROCPRIM_400000_NS6detail17trampoline_kernelINS0_14default_configENS1_27scan_by_key_config_selectorIllEEZZNS1_16scan_by_key_implILNS1_25lookback_scan_determinismE0ELb0ES3_PKlN6hipcub16HIPCUB_304000_NS21ConstantInputIteratorIllEEPllNSB_3SumENSB_8EqualityElEE10hipError_tPvRmT2_T3_T4_T5_mT6_T7_P12ihipStream_tbENKUlT_T0_E_clISt17integral_constantIbLb1EESW_IbLb0EEEEDaSS_ST_EUlSS_E_NS1_11comp_targetILNS1_3genE2ELNS1_11target_archE906ELNS1_3gpuE6ELNS1_3repE0EEENS1_30default_config_static_selectorELNS0_4arch9wavefront6targetE0EEEvT1_
		.amdhsa_group_segment_fixed_size 0
		.amdhsa_private_segment_fixed_size 0
		.amdhsa_kernarg_size 144
		.amdhsa_user_sgpr_count 2
		.amdhsa_user_sgpr_dispatch_ptr 0
		.amdhsa_user_sgpr_queue_ptr 0
		.amdhsa_user_sgpr_kernarg_segment_ptr 1
		.amdhsa_user_sgpr_dispatch_id 0
		.amdhsa_user_sgpr_kernarg_preload_length 0
		.amdhsa_user_sgpr_kernarg_preload_offset 0
		.amdhsa_user_sgpr_private_segment_size 0
		.amdhsa_wavefront_size32 1
		.amdhsa_uses_dynamic_stack 0
		.amdhsa_enable_private_segment 0
		.amdhsa_system_sgpr_workgroup_id_x 1
		.amdhsa_system_sgpr_workgroup_id_y 0
		.amdhsa_system_sgpr_workgroup_id_z 0
		.amdhsa_system_sgpr_workgroup_info 0
		.amdhsa_system_vgpr_workitem_id 0
		.amdhsa_next_free_vgpr 1
		.amdhsa_next_free_sgpr 1
		.amdhsa_named_barrier_count 0
		.amdhsa_reserve_vcc 0
		.amdhsa_float_round_mode_32 0
		.amdhsa_float_round_mode_16_64 0
		.amdhsa_float_denorm_mode_32 3
		.amdhsa_float_denorm_mode_16_64 3
		.amdhsa_fp16_overflow 0
		.amdhsa_memory_ordered 1
		.amdhsa_forward_progress 1
		.amdhsa_inst_pref_size 0
		.amdhsa_round_robin_scheduling 0
		.amdhsa_exception_fp_ieee_invalid_op 0
		.amdhsa_exception_fp_denorm_src 0
		.amdhsa_exception_fp_ieee_div_zero 0
		.amdhsa_exception_fp_ieee_overflow 0
		.amdhsa_exception_fp_ieee_underflow 0
		.amdhsa_exception_fp_ieee_inexact 0
		.amdhsa_exception_int_div_zero 0
	.end_amdhsa_kernel
	.section	.text._ZN7rocprim17ROCPRIM_400000_NS6detail17trampoline_kernelINS0_14default_configENS1_27scan_by_key_config_selectorIllEEZZNS1_16scan_by_key_implILNS1_25lookback_scan_determinismE0ELb0ES3_PKlN6hipcub16HIPCUB_304000_NS21ConstantInputIteratorIllEEPllNSB_3SumENSB_8EqualityElEE10hipError_tPvRmT2_T3_T4_T5_mT6_T7_P12ihipStream_tbENKUlT_T0_E_clISt17integral_constantIbLb1EESW_IbLb0EEEEDaSS_ST_EUlSS_E_NS1_11comp_targetILNS1_3genE2ELNS1_11target_archE906ELNS1_3gpuE6ELNS1_3repE0EEENS1_30default_config_static_selectorELNS0_4arch9wavefront6targetE0EEEvT1_,"axG",@progbits,_ZN7rocprim17ROCPRIM_400000_NS6detail17trampoline_kernelINS0_14default_configENS1_27scan_by_key_config_selectorIllEEZZNS1_16scan_by_key_implILNS1_25lookback_scan_determinismE0ELb0ES3_PKlN6hipcub16HIPCUB_304000_NS21ConstantInputIteratorIllEEPllNSB_3SumENSB_8EqualityElEE10hipError_tPvRmT2_T3_T4_T5_mT6_T7_P12ihipStream_tbENKUlT_T0_E_clISt17integral_constantIbLb1EESW_IbLb0EEEEDaSS_ST_EUlSS_E_NS1_11comp_targetILNS1_3genE2ELNS1_11target_archE906ELNS1_3gpuE6ELNS1_3repE0EEENS1_30default_config_static_selectorELNS0_4arch9wavefront6targetE0EEEvT1_,comdat
.Lfunc_end121:
	.size	_ZN7rocprim17ROCPRIM_400000_NS6detail17trampoline_kernelINS0_14default_configENS1_27scan_by_key_config_selectorIllEEZZNS1_16scan_by_key_implILNS1_25lookback_scan_determinismE0ELb0ES3_PKlN6hipcub16HIPCUB_304000_NS21ConstantInputIteratorIllEEPllNSB_3SumENSB_8EqualityElEE10hipError_tPvRmT2_T3_T4_T5_mT6_T7_P12ihipStream_tbENKUlT_T0_E_clISt17integral_constantIbLb1EESW_IbLb0EEEEDaSS_ST_EUlSS_E_NS1_11comp_targetILNS1_3genE2ELNS1_11target_archE906ELNS1_3gpuE6ELNS1_3repE0EEENS1_30default_config_static_selectorELNS0_4arch9wavefront6targetE0EEEvT1_, .Lfunc_end121-_ZN7rocprim17ROCPRIM_400000_NS6detail17trampoline_kernelINS0_14default_configENS1_27scan_by_key_config_selectorIllEEZZNS1_16scan_by_key_implILNS1_25lookback_scan_determinismE0ELb0ES3_PKlN6hipcub16HIPCUB_304000_NS21ConstantInputIteratorIllEEPllNSB_3SumENSB_8EqualityElEE10hipError_tPvRmT2_T3_T4_T5_mT6_T7_P12ihipStream_tbENKUlT_T0_E_clISt17integral_constantIbLb1EESW_IbLb0EEEEDaSS_ST_EUlSS_E_NS1_11comp_targetILNS1_3genE2ELNS1_11target_archE906ELNS1_3gpuE6ELNS1_3repE0EEENS1_30default_config_static_selectorELNS0_4arch9wavefront6targetE0EEEvT1_
                                        ; -- End function
	.set _ZN7rocprim17ROCPRIM_400000_NS6detail17trampoline_kernelINS0_14default_configENS1_27scan_by_key_config_selectorIllEEZZNS1_16scan_by_key_implILNS1_25lookback_scan_determinismE0ELb0ES3_PKlN6hipcub16HIPCUB_304000_NS21ConstantInputIteratorIllEEPllNSB_3SumENSB_8EqualityElEE10hipError_tPvRmT2_T3_T4_T5_mT6_T7_P12ihipStream_tbENKUlT_T0_E_clISt17integral_constantIbLb1EESW_IbLb0EEEEDaSS_ST_EUlSS_E_NS1_11comp_targetILNS1_3genE2ELNS1_11target_archE906ELNS1_3gpuE6ELNS1_3repE0EEENS1_30default_config_static_selectorELNS0_4arch9wavefront6targetE0EEEvT1_.num_vgpr, 0
	.set _ZN7rocprim17ROCPRIM_400000_NS6detail17trampoline_kernelINS0_14default_configENS1_27scan_by_key_config_selectorIllEEZZNS1_16scan_by_key_implILNS1_25lookback_scan_determinismE0ELb0ES3_PKlN6hipcub16HIPCUB_304000_NS21ConstantInputIteratorIllEEPllNSB_3SumENSB_8EqualityElEE10hipError_tPvRmT2_T3_T4_T5_mT6_T7_P12ihipStream_tbENKUlT_T0_E_clISt17integral_constantIbLb1EESW_IbLb0EEEEDaSS_ST_EUlSS_E_NS1_11comp_targetILNS1_3genE2ELNS1_11target_archE906ELNS1_3gpuE6ELNS1_3repE0EEENS1_30default_config_static_selectorELNS0_4arch9wavefront6targetE0EEEvT1_.num_agpr, 0
	.set _ZN7rocprim17ROCPRIM_400000_NS6detail17trampoline_kernelINS0_14default_configENS1_27scan_by_key_config_selectorIllEEZZNS1_16scan_by_key_implILNS1_25lookback_scan_determinismE0ELb0ES3_PKlN6hipcub16HIPCUB_304000_NS21ConstantInputIteratorIllEEPllNSB_3SumENSB_8EqualityElEE10hipError_tPvRmT2_T3_T4_T5_mT6_T7_P12ihipStream_tbENKUlT_T0_E_clISt17integral_constantIbLb1EESW_IbLb0EEEEDaSS_ST_EUlSS_E_NS1_11comp_targetILNS1_3genE2ELNS1_11target_archE906ELNS1_3gpuE6ELNS1_3repE0EEENS1_30default_config_static_selectorELNS0_4arch9wavefront6targetE0EEEvT1_.numbered_sgpr, 0
	.set _ZN7rocprim17ROCPRIM_400000_NS6detail17trampoline_kernelINS0_14default_configENS1_27scan_by_key_config_selectorIllEEZZNS1_16scan_by_key_implILNS1_25lookback_scan_determinismE0ELb0ES3_PKlN6hipcub16HIPCUB_304000_NS21ConstantInputIteratorIllEEPllNSB_3SumENSB_8EqualityElEE10hipError_tPvRmT2_T3_T4_T5_mT6_T7_P12ihipStream_tbENKUlT_T0_E_clISt17integral_constantIbLb1EESW_IbLb0EEEEDaSS_ST_EUlSS_E_NS1_11comp_targetILNS1_3genE2ELNS1_11target_archE906ELNS1_3gpuE6ELNS1_3repE0EEENS1_30default_config_static_selectorELNS0_4arch9wavefront6targetE0EEEvT1_.num_named_barrier, 0
	.set _ZN7rocprim17ROCPRIM_400000_NS6detail17trampoline_kernelINS0_14default_configENS1_27scan_by_key_config_selectorIllEEZZNS1_16scan_by_key_implILNS1_25lookback_scan_determinismE0ELb0ES3_PKlN6hipcub16HIPCUB_304000_NS21ConstantInputIteratorIllEEPllNSB_3SumENSB_8EqualityElEE10hipError_tPvRmT2_T3_T4_T5_mT6_T7_P12ihipStream_tbENKUlT_T0_E_clISt17integral_constantIbLb1EESW_IbLb0EEEEDaSS_ST_EUlSS_E_NS1_11comp_targetILNS1_3genE2ELNS1_11target_archE906ELNS1_3gpuE6ELNS1_3repE0EEENS1_30default_config_static_selectorELNS0_4arch9wavefront6targetE0EEEvT1_.private_seg_size, 0
	.set _ZN7rocprim17ROCPRIM_400000_NS6detail17trampoline_kernelINS0_14default_configENS1_27scan_by_key_config_selectorIllEEZZNS1_16scan_by_key_implILNS1_25lookback_scan_determinismE0ELb0ES3_PKlN6hipcub16HIPCUB_304000_NS21ConstantInputIteratorIllEEPllNSB_3SumENSB_8EqualityElEE10hipError_tPvRmT2_T3_T4_T5_mT6_T7_P12ihipStream_tbENKUlT_T0_E_clISt17integral_constantIbLb1EESW_IbLb0EEEEDaSS_ST_EUlSS_E_NS1_11comp_targetILNS1_3genE2ELNS1_11target_archE906ELNS1_3gpuE6ELNS1_3repE0EEENS1_30default_config_static_selectorELNS0_4arch9wavefront6targetE0EEEvT1_.uses_vcc, 0
	.set _ZN7rocprim17ROCPRIM_400000_NS6detail17trampoline_kernelINS0_14default_configENS1_27scan_by_key_config_selectorIllEEZZNS1_16scan_by_key_implILNS1_25lookback_scan_determinismE0ELb0ES3_PKlN6hipcub16HIPCUB_304000_NS21ConstantInputIteratorIllEEPllNSB_3SumENSB_8EqualityElEE10hipError_tPvRmT2_T3_T4_T5_mT6_T7_P12ihipStream_tbENKUlT_T0_E_clISt17integral_constantIbLb1EESW_IbLb0EEEEDaSS_ST_EUlSS_E_NS1_11comp_targetILNS1_3genE2ELNS1_11target_archE906ELNS1_3gpuE6ELNS1_3repE0EEENS1_30default_config_static_selectorELNS0_4arch9wavefront6targetE0EEEvT1_.uses_flat_scratch, 0
	.set _ZN7rocprim17ROCPRIM_400000_NS6detail17trampoline_kernelINS0_14default_configENS1_27scan_by_key_config_selectorIllEEZZNS1_16scan_by_key_implILNS1_25lookback_scan_determinismE0ELb0ES3_PKlN6hipcub16HIPCUB_304000_NS21ConstantInputIteratorIllEEPllNSB_3SumENSB_8EqualityElEE10hipError_tPvRmT2_T3_T4_T5_mT6_T7_P12ihipStream_tbENKUlT_T0_E_clISt17integral_constantIbLb1EESW_IbLb0EEEEDaSS_ST_EUlSS_E_NS1_11comp_targetILNS1_3genE2ELNS1_11target_archE906ELNS1_3gpuE6ELNS1_3repE0EEENS1_30default_config_static_selectorELNS0_4arch9wavefront6targetE0EEEvT1_.has_dyn_sized_stack, 0
	.set _ZN7rocprim17ROCPRIM_400000_NS6detail17trampoline_kernelINS0_14default_configENS1_27scan_by_key_config_selectorIllEEZZNS1_16scan_by_key_implILNS1_25lookback_scan_determinismE0ELb0ES3_PKlN6hipcub16HIPCUB_304000_NS21ConstantInputIteratorIllEEPllNSB_3SumENSB_8EqualityElEE10hipError_tPvRmT2_T3_T4_T5_mT6_T7_P12ihipStream_tbENKUlT_T0_E_clISt17integral_constantIbLb1EESW_IbLb0EEEEDaSS_ST_EUlSS_E_NS1_11comp_targetILNS1_3genE2ELNS1_11target_archE906ELNS1_3gpuE6ELNS1_3repE0EEENS1_30default_config_static_selectorELNS0_4arch9wavefront6targetE0EEEvT1_.has_recursion, 0
	.set _ZN7rocprim17ROCPRIM_400000_NS6detail17trampoline_kernelINS0_14default_configENS1_27scan_by_key_config_selectorIllEEZZNS1_16scan_by_key_implILNS1_25lookback_scan_determinismE0ELb0ES3_PKlN6hipcub16HIPCUB_304000_NS21ConstantInputIteratorIllEEPllNSB_3SumENSB_8EqualityElEE10hipError_tPvRmT2_T3_T4_T5_mT6_T7_P12ihipStream_tbENKUlT_T0_E_clISt17integral_constantIbLb1EESW_IbLb0EEEEDaSS_ST_EUlSS_E_NS1_11comp_targetILNS1_3genE2ELNS1_11target_archE906ELNS1_3gpuE6ELNS1_3repE0EEENS1_30default_config_static_selectorELNS0_4arch9wavefront6targetE0EEEvT1_.has_indirect_call, 0
	.section	.AMDGPU.csdata,"",@progbits
; Kernel info:
; codeLenInByte = 0
; TotalNumSgprs: 0
; NumVgprs: 0
; ScratchSize: 0
; MemoryBound: 0
; FloatMode: 240
; IeeeMode: 1
; LDSByteSize: 0 bytes/workgroup (compile time only)
; SGPRBlocks: 0
; VGPRBlocks: 0
; NumSGPRsForWavesPerEU: 1
; NumVGPRsForWavesPerEU: 1
; NamedBarCnt: 0
; Occupancy: 16
; WaveLimiterHint : 0
; COMPUTE_PGM_RSRC2:SCRATCH_EN: 0
; COMPUTE_PGM_RSRC2:USER_SGPR: 2
; COMPUTE_PGM_RSRC2:TRAP_HANDLER: 0
; COMPUTE_PGM_RSRC2:TGID_X_EN: 1
; COMPUTE_PGM_RSRC2:TGID_Y_EN: 0
; COMPUTE_PGM_RSRC2:TGID_Z_EN: 0
; COMPUTE_PGM_RSRC2:TIDIG_COMP_CNT: 0
	.section	.text._ZN7rocprim17ROCPRIM_400000_NS6detail17trampoline_kernelINS0_14default_configENS1_27scan_by_key_config_selectorIllEEZZNS1_16scan_by_key_implILNS1_25lookback_scan_determinismE0ELb0ES3_PKlN6hipcub16HIPCUB_304000_NS21ConstantInputIteratorIllEEPllNSB_3SumENSB_8EqualityElEE10hipError_tPvRmT2_T3_T4_T5_mT6_T7_P12ihipStream_tbENKUlT_T0_E_clISt17integral_constantIbLb1EESW_IbLb0EEEEDaSS_ST_EUlSS_E_NS1_11comp_targetILNS1_3genE10ELNS1_11target_archE1200ELNS1_3gpuE4ELNS1_3repE0EEENS1_30default_config_static_selectorELNS0_4arch9wavefront6targetE0EEEvT1_,"axG",@progbits,_ZN7rocprim17ROCPRIM_400000_NS6detail17trampoline_kernelINS0_14default_configENS1_27scan_by_key_config_selectorIllEEZZNS1_16scan_by_key_implILNS1_25lookback_scan_determinismE0ELb0ES3_PKlN6hipcub16HIPCUB_304000_NS21ConstantInputIteratorIllEEPllNSB_3SumENSB_8EqualityElEE10hipError_tPvRmT2_T3_T4_T5_mT6_T7_P12ihipStream_tbENKUlT_T0_E_clISt17integral_constantIbLb1EESW_IbLb0EEEEDaSS_ST_EUlSS_E_NS1_11comp_targetILNS1_3genE10ELNS1_11target_archE1200ELNS1_3gpuE4ELNS1_3repE0EEENS1_30default_config_static_selectorELNS0_4arch9wavefront6targetE0EEEvT1_,comdat
	.protected	_ZN7rocprim17ROCPRIM_400000_NS6detail17trampoline_kernelINS0_14default_configENS1_27scan_by_key_config_selectorIllEEZZNS1_16scan_by_key_implILNS1_25lookback_scan_determinismE0ELb0ES3_PKlN6hipcub16HIPCUB_304000_NS21ConstantInputIteratorIllEEPllNSB_3SumENSB_8EqualityElEE10hipError_tPvRmT2_T3_T4_T5_mT6_T7_P12ihipStream_tbENKUlT_T0_E_clISt17integral_constantIbLb1EESW_IbLb0EEEEDaSS_ST_EUlSS_E_NS1_11comp_targetILNS1_3genE10ELNS1_11target_archE1200ELNS1_3gpuE4ELNS1_3repE0EEENS1_30default_config_static_selectorELNS0_4arch9wavefront6targetE0EEEvT1_ ; -- Begin function _ZN7rocprim17ROCPRIM_400000_NS6detail17trampoline_kernelINS0_14default_configENS1_27scan_by_key_config_selectorIllEEZZNS1_16scan_by_key_implILNS1_25lookback_scan_determinismE0ELb0ES3_PKlN6hipcub16HIPCUB_304000_NS21ConstantInputIteratorIllEEPllNSB_3SumENSB_8EqualityElEE10hipError_tPvRmT2_T3_T4_T5_mT6_T7_P12ihipStream_tbENKUlT_T0_E_clISt17integral_constantIbLb1EESW_IbLb0EEEEDaSS_ST_EUlSS_E_NS1_11comp_targetILNS1_3genE10ELNS1_11target_archE1200ELNS1_3gpuE4ELNS1_3repE0EEENS1_30default_config_static_selectorELNS0_4arch9wavefront6targetE0EEEvT1_
	.globl	_ZN7rocprim17ROCPRIM_400000_NS6detail17trampoline_kernelINS0_14default_configENS1_27scan_by_key_config_selectorIllEEZZNS1_16scan_by_key_implILNS1_25lookback_scan_determinismE0ELb0ES3_PKlN6hipcub16HIPCUB_304000_NS21ConstantInputIteratorIllEEPllNSB_3SumENSB_8EqualityElEE10hipError_tPvRmT2_T3_T4_T5_mT6_T7_P12ihipStream_tbENKUlT_T0_E_clISt17integral_constantIbLb1EESW_IbLb0EEEEDaSS_ST_EUlSS_E_NS1_11comp_targetILNS1_3genE10ELNS1_11target_archE1200ELNS1_3gpuE4ELNS1_3repE0EEENS1_30default_config_static_selectorELNS0_4arch9wavefront6targetE0EEEvT1_
	.p2align	8
	.type	_ZN7rocprim17ROCPRIM_400000_NS6detail17trampoline_kernelINS0_14default_configENS1_27scan_by_key_config_selectorIllEEZZNS1_16scan_by_key_implILNS1_25lookback_scan_determinismE0ELb0ES3_PKlN6hipcub16HIPCUB_304000_NS21ConstantInputIteratorIllEEPllNSB_3SumENSB_8EqualityElEE10hipError_tPvRmT2_T3_T4_T5_mT6_T7_P12ihipStream_tbENKUlT_T0_E_clISt17integral_constantIbLb1EESW_IbLb0EEEEDaSS_ST_EUlSS_E_NS1_11comp_targetILNS1_3genE10ELNS1_11target_archE1200ELNS1_3gpuE4ELNS1_3repE0EEENS1_30default_config_static_selectorELNS0_4arch9wavefront6targetE0EEEvT1_,@function
_ZN7rocprim17ROCPRIM_400000_NS6detail17trampoline_kernelINS0_14default_configENS1_27scan_by_key_config_selectorIllEEZZNS1_16scan_by_key_implILNS1_25lookback_scan_determinismE0ELb0ES3_PKlN6hipcub16HIPCUB_304000_NS21ConstantInputIteratorIllEEPllNSB_3SumENSB_8EqualityElEE10hipError_tPvRmT2_T3_T4_T5_mT6_T7_P12ihipStream_tbENKUlT_T0_E_clISt17integral_constantIbLb1EESW_IbLb0EEEEDaSS_ST_EUlSS_E_NS1_11comp_targetILNS1_3genE10ELNS1_11target_archE1200ELNS1_3gpuE4ELNS1_3repE0EEENS1_30default_config_static_selectorELNS0_4arch9wavefront6targetE0EEEvT1_: ; @_ZN7rocprim17ROCPRIM_400000_NS6detail17trampoline_kernelINS0_14default_configENS1_27scan_by_key_config_selectorIllEEZZNS1_16scan_by_key_implILNS1_25lookback_scan_determinismE0ELb0ES3_PKlN6hipcub16HIPCUB_304000_NS21ConstantInputIteratorIllEEPllNSB_3SumENSB_8EqualityElEE10hipError_tPvRmT2_T3_T4_T5_mT6_T7_P12ihipStream_tbENKUlT_T0_E_clISt17integral_constantIbLb1EESW_IbLb0EEEEDaSS_ST_EUlSS_E_NS1_11comp_targetILNS1_3genE10ELNS1_11target_archE1200ELNS1_3gpuE4ELNS1_3repE0EEENS1_30default_config_static_selectorELNS0_4arch9wavefront6targetE0EEEvT1_
; %bb.0:
	.section	.rodata,"a",@progbits
	.p2align	6, 0x0
	.amdhsa_kernel _ZN7rocprim17ROCPRIM_400000_NS6detail17trampoline_kernelINS0_14default_configENS1_27scan_by_key_config_selectorIllEEZZNS1_16scan_by_key_implILNS1_25lookback_scan_determinismE0ELb0ES3_PKlN6hipcub16HIPCUB_304000_NS21ConstantInputIteratorIllEEPllNSB_3SumENSB_8EqualityElEE10hipError_tPvRmT2_T3_T4_T5_mT6_T7_P12ihipStream_tbENKUlT_T0_E_clISt17integral_constantIbLb1EESW_IbLb0EEEEDaSS_ST_EUlSS_E_NS1_11comp_targetILNS1_3genE10ELNS1_11target_archE1200ELNS1_3gpuE4ELNS1_3repE0EEENS1_30default_config_static_selectorELNS0_4arch9wavefront6targetE0EEEvT1_
		.amdhsa_group_segment_fixed_size 0
		.amdhsa_private_segment_fixed_size 0
		.amdhsa_kernarg_size 144
		.amdhsa_user_sgpr_count 2
		.amdhsa_user_sgpr_dispatch_ptr 0
		.amdhsa_user_sgpr_queue_ptr 0
		.amdhsa_user_sgpr_kernarg_segment_ptr 1
		.amdhsa_user_sgpr_dispatch_id 0
		.amdhsa_user_sgpr_kernarg_preload_length 0
		.amdhsa_user_sgpr_kernarg_preload_offset 0
		.amdhsa_user_sgpr_private_segment_size 0
		.amdhsa_wavefront_size32 1
		.amdhsa_uses_dynamic_stack 0
		.amdhsa_enable_private_segment 0
		.amdhsa_system_sgpr_workgroup_id_x 1
		.amdhsa_system_sgpr_workgroup_id_y 0
		.amdhsa_system_sgpr_workgroup_id_z 0
		.amdhsa_system_sgpr_workgroup_info 0
		.amdhsa_system_vgpr_workitem_id 0
		.amdhsa_next_free_vgpr 1
		.amdhsa_next_free_sgpr 1
		.amdhsa_named_barrier_count 0
		.amdhsa_reserve_vcc 0
		.amdhsa_float_round_mode_32 0
		.amdhsa_float_round_mode_16_64 0
		.amdhsa_float_denorm_mode_32 3
		.amdhsa_float_denorm_mode_16_64 3
		.amdhsa_fp16_overflow 0
		.amdhsa_memory_ordered 1
		.amdhsa_forward_progress 1
		.amdhsa_inst_pref_size 0
		.amdhsa_round_robin_scheduling 0
		.amdhsa_exception_fp_ieee_invalid_op 0
		.amdhsa_exception_fp_denorm_src 0
		.amdhsa_exception_fp_ieee_div_zero 0
		.amdhsa_exception_fp_ieee_overflow 0
		.amdhsa_exception_fp_ieee_underflow 0
		.amdhsa_exception_fp_ieee_inexact 0
		.amdhsa_exception_int_div_zero 0
	.end_amdhsa_kernel
	.section	.text._ZN7rocprim17ROCPRIM_400000_NS6detail17trampoline_kernelINS0_14default_configENS1_27scan_by_key_config_selectorIllEEZZNS1_16scan_by_key_implILNS1_25lookback_scan_determinismE0ELb0ES3_PKlN6hipcub16HIPCUB_304000_NS21ConstantInputIteratorIllEEPllNSB_3SumENSB_8EqualityElEE10hipError_tPvRmT2_T3_T4_T5_mT6_T7_P12ihipStream_tbENKUlT_T0_E_clISt17integral_constantIbLb1EESW_IbLb0EEEEDaSS_ST_EUlSS_E_NS1_11comp_targetILNS1_3genE10ELNS1_11target_archE1200ELNS1_3gpuE4ELNS1_3repE0EEENS1_30default_config_static_selectorELNS0_4arch9wavefront6targetE0EEEvT1_,"axG",@progbits,_ZN7rocprim17ROCPRIM_400000_NS6detail17trampoline_kernelINS0_14default_configENS1_27scan_by_key_config_selectorIllEEZZNS1_16scan_by_key_implILNS1_25lookback_scan_determinismE0ELb0ES3_PKlN6hipcub16HIPCUB_304000_NS21ConstantInputIteratorIllEEPllNSB_3SumENSB_8EqualityElEE10hipError_tPvRmT2_T3_T4_T5_mT6_T7_P12ihipStream_tbENKUlT_T0_E_clISt17integral_constantIbLb1EESW_IbLb0EEEEDaSS_ST_EUlSS_E_NS1_11comp_targetILNS1_3genE10ELNS1_11target_archE1200ELNS1_3gpuE4ELNS1_3repE0EEENS1_30default_config_static_selectorELNS0_4arch9wavefront6targetE0EEEvT1_,comdat
.Lfunc_end122:
	.size	_ZN7rocprim17ROCPRIM_400000_NS6detail17trampoline_kernelINS0_14default_configENS1_27scan_by_key_config_selectorIllEEZZNS1_16scan_by_key_implILNS1_25lookback_scan_determinismE0ELb0ES3_PKlN6hipcub16HIPCUB_304000_NS21ConstantInputIteratorIllEEPllNSB_3SumENSB_8EqualityElEE10hipError_tPvRmT2_T3_T4_T5_mT6_T7_P12ihipStream_tbENKUlT_T0_E_clISt17integral_constantIbLb1EESW_IbLb0EEEEDaSS_ST_EUlSS_E_NS1_11comp_targetILNS1_3genE10ELNS1_11target_archE1200ELNS1_3gpuE4ELNS1_3repE0EEENS1_30default_config_static_selectorELNS0_4arch9wavefront6targetE0EEEvT1_, .Lfunc_end122-_ZN7rocprim17ROCPRIM_400000_NS6detail17trampoline_kernelINS0_14default_configENS1_27scan_by_key_config_selectorIllEEZZNS1_16scan_by_key_implILNS1_25lookback_scan_determinismE0ELb0ES3_PKlN6hipcub16HIPCUB_304000_NS21ConstantInputIteratorIllEEPllNSB_3SumENSB_8EqualityElEE10hipError_tPvRmT2_T3_T4_T5_mT6_T7_P12ihipStream_tbENKUlT_T0_E_clISt17integral_constantIbLb1EESW_IbLb0EEEEDaSS_ST_EUlSS_E_NS1_11comp_targetILNS1_3genE10ELNS1_11target_archE1200ELNS1_3gpuE4ELNS1_3repE0EEENS1_30default_config_static_selectorELNS0_4arch9wavefront6targetE0EEEvT1_
                                        ; -- End function
	.set _ZN7rocprim17ROCPRIM_400000_NS6detail17trampoline_kernelINS0_14default_configENS1_27scan_by_key_config_selectorIllEEZZNS1_16scan_by_key_implILNS1_25lookback_scan_determinismE0ELb0ES3_PKlN6hipcub16HIPCUB_304000_NS21ConstantInputIteratorIllEEPllNSB_3SumENSB_8EqualityElEE10hipError_tPvRmT2_T3_T4_T5_mT6_T7_P12ihipStream_tbENKUlT_T0_E_clISt17integral_constantIbLb1EESW_IbLb0EEEEDaSS_ST_EUlSS_E_NS1_11comp_targetILNS1_3genE10ELNS1_11target_archE1200ELNS1_3gpuE4ELNS1_3repE0EEENS1_30default_config_static_selectorELNS0_4arch9wavefront6targetE0EEEvT1_.num_vgpr, 0
	.set _ZN7rocprim17ROCPRIM_400000_NS6detail17trampoline_kernelINS0_14default_configENS1_27scan_by_key_config_selectorIllEEZZNS1_16scan_by_key_implILNS1_25lookback_scan_determinismE0ELb0ES3_PKlN6hipcub16HIPCUB_304000_NS21ConstantInputIteratorIllEEPllNSB_3SumENSB_8EqualityElEE10hipError_tPvRmT2_T3_T4_T5_mT6_T7_P12ihipStream_tbENKUlT_T0_E_clISt17integral_constantIbLb1EESW_IbLb0EEEEDaSS_ST_EUlSS_E_NS1_11comp_targetILNS1_3genE10ELNS1_11target_archE1200ELNS1_3gpuE4ELNS1_3repE0EEENS1_30default_config_static_selectorELNS0_4arch9wavefront6targetE0EEEvT1_.num_agpr, 0
	.set _ZN7rocprim17ROCPRIM_400000_NS6detail17trampoline_kernelINS0_14default_configENS1_27scan_by_key_config_selectorIllEEZZNS1_16scan_by_key_implILNS1_25lookback_scan_determinismE0ELb0ES3_PKlN6hipcub16HIPCUB_304000_NS21ConstantInputIteratorIllEEPllNSB_3SumENSB_8EqualityElEE10hipError_tPvRmT2_T3_T4_T5_mT6_T7_P12ihipStream_tbENKUlT_T0_E_clISt17integral_constantIbLb1EESW_IbLb0EEEEDaSS_ST_EUlSS_E_NS1_11comp_targetILNS1_3genE10ELNS1_11target_archE1200ELNS1_3gpuE4ELNS1_3repE0EEENS1_30default_config_static_selectorELNS0_4arch9wavefront6targetE0EEEvT1_.numbered_sgpr, 0
	.set _ZN7rocprim17ROCPRIM_400000_NS6detail17trampoline_kernelINS0_14default_configENS1_27scan_by_key_config_selectorIllEEZZNS1_16scan_by_key_implILNS1_25lookback_scan_determinismE0ELb0ES3_PKlN6hipcub16HIPCUB_304000_NS21ConstantInputIteratorIllEEPllNSB_3SumENSB_8EqualityElEE10hipError_tPvRmT2_T3_T4_T5_mT6_T7_P12ihipStream_tbENKUlT_T0_E_clISt17integral_constantIbLb1EESW_IbLb0EEEEDaSS_ST_EUlSS_E_NS1_11comp_targetILNS1_3genE10ELNS1_11target_archE1200ELNS1_3gpuE4ELNS1_3repE0EEENS1_30default_config_static_selectorELNS0_4arch9wavefront6targetE0EEEvT1_.num_named_barrier, 0
	.set _ZN7rocprim17ROCPRIM_400000_NS6detail17trampoline_kernelINS0_14default_configENS1_27scan_by_key_config_selectorIllEEZZNS1_16scan_by_key_implILNS1_25lookback_scan_determinismE0ELb0ES3_PKlN6hipcub16HIPCUB_304000_NS21ConstantInputIteratorIllEEPllNSB_3SumENSB_8EqualityElEE10hipError_tPvRmT2_T3_T4_T5_mT6_T7_P12ihipStream_tbENKUlT_T0_E_clISt17integral_constantIbLb1EESW_IbLb0EEEEDaSS_ST_EUlSS_E_NS1_11comp_targetILNS1_3genE10ELNS1_11target_archE1200ELNS1_3gpuE4ELNS1_3repE0EEENS1_30default_config_static_selectorELNS0_4arch9wavefront6targetE0EEEvT1_.private_seg_size, 0
	.set _ZN7rocprim17ROCPRIM_400000_NS6detail17trampoline_kernelINS0_14default_configENS1_27scan_by_key_config_selectorIllEEZZNS1_16scan_by_key_implILNS1_25lookback_scan_determinismE0ELb0ES3_PKlN6hipcub16HIPCUB_304000_NS21ConstantInputIteratorIllEEPllNSB_3SumENSB_8EqualityElEE10hipError_tPvRmT2_T3_T4_T5_mT6_T7_P12ihipStream_tbENKUlT_T0_E_clISt17integral_constantIbLb1EESW_IbLb0EEEEDaSS_ST_EUlSS_E_NS1_11comp_targetILNS1_3genE10ELNS1_11target_archE1200ELNS1_3gpuE4ELNS1_3repE0EEENS1_30default_config_static_selectorELNS0_4arch9wavefront6targetE0EEEvT1_.uses_vcc, 0
	.set _ZN7rocprim17ROCPRIM_400000_NS6detail17trampoline_kernelINS0_14default_configENS1_27scan_by_key_config_selectorIllEEZZNS1_16scan_by_key_implILNS1_25lookback_scan_determinismE0ELb0ES3_PKlN6hipcub16HIPCUB_304000_NS21ConstantInputIteratorIllEEPllNSB_3SumENSB_8EqualityElEE10hipError_tPvRmT2_T3_T4_T5_mT6_T7_P12ihipStream_tbENKUlT_T0_E_clISt17integral_constantIbLb1EESW_IbLb0EEEEDaSS_ST_EUlSS_E_NS1_11comp_targetILNS1_3genE10ELNS1_11target_archE1200ELNS1_3gpuE4ELNS1_3repE0EEENS1_30default_config_static_selectorELNS0_4arch9wavefront6targetE0EEEvT1_.uses_flat_scratch, 0
	.set _ZN7rocprim17ROCPRIM_400000_NS6detail17trampoline_kernelINS0_14default_configENS1_27scan_by_key_config_selectorIllEEZZNS1_16scan_by_key_implILNS1_25lookback_scan_determinismE0ELb0ES3_PKlN6hipcub16HIPCUB_304000_NS21ConstantInputIteratorIllEEPllNSB_3SumENSB_8EqualityElEE10hipError_tPvRmT2_T3_T4_T5_mT6_T7_P12ihipStream_tbENKUlT_T0_E_clISt17integral_constantIbLb1EESW_IbLb0EEEEDaSS_ST_EUlSS_E_NS1_11comp_targetILNS1_3genE10ELNS1_11target_archE1200ELNS1_3gpuE4ELNS1_3repE0EEENS1_30default_config_static_selectorELNS0_4arch9wavefront6targetE0EEEvT1_.has_dyn_sized_stack, 0
	.set _ZN7rocprim17ROCPRIM_400000_NS6detail17trampoline_kernelINS0_14default_configENS1_27scan_by_key_config_selectorIllEEZZNS1_16scan_by_key_implILNS1_25lookback_scan_determinismE0ELb0ES3_PKlN6hipcub16HIPCUB_304000_NS21ConstantInputIteratorIllEEPllNSB_3SumENSB_8EqualityElEE10hipError_tPvRmT2_T3_T4_T5_mT6_T7_P12ihipStream_tbENKUlT_T0_E_clISt17integral_constantIbLb1EESW_IbLb0EEEEDaSS_ST_EUlSS_E_NS1_11comp_targetILNS1_3genE10ELNS1_11target_archE1200ELNS1_3gpuE4ELNS1_3repE0EEENS1_30default_config_static_selectorELNS0_4arch9wavefront6targetE0EEEvT1_.has_recursion, 0
	.set _ZN7rocprim17ROCPRIM_400000_NS6detail17trampoline_kernelINS0_14default_configENS1_27scan_by_key_config_selectorIllEEZZNS1_16scan_by_key_implILNS1_25lookback_scan_determinismE0ELb0ES3_PKlN6hipcub16HIPCUB_304000_NS21ConstantInputIteratorIllEEPllNSB_3SumENSB_8EqualityElEE10hipError_tPvRmT2_T3_T4_T5_mT6_T7_P12ihipStream_tbENKUlT_T0_E_clISt17integral_constantIbLb1EESW_IbLb0EEEEDaSS_ST_EUlSS_E_NS1_11comp_targetILNS1_3genE10ELNS1_11target_archE1200ELNS1_3gpuE4ELNS1_3repE0EEENS1_30default_config_static_selectorELNS0_4arch9wavefront6targetE0EEEvT1_.has_indirect_call, 0
	.section	.AMDGPU.csdata,"",@progbits
; Kernel info:
; codeLenInByte = 0
; TotalNumSgprs: 0
; NumVgprs: 0
; ScratchSize: 0
; MemoryBound: 0
; FloatMode: 240
; IeeeMode: 1
; LDSByteSize: 0 bytes/workgroup (compile time only)
; SGPRBlocks: 0
; VGPRBlocks: 0
; NumSGPRsForWavesPerEU: 1
; NumVGPRsForWavesPerEU: 1
; NamedBarCnt: 0
; Occupancy: 16
; WaveLimiterHint : 0
; COMPUTE_PGM_RSRC2:SCRATCH_EN: 0
; COMPUTE_PGM_RSRC2:USER_SGPR: 2
; COMPUTE_PGM_RSRC2:TRAP_HANDLER: 0
; COMPUTE_PGM_RSRC2:TGID_X_EN: 1
; COMPUTE_PGM_RSRC2:TGID_Y_EN: 0
; COMPUTE_PGM_RSRC2:TGID_Z_EN: 0
; COMPUTE_PGM_RSRC2:TIDIG_COMP_CNT: 0
	.section	.text._ZN7rocprim17ROCPRIM_400000_NS6detail17trampoline_kernelINS0_14default_configENS1_27scan_by_key_config_selectorIllEEZZNS1_16scan_by_key_implILNS1_25lookback_scan_determinismE0ELb0ES3_PKlN6hipcub16HIPCUB_304000_NS21ConstantInputIteratorIllEEPllNSB_3SumENSB_8EqualityElEE10hipError_tPvRmT2_T3_T4_T5_mT6_T7_P12ihipStream_tbENKUlT_T0_E_clISt17integral_constantIbLb1EESW_IbLb0EEEEDaSS_ST_EUlSS_E_NS1_11comp_targetILNS1_3genE9ELNS1_11target_archE1100ELNS1_3gpuE3ELNS1_3repE0EEENS1_30default_config_static_selectorELNS0_4arch9wavefront6targetE0EEEvT1_,"axG",@progbits,_ZN7rocprim17ROCPRIM_400000_NS6detail17trampoline_kernelINS0_14default_configENS1_27scan_by_key_config_selectorIllEEZZNS1_16scan_by_key_implILNS1_25lookback_scan_determinismE0ELb0ES3_PKlN6hipcub16HIPCUB_304000_NS21ConstantInputIteratorIllEEPllNSB_3SumENSB_8EqualityElEE10hipError_tPvRmT2_T3_T4_T5_mT6_T7_P12ihipStream_tbENKUlT_T0_E_clISt17integral_constantIbLb1EESW_IbLb0EEEEDaSS_ST_EUlSS_E_NS1_11comp_targetILNS1_3genE9ELNS1_11target_archE1100ELNS1_3gpuE3ELNS1_3repE0EEENS1_30default_config_static_selectorELNS0_4arch9wavefront6targetE0EEEvT1_,comdat
	.protected	_ZN7rocprim17ROCPRIM_400000_NS6detail17trampoline_kernelINS0_14default_configENS1_27scan_by_key_config_selectorIllEEZZNS1_16scan_by_key_implILNS1_25lookback_scan_determinismE0ELb0ES3_PKlN6hipcub16HIPCUB_304000_NS21ConstantInputIteratorIllEEPllNSB_3SumENSB_8EqualityElEE10hipError_tPvRmT2_T3_T4_T5_mT6_T7_P12ihipStream_tbENKUlT_T0_E_clISt17integral_constantIbLb1EESW_IbLb0EEEEDaSS_ST_EUlSS_E_NS1_11comp_targetILNS1_3genE9ELNS1_11target_archE1100ELNS1_3gpuE3ELNS1_3repE0EEENS1_30default_config_static_selectorELNS0_4arch9wavefront6targetE0EEEvT1_ ; -- Begin function _ZN7rocprim17ROCPRIM_400000_NS6detail17trampoline_kernelINS0_14default_configENS1_27scan_by_key_config_selectorIllEEZZNS1_16scan_by_key_implILNS1_25lookback_scan_determinismE0ELb0ES3_PKlN6hipcub16HIPCUB_304000_NS21ConstantInputIteratorIllEEPllNSB_3SumENSB_8EqualityElEE10hipError_tPvRmT2_T3_T4_T5_mT6_T7_P12ihipStream_tbENKUlT_T0_E_clISt17integral_constantIbLb1EESW_IbLb0EEEEDaSS_ST_EUlSS_E_NS1_11comp_targetILNS1_3genE9ELNS1_11target_archE1100ELNS1_3gpuE3ELNS1_3repE0EEENS1_30default_config_static_selectorELNS0_4arch9wavefront6targetE0EEEvT1_
	.globl	_ZN7rocprim17ROCPRIM_400000_NS6detail17trampoline_kernelINS0_14default_configENS1_27scan_by_key_config_selectorIllEEZZNS1_16scan_by_key_implILNS1_25lookback_scan_determinismE0ELb0ES3_PKlN6hipcub16HIPCUB_304000_NS21ConstantInputIteratorIllEEPllNSB_3SumENSB_8EqualityElEE10hipError_tPvRmT2_T3_T4_T5_mT6_T7_P12ihipStream_tbENKUlT_T0_E_clISt17integral_constantIbLb1EESW_IbLb0EEEEDaSS_ST_EUlSS_E_NS1_11comp_targetILNS1_3genE9ELNS1_11target_archE1100ELNS1_3gpuE3ELNS1_3repE0EEENS1_30default_config_static_selectorELNS0_4arch9wavefront6targetE0EEEvT1_
	.p2align	8
	.type	_ZN7rocprim17ROCPRIM_400000_NS6detail17trampoline_kernelINS0_14default_configENS1_27scan_by_key_config_selectorIllEEZZNS1_16scan_by_key_implILNS1_25lookback_scan_determinismE0ELb0ES3_PKlN6hipcub16HIPCUB_304000_NS21ConstantInputIteratorIllEEPllNSB_3SumENSB_8EqualityElEE10hipError_tPvRmT2_T3_T4_T5_mT6_T7_P12ihipStream_tbENKUlT_T0_E_clISt17integral_constantIbLb1EESW_IbLb0EEEEDaSS_ST_EUlSS_E_NS1_11comp_targetILNS1_3genE9ELNS1_11target_archE1100ELNS1_3gpuE3ELNS1_3repE0EEENS1_30default_config_static_selectorELNS0_4arch9wavefront6targetE0EEEvT1_,@function
_ZN7rocprim17ROCPRIM_400000_NS6detail17trampoline_kernelINS0_14default_configENS1_27scan_by_key_config_selectorIllEEZZNS1_16scan_by_key_implILNS1_25lookback_scan_determinismE0ELb0ES3_PKlN6hipcub16HIPCUB_304000_NS21ConstantInputIteratorIllEEPllNSB_3SumENSB_8EqualityElEE10hipError_tPvRmT2_T3_T4_T5_mT6_T7_P12ihipStream_tbENKUlT_T0_E_clISt17integral_constantIbLb1EESW_IbLb0EEEEDaSS_ST_EUlSS_E_NS1_11comp_targetILNS1_3genE9ELNS1_11target_archE1100ELNS1_3gpuE3ELNS1_3repE0EEENS1_30default_config_static_selectorELNS0_4arch9wavefront6targetE0EEEvT1_: ; @_ZN7rocprim17ROCPRIM_400000_NS6detail17trampoline_kernelINS0_14default_configENS1_27scan_by_key_config_selectorIllEEZZNS1_16scan_by_key_implILNS1_25lookback_scan_determinismE0ELb0ES3_PKlN6hipcub16HIPCUB_304000_NS21ConstantInputIteratorIllEEPllNSB_3SumENSB_8EqualityElEE10hipError_tPvRmT2_T3_T4_T5_mT6_T7_P12ihipStream_tbENKUlT_T0_E_clISt17integral_constantIbLb1EESW_IbLb0EEEEDaSS_ST_EUlSS_E_NS1_11comp_targetILNS1_3genE9ELNS1_11target_archE1100ELNS1_3gpuE3ELNS1_3repE0EEENS1_30default_config_static_selectorELNS0_4arch9wavefront6targetE0EEEvT1_
; %bb.0:
	.section	.rodata,"a",@progbits
	.p2align	6, 0x0
	.amdhsa_kernel _ZN7rocprim17ROCPRIM_400000_NS6detail17trampoline_kernelINS0_14default_configENS1_27scan_by_key_config_selectorIllEEZZNS1_16scan_by_key_implILNS1_25lookback_scan_determinismE0ELb0ES3_PKlN6hipcub16HIPCUB_304000_NS21ConstantInputIteratorIllEEPllNSB_3SumENSB_8EqualityElEE10hipError_tPvRmT2_T3_T4_T5_mT6_T7_P12ihipStream_tbENKUlT_T0_E_clISt17integral_constantIbLb1EESW_IbLb0EEEEDaSS_ST_EUlSS_E_NS1_11comp_targetILNS1_3genE9ELNS1_11target_archE1100ELNS1_3gpuE3ELNS1_3repE0EEENS1_30default_config_static_selectorELNS0_4arch9wavefront6targetE0EEEvT1_
		.amdhsa_group_segment_fixed_size 0
		.amdhsa_private_segment_fixed_size 0
		.amdhsa_kernarg_size 144
		.amdhsa_user_sgpr_count 2
		.amdhsa_user_sgpr_dispatch_ptr 0
		.amdhsa_user_sgpr_queue_ptr 0
		.amdhsa_user_sgpr_kernarg_segment_ptr 1
		.amdhsa_user_sgpr_dispatch_id 0
		.amdhsa_user_sgpr_kernarg_preload_length 0
		.amdhsa_user_sgpr_kernarg_preload_offset 0
		.amdhsa_user_sgpr_private_segment_size 0
		.amdhsa_wavefront_size32 1
		.amdhsa_uses_dynamic_stack 0
		.amdhsa_enable_private_segment 0
		.amdhsa_system_sgpr_workgroup_id_x 1
		.amdhsa_system_sgpr_workgroup_id_y 0
		.amdhsa_system_sgpr_workgroup_id_z 0
		.amdhsa_system_sgpr_workgroup_info 0
		.amdhsa_system_vgpr_workitem_id 0
		.amdhsa_next_free_vgpr 1
		.amdhsa_next_free_sgpr 1
		.amdhsa_named_barrier_count 0
		.amdhsa_reserve_vcc 0
		.amdhsa_float_round_mode_32 0
		.amdhsa_float_round_mode_16_64 0
		.amdhsa_float_denorm_mode_32 3
		.amdhsa_float_denorm_mode_16_64 3
		.amdhsa_fp16_overflow 0
		.amdhsa_memory_ordered 1
		.amdhsa_forward_progress 1
		.amdhsa_inst_pref_size 0
		.amdhsa_round_robin_scheduling 0
		.amdhsa_exception_fp_ieee_invalid_op 0
		.amdhsa_exception_fp_denorm_src 0
		.amdhsa_exception_fp_ieee_div_zero 0
		.amdhsa_exception_fp_ieee_overflow 0
		.amdhsa_exception_fp_ieee_underflow 0
		.amdhsa_exception_fp_ieee_inexact 0
		.amdhsa_exception_int_div_zero 0
	.end_amdhsa_kernel
	.section	.text._ZN7rocprim17ROCPRIM_400000_NS6detail17trampoline_kernelINS0_14default_configENS1_27scan_by_key_config_selectorIllEEZZNS1_16scan_by_key_implILNS1_25lookback_scan_determinismE0ELb0ES3_PKlN6hipcub16HIPCUB_304000_NS21ConstantInputIteratorIllEEPllNSB_3SumENSB_8EqualityElEE10hipError_tPvRmT2_T3_T4_T5_mT6_T7_P12ihipStream_tbENKUlT_T0_E_clISt17integral_constantIbLb1EESW_IbLb0EEEEDaSS_ST_EUlSS_E_NS1_11comp_targetILNS1_3genE9ELNS1_11target_archE1100ELNS1_3gpuE3ELNS1_3repE0EEENS1_30default_config_static_selectorELNS0_4arch9wavefront6targetE0EEEvT1_,"axG",@progbits,_ZN7rocprim17ROCPRIM_400000_NS6detail17trampoline_kernelINS0_14default_configENS1_27scan_by_key_config_selectorIllEEZZNS1_16scan_by_key_implILNS1_25lookback_scan_determinismE0ELb0ES3_PKlN6hipcub16HIPCUB_304000_NS21ConstantInputIteratorIllEEPllNSB_3SumENSB_8EqualityElEE10hipError_tPvRmT2_T3_T4_T5_mT6_T7_P12ihipStream_tbENKUlT_T0_E_clISt17integral_constantIbLb1EESW_IbLb0EEEEDaSS_ST_EUlSS_E_NS1_11comp_targetILNS1_3genE9ELNS1_11target_archE1100ELNS1_3gpuE3ELNS1_3repE0EEENS1_30default_config_static_selectorELNS0_4arch9wavefront6targetE0EEEvT1_,comdat
.Lfunc_end123:
	.size	_ZN7rocprim17ROCPRIM_400000_NS6detail17trampoline_kernelINS0_14default_configENS1_27scan_by_key_config_selectorIllEEZZNS1_16scan_by_key_implILNS1_25lookback_scan_determinismE0ELb0ES3_PKlN6hipcub16HIPCUB_304000_NS21ConstantInputIteratorIllEEPllNSB_3SumENSB_8EqualityElEE10hipError_tPvRmT2_T3_T4_T5_mT6_T7_P12ihipStream_tbENKUlT_T0_E_clISt17integral_constantIbLb1EESW_IbLb0EEEEDaSS_ST_EUlSS_E_NS1_11comp_targetILNS1_3genE9ELNS1_11target_archE1100ELNS1_3gpuE3ELNS1_3repE0EEENS1_30default_config_static_selectorELNS0_4arch9wavefront6targetE0EEEvT1_, .Lfunc_end123-_ZN7rocprim17ROCPRIM_400000_NS6detail17trampoline_kernelINS0_14default_configENS1_27scan_by_key_config_selectorIllEEZZNS1_16scan_by_key_implILNS1_25lookback_scan_determinismE0ELb0ES3_PKlN6hipcub16HIPCUB_304000_NS21ConstantInputIteratorIllEEPllNSB_3SumENSB_8EqualityElEE10hipError_tPvRmT2_T3_T4_T5_mT6_T7_P12ihipStream_tbENKUlT_T0_E_clISt17integral_constantIbLb1EESW_IbLb0EEEEDaSS_ST_EUlSS_E_NS1_11comp_targetILNS1_3genE9ELNS1_11target_archE1100ELNS1_3gpuE3ELNS1_3repE0EEENS1_30default_config_static_selectorELNS0_4arch9wavefront6targetE0EEEvT1_
                                        ; -- End function
	.set _ZN7rocprim17ROCPRIM_400000_NS6detail17trampoline_kernelINS0_14default_configENS1_27scan_by_key_config_selectorIllEEZZNS1_16scan_by_key_implILNS1_25lookback_scan_determinismE0ELb0ES3_PKlN6hipcub16HIPCUB_304000_NS21ConstantInputIteratorIllEEPllNSB_3SumENSB_8EqualityElEE10hipError_tPvRmT2_T3_T4_T5_mT6_T7_P12ihipStream_tbENKUlT_T0_E_clISt17integral_constantIbLb1EESW_IbLb0EEEEDaSS_ST_EUlSS_E_NS1_11comp_targetILNS1_3genE9ELNS1_11target_archE1100ELNS1_3gpuE3ELNS1_3repE0EEENS1_30default_config_static_selectorELNS0_4arch9wavefront6targetE0EEEvT1_.num_vgpr, 0
	.set _ZN7rocprim17ROCPRIM_400000_NS6detail17trampoline_kernelINS0_14default_configENS1_27scan_by_key_config_selectorIllEEZZNS1_16scan_by_key_implILNS1_25lookback_scan_determinismE0ELb0ES3_PKlN6hipcub16HIPCUB_304000_NS21ConstantInputIteratorIllEEPllNSB_3SumENSB_8EqualityElEE10hipError_tPvRmT2_T3_T4_T5_mT6_T7_P12ihipStream_tbENKUlT_T0_E_clISt17integral_constantIbLb1EESW_IbLb0EEEEDaSS_ST_EUlSS_E_NS1_11comp_targetILNS1_3genE9ELNS1_11target_archE1100ELNS1_3gpuE3ELNS1_3repE0EEENS1_30default_config_static_selectorELNS0_4arch9wavefront6targetE0EEEvT1_.num_agpr, 0
	.set _ZN7rocprim17ROCPRIM_400000_NS6detail17trampoline_kernelINS0_14default_configENS1_27scan_by_key_config_selectorIllEEZZNS1_16scan_by_key_implILNS1_25lookback_scan_determinismE0ELb0ES3_PKlN6hipcub16HIPCUB_304000_NS21ConstantInputIteratorIllEEPllNSB_3SumENSB_8EqualityElEE10hipError_tPvRmT2_T3_T4_T5_mT6_T7_P12ihipStream_tbENKUlT_T0_E_clISt17integral_constantIbLb1EESW_IbLb0EEEEDaSS_ST_EUlSS_E_NS1_11comp_targetILNS1_3genE9ELNS1_11target_archE1100ELNS1_3gpuE3ELNS1_3repE0EEENS1_30default_config_static_selectorELNS0_4arch9wavefront6targetE0EEEvT1_.numbered_sgpr, 0
	.set _ZN7rocprim17ROCPRIM_400000_NS6detail17trampoline_kernelINS0_14default_configENS1_27scan_by_key_config_selectorIllEEZZNS1_16scan_by_key_implILNS1_25lookback_scan_determinismE0ELb0ES3_PKlN6hipcub16HIPCUB_304000_NS21ConstantInputIteratorIllEEPllNSB_3SumENSB_8EqualityElEE10hipError_tPvRmT2_T3_T4_T5_mT6_T7_P12ihipStream_tbENKUlT_T0_E_clISt17integral_constantIbLb1EESW_IbLb0EEEEDaSS_ST_EUlSS_E_NS1_11comp_targetILNS1_3genE9ELNS1_11target_archE1100ELNS1_3gpuE3ELNS1_3repE0EEENS1_30default_config_static_selectorELNS0_4arch9wavefront6targetE0EEEvT1_.num_named_barrier, 0
	.set _ZN7rocprim17ROCPRIM_400000_NS6detail17trampoline_kernelINS0_14default_configENS1_27scan_by_key_config_selectorIllEEZZNS1_16scan_by_key_implILNS1_25lookback_scan_determinismE0ELb0ES3_PKlN6hipcub16HIPCUB_304000_NS21ConstantInputIteratorIllEEPllNSB_3SumENSB_8EqualityElEE10hipError_tPvRmT2_T3_T4_T5_mT6_T7_P12ihipStream_tbENKUlT_T0_E_clISt17integral_constantIbLb1EESW_IbLb0EEEEDaSS_ST_EUlSS_E_NS1_11comp_targetILNS1_3genE9ELNS1_11target_archE1100ELNS1_3gpuE3ELNS1_3repE0EEENS1_30default_config_static_selectorELNS0_4arch9wavefront6targetE0EEEvT1_.private_seg_size, 0
	.set _ZN7rocprim17ROCPRIM_400000_NS6detail17trampoline_kernelINS0_14default_configENS1_27scan_by_key_config_selectorIllEEZZNS1_16scan_by_key_implILNS1_25lookback_scan_determinismE0ELb0ES3_PKlN6hipcub16HIPCUB_304000_NS21ConstantInputIteratorIllEEPllNSB_3SumENSB_8EqualityElEE10hipError_tPvRmT2_T3_T4_T5_mT6_T7_P12ihipStream_tbENKUlT_T0_E_clISt17integral_constantIbLb1EESW_IbLb0EEEEDaSS_ST_EUlSS_E_NS1_11comp_targetILNS1_3genE9ELNS1_11target_archE1100ELNS1_3gpuE3ELNS1_3repE0EEENS1_30default_config_static_selectorELNS0_4arch9wavefront6targetE0EEEvT1_.uses_vcc, 0
	.set _ZN7rocprim17ROCPRIM_400000_NS6detail17trampoline_kernelINS0_14default_configENS1_27scan_by_key_config_selectorIllEEZZNS1_16scan_by_key_implILNS1_25lookback_scan_determinismE0ELb0ES3_PKlN6hipcub16HIPCUB_304000_NS21ConstantInputIteratorIllEEPllNSB_3SumENSB_8EqualityElEE10hipError_tPvRmT2_T3_T4_T5_mT6_T7_P12ihipStream_tbENKUlT_T0_E_clISt17integral_constantIbLb1EESW_IbLb0EEEEDaSS_ST_EUlSS_E_NS1_11comp_targetILNS1_3genE9ELNS1_11target_archE1100ELNS1_3gpuE3ELNS1_3repE0EEENS1_30default_config_static_selectorELNS0_4arch9wavefront6targetE0EEEvT1_.uses_flat_scratch, 0
	.set _ZN7rocprim17ROCPRIM_400000_NS6detail17trampoline_kernelINS0_14default_configENS1_27scan_by_key_config_selectorIllEEZZNS1_16scan_by_key_implILNS1_25lookback_scan_determinismE0ELb0ES3_PKlN6hipcub16HIPCUB_304000_NS21ConstantInputIteratorIllEEPllNSB_3SumENSB_8EqualityElEE10hipError_tPvRmT2_T3_T4_T5_mT6_T7_P12ihipStream_tbENKUlT_T0_E_clISt17integral_constantIbLb1EESW_IbLb0EEEEDaSS_ST_EUlSS_E_NS1_11comp_targetILNS1_3genE9ELNS1_11target_archE1100ELNS1_3gpuE3ELNS1_3repE0EEENS1_30default_config_static_selectorELNS0_4arch9wavefront6targetE0EEEvT1_.has_dyn_sized_stack, 0
	.set _ZN7rocprim17ROCPRIM_400000_NS6detail17trampoline_kernelINS0_14default_configENS1_27scan_by_key_config_selectorIllEEZZNS1_16scan_by_key_implILNS1_25lookback_scan_determinismE0ELb0ES3_PKlN6hipcub16HIPCUB_304000_NS21ConstantInputIteratorIllEEPllNSB_3SumENSB_8EqualityElEE10hipError_tPvRmT2_T3_T4_T5_mT6_T7_P12ihipStream_tbENKUlT_T0_E_clISt17integral_constantIbLb1EESW_IbLb0EEEEDaSS_ST_EUlSS_E_NS1_11comp_targetILNS1_3genE9ELNS1_11target_archE1100ELNS1_3gpuE3ELNS1_3repE0EEENS1_30default_config_static_selectorELNS0_4arch9wavefront6targetE0EEEvT1_.has_recursion, 0
	.set _ZN7rocprim17ROCPRIM_400000_NS6detail17trampoline_kernelINS0_14default_configENS1_27scan_by_key_config_selectorIllEEZZNS1_16scan_by_key_implILNS1_25lookback_scan_determinismE0ELb0ES3_PKlN6hipcub16HIPCUB_304000_NS21ConstantInputIteratorIllEEPllNSB_3SumENSB_8EqualityElEE10hipError_tPvRmT2_T3_T4_T5_mT6_T7_P12ihipStream_tbENKUlT_T0_E_clISt17integral_constantIbLb1EESW_IbLb0EEEEDaSS_ST_EUlSS_E_NS1_11comp_targetILNS1_3genE9ELNS1_11target_archE1100ELNS1_3gpuE3ELNS1_3repE0EEENS1_30default_config_static_selectorELNS0_4arch9wavefront6targetE0EEEvT1_.has_indirect_call, 0
	.section	.AMDGPU.csdata,"",@progbits
; Kernel info:
; codeLenInByte = 0
; TotalNumSgprs: 0
; NumVgprs: 0
; ScratchSize: 0
; MemoryBound: 0
; FloatMode: 240
; IeeeMode: 1
; LDSByteSize: 0 bytes/workgroup (compile time only)
; SGPRBlocks: 0
; VGPRBlocks: 0
; NumSGPRsForWavesPerEU: 1
; NumVGPRsForWavesPerEU: 1
; NamedBarCnt: 0
; Occupancy: 16
; WaveLimiterHint : 0
; COMPUTE_PGM_RSRC2:SCRATCH_EN: 0
; COMPUTE_PGM_RSRC2:USER_SGPR: 2
; COMPUTE_PGM_RSRC2:TRAP_HANDLER: 0
; COMPUTE_PGM_RSRC2:TGID_X_EN: 1
; COMPUTE_PGM_RSRC2:TGID_Y_EN: 0
; COMPUTE_PGM_RSRC2:TGID_Z_EN: 0
; COMPUTE_PGM_RSRC2:TIDIG_COMP_CNT: 0
	.section	.text._ZN7rocprim17ROCPRIM_400000_NS6detail17trampoline_kernelINS0_14default_configENS1_27scan_by_key_config_selectorIllEEZZNS1_16scan_by_key_implILNS1_25lookback_scan_determinismE0ELb0ES3_PKlN6hipcub16HIPCUB_304000_NS21ConstantInputIteratorIllEEPllNSB_3SumENSB_8EqualityElEE10hipError_tPvRmT2_T3_T4_T5_mT6_T7_P12ihipStream_tbENKUlT_T0_E_clISt17integral_constantIbLb1EESW_IbLb0EEEEDaSS_ST_EUlSS_E_NS1_11comp_targetILNS1_3genE8ELNS1_11target_archE1030ELNS1_3gpuE2ELNS1_3repE0EEENS1_30default_config_static_selectorELNS0_4arch9wavefront6targetE0EEEvT1_,"axG",@progbits,_ZN7rocprim17ROCPRIM_400000_NS6detail17trampoline_kernelINS0_14default_configENS1_27scan_by_key_config_selectorIllEEZZNS1_16scan_by_key_implILNS1_25lookback_scan_determinismE0ELb0ES3_PKlN6hipcub16HIPCUB_304000_NS21ConstantInputIteratorIllEEPllNSB_3SumENSB_8EqualityElEE10hipError_tPvRmT2_T3_T4_T5_mT6_T7_P12ihipStream_tbENKUlT_T0_E_clISt17integral_constantIbLb1EESW_IbLb0EEEEDaSS_ST_EUlSS_E_NS1_11comp_targetILNS1_3genE8ELNS1_11target_archE1030ELNS1_3gpuE2ELNS1_3repE0EEENS1_30default_config_static_selectorELNS0_4arch9wavefront6targetE0EEEvT1_,comdat
	.protected	_ZN7rocprim17ROCPRIM_400000_NS6detail17trampoline_kernelINS0_14default_configENS1_27scan_by_key_config_selectorIllEEZZNS1_16scan_by_key_implILNS1_25lookback_scan_determinismE0ELb0ES3_PKlN6hipcub16HIPCUB_304000_NS21ConstantInputIteratorIllEEPllNSB_3SumENSB_8EqualityElEE10hipError_tPvRmT2_T3_T4_T5_mT6_T7_P12ihipStream_tbENKUlT_T0_E_clISt17integral_constantIbLb1EESW_IbLb0EEEEDaSS_ST_EUlSS_E_NS1_11comp_targetILNS1_3genE8ELNS1_11target_archE1030ELNS1_3gpuE2ELNS1_3repE0EEENS1_30default_config_static_selectorELNS0_4arch9wavefront6targetE0EEEvT1_ ; -- Begin function _ZN7rocprim17ROCPRIM_400000_NS6detail17trampoline_kernelINS0_14default_configENS1_27scan_by_key_config_selectorIllEEZZNS1_16scan_by_key_implILNS1_25lookback_scan_determinismE0ELb0ES3_PKlN6hipcub16HIPCUB_304000_NS21ConstantInputIteratorIllEEPllNSB_3SumENSB_8EqualityElEE10hipError_tPvRmT2_T3_T4_T5_mT6_T7_P12ihipStream_tbENKUlT_T0_E_clISt17integral_constantIbLb1EESW_IbLb0EEEEDaSS_ST_EUlSS_E_NS1_11comp_targetILNS1_3genE8ELNS1_11target_archE1030ELNS1_3gpuE2ELNS1_3repE0EEENS1_30default_config_static_selectorELNS0_4arch9wavefront6targetE0EEEvT1_
	.globl	_ZN7rocprim17ROCPRIM_400000_NS6detail17trampoline_kernelINS0_14default_configENS1_27scan_by_key_config_selectorIllEEZZNS1_16scan_by_key_implILNS1_25lookback_scan_determinismE0ELb0ES3_PKlN6hipcub16HIPCUB_304000_NS21ConstantInputIteratorIllEEPllNSB_3SumENSB_8EqualityElEE10hipError_tPvRmT2_T3_T4_T5_mT6_T7_P12ihipStream_tbENKUlT_T0_E_clISt17integral_constantIbLb1EESW_IbLb0EEEEDaSS_ST_EUlSS_E_NS1_11comp_targetILNS1_3genE8ELNS1_11target_archE1030ELNS1_3gpuE2ELNS1_3repE0EEENS1_30default_config_static_selectorELNS0_4arch9wavefront6targetE0EEEvT1_
	.p2align	8
	.type	_ZN7rocprim17ROCPRIM_400000_NS6detail17trampoline_kernelINS0_14default_configENS1_27scan_by_key_config_selectorIllEEZZNS1_16scan_by_key_implILNS1_25lookback_scan_determinismE0ELb0ES3_PKlN6hipcub16HIPCUB_304000_NS21ConstantInputIteratorIllEEPllNSB_3SumENSB_8EqualityElEE10hipError_tPvRmT2_T3_T4_T5_mT6_T7_P12ihipStream_tbENKUlT_T0_E_clISt17integral_constantIbLb1EESW_IbLb0EEEEDaSS_ST_EUlSS_E_NS1_11comp_targetILNS1_3genE8ELNS1_11target_archE1030ELNS1_3gpuE2ELNS1_3repE0EEENS1_30default_config_static_selectorELNS0_4arch9wavefront6targetE0EEEvT1_,@function
_ZN7rocprim17ROCPRIM_400000_NS6detail17trampoline_kernelINS0_14default_configENS1_27scan_by_key_config_selectorIllEEZZNS1_16scan_by_key_implILNS1_25lookback_scan_determinismE0ELb0ES3_PKlN6hipcub16HIPCUB_304000_NS21ConstantInputIteratorIllEEPllNSB_3SumENSB_8EqualityElEE10hipError_tPvRmT2_T3_T4_T5_mT6_T7_P12ihipStream_tbENKUlT_T0_E_clISt17integral_constantIbLb1EESW_IbLb0EEEEDaSS_ST_EUlSS_E_NS1_11comp_targetILNS1_3genE8ELNS1_11target_archE1030ELNS1_3gpuE2ELNS1_3repE0EEENS1_30default_config_static_selectorELNS0_4arch9wavefront6targetE0EEEvT1_: ; @_ZN7rocprim17ROCPRIM_400000_NS6detail17trampoline_kernelINS0_14default_configENS1_27scan_by_key_config_selectorIllEEZZNS1_16scan_by_key_implILNS1_25lookback_scan_determinismE0ELb0ES3_PKlN6hipcub16HIPCUB_304000_NS21ConstantInputIteratorIllEEPllNSB_3SumENSB_8EqualityElEE10hipError_tPvRmT2_T3_T4_T5_mT6_T7_P12ihipStream_tbENKUlT_T0_E_clISt17integral_constantIbLb1EESW_IbLb0EEEEDaSS_ST_EUlSS_E_NS1_11comp_targetILNS1_3genE8ELNS1_11target_archE1030ELNS1_3gpuE2ELNS1_3repE0EEENS1_30default_config_static_selectorELNS0_4arch9wavefront6targetE0EEEvT1_
; %bb.0:
	.section	.rodata,"a",@progbits
	.p2align	6, 0x0
	.amdhsa_kernel _ZN7rocprim17ROCPRIM_400000_NS6detail17trampoline_kernelINS0_14default_configENS1_27scan_by_key_config_selectorIllEEZZNS1_16scan_by_key_implILNS1_25lookback_scan_determinismE0ELb0ES3_PKlN6hipcub16HIPCUB_304000_NS21ConstantInputIteratorIllEEPllNSB_3SumENSB_8EqualityElEE10hipError_tPvRmT2_T3_T4_T5_mT6_T7_P12ihipStream_tbENKUlT_T0_E_clISt17integral_constantIbLb1EESW_IbLb0EEEEDaSS_ST_EUlSS_E_NS1_11comp_targetILNS1_3genE8ELNS1_11target_archE1030ELNS1_3gpuE2ELNS1_3repE0EEENS1_30default_config_static_selectorELNS0_4arch9wavefront6targetE0EEEvT1_
		.amdhsa_group_segment_fixed_size 0
		.amdhsa_private_segment_fixed_size 0
		.amdhsa_kernarg_size 144
		.amdhsa_user_sgpr_count 2
		.amdhsa_user_sgpr_dispatch_ptr 0
		.amdhsa_user_sgpr_queue_ptr 0
		.amdhsa_user_sgpr_kernarg_segment_ptr 1
		.amdhsa_user_sgpr_dispatch_id 0
		.amdhsa_user_sgpr_kernarg_preload_length 0
		.amdhsa_user_sgpr_kernarg_preload_offset 0
		.amdhsa_user_sgpr_private_segment_size 0
		.amdhsa_wavefront_size32 1
		.amdhsa_uses_dynamic_stack 0
		.amdhsa_enable_private_segment 0
		.amdhsa_system_sgpr_workgroup_id_x 1
		.amdhsa_system_sgpr_workgroup_id_y 0
		.amdhsa_system_sgpr_workgroup_id_z 0
		.amdhsa_system_sgpr_workgroup_info 0
		.amdhsa_system_vgpr_workitem_id 0
		.amdhsa_next_free_vgpr 1
		.amdhsa_next_free_sgpr 1
		.amdhsa_named_barrier_count 0
		.amdhsa_reserve_vcc 0
		.amdhsa_float_round_mode_32 0
		.amdhsa_float_round_mode_16_64 0
		.amdhsa_float_denorm_mode_32 3
		.amdhsa_float_denorm_mode_16_64 3
		.amdhsa_fp16_overflow 0
		.amdhsa_memory_ordered 1
		.amdhsa_forward_progress 1
		.amdhsa_inst_pref_size 0
		.amdhsa_round_robin_scheduling 0
		.amdhsa_exception_fp_ieee_invalid_op 0
		.amdhsa_exception_fp_denorm_src 0
		.amdhsa_exception_fp_ieee_div_zero 0
		.amdhsa_exception_fp_ieee_overflow 0
		.amdhsa_exception_fp_ieee_underflow 0
		.amdhsa_exception_fp_ieee_inexact 0
		.amdhsa_exception_int_div_zero 0
	.end_amdhsa_kernel
	.section	.text._ZN7rocprim17ROCPRIM_400000_NS6detail17trampoline_kernelINS0_14default_configENS1_27scan_by_key_config_selectorIllEEZZNS1_16scan_by_key_implILNS1_25lookback_scan_determinismE0ELb0ES3_PKlN6hipcub16HIPCUB_304000_NS21ConstantInputIteratorIllEEPllNSB_3SumENSB_8EqualityElEE10hipError_tPvRmT2_T3_T4_T5_mT6_T7_P12ihipStream_tbENKUlT_T0_E_clISt17integral_constantIbLb1EESW_IbLb0EEEEDaSS_ST_EUlSS_E_NS1_11comp_targetILNS1_3genE8ELNS1_11target_archE1030ELNS1_3gpuE2ELNS1_3repE0EEENS1_30default_config_static_selectorELNS0_4arch9wavefront6targetE0EEEvT1_,"axG",@progbits,_ZN7rocprim17ROCPRIM_400000_NS6detail17trampoline_kernelINS0_14default_configENS1_27scan_by_key_config_selectorIllEEZZNS1_16scan_by_key_implILNS1_25lookback_scan_determinismE0ELb0ES3_PKlN6hipcub16HIPCUB_304000_NS21ConstantInputIteratorIllEEPllNSB_3SumENSB_8EqualityElEE10hipError_tPvRmT2_T3_T4_T5_mT6_T7_P12ihipStream_tbENKUlT_T0_E_clISt17integral_constantIbLb1EESW_IbLb0EEEEDaSS_ST_EUlSS_E_NS1_11comp_targetILNS1_3genE8ELNS1_11target_archE1030ELNS1_3gpuE2ELNS1_3repE0EEENS1_30default_config_static_selectorELNS0_4arch9wavefront6targetE0EEEvT1_,comdat
.Lfunc_end124:
	.size	_ZN7rocprim17ROCPRIM_400000_NS6detail17trampoline_kernelINS0_14default_configENS1_27scan_by_key_config_selectorIllEEZZNS1_16scan_by_key_implILNS1_25lookback_scan_determinismE0ELb0ES3_PKlN6hipcub16HIPCUB_304000_NS21ConstantInputIteratorIllEEPllNSB_3SumENSB_8EqualityElEE10hipError_tPvRmT2_T3_T4_T5_mT6_T7_P12ihipStream_tbENKUlT_T0_E_clISt17integral_constantIbLb1EESW_IbLb0EEEEDaSS_ST_EUlSS_E_NS1_11comp_targetILNS1_3genE8ELNS1_11target_archE1030ELNS1_3gpuE2ELNS1_3repE0EEENS1_30default_config_static_selectorELNS0_4arch9wavefront6targetE0EEEvT1_, .Lfunc_end124-_ZN7rocprim17ROCPRIM_400000_NS6detail17trampoline_kernelINS0_14default_configENS1_27scan_by_key_config_selectorIllEEZZNS1_16scan_by_key_implILNS1_25lookback_scan_determinismE0ELb0ES3_PKlN6hipcub16HIPCUB_304000_NS21ConstantInputIteratorIllEEPllNSB_3SumENSB_8EqualityElEE10hipError_tPvRmT2_T3_T4_T5_mT6_T7_P12ihipStream_tbENKUlT_T0_E_clISt17integral_constantIbLb1EESW_IbLb0EEEEDaSS_ST_EUlSS_E_NS1_11comp_targetILNS1_3genE8ELNS1_11target_archE1030ELNS1_3gpuE2ELNS1_3repE0EEENS1_30default_config_static_selectorELNS0_4arch9wavefront6targetE0EEEvT1_
                                        ; -- End function
	.set _ZN7rocprim17ROCPRIM_400000_NS6detail17trampoline_kernelINS0_14default_configENS1_27scan_by_key_config_selectorIllEEZZNS1_16scan_by_key_implILNS1_25lookback_scan_determinismE0ELb0ES3_PKlN6hipcub16HIPCUB_304000_NS21ConstantInputIteratorIllEEPllNSB_3SumENSB_8EqualityElEE10hipError_tPvRmT2_T3_T4_T5_mT6_T7_P12ihipStream_tbENKUlT_T0_E_clISt17integral_constantIbLb1EESW_IbLb0EEEEDaSS_ST_EUlSS_E_NS1_11comp_targetILNS1_3genE8ELNS1_11target_archE1030ELNS1_3gpuE2ELNS1_3repE0EEENS1_30default_config_static_selectorELNS0_4arch9wavefront6targetE0EEEvT1_.num_vgpr, 0
	.set _ZN7rocprim17ROCPRIM_400000_NS6detail17trampoline_kernelINS0_14default_configENS1_27scan_by_key_config_selectorIllEEZZNS1_16scan_by_key_implILNS1_25lookback_scan_determinismE0ELb0ES3_PKlN6hipcub16HIPCUB_304000_NS21ConstantInputIteratorIllEEPllNSB_3SumENSB_8EqualityElEE10hipError_tPvRmT2_T3_T4_T5_mT6_T7_P12ihipStream_tbENKUlT_T0_E_clISt17integral_constantIbLb1EESW_IbLb0EEEEDaSS_ST_EUlSS_E_NS1_11comp_targetILNS1_3genE8ELNS1_11target_archE1030ELNS1_3gpuE2ELNS1_3repE0EEENS1_30default_config_static_selectorELNS0_4arch9wavefront6targetE0EEEvT1_.num_agpr, 0
	.set _ZN7rocprim17ROCPRIM_400000_NS6detail17trampoline_kernelINS0_14default_configENS1_27scan_by_key_config_selectorIllEEZZNS1_16scan_by_key_implILNS1_25lookback_scan_determinismE0ELb0ES3_PKlN6hipcub16HIPCUB_304000_NS21ConstantInputIteratorIllEEPllNSB_3SumENSB_8EqualityElEE10hipError_tPvRmT2_T3_T4_T5_mT6_T7_P12ihipStream_tbENKUlT_T0_E_clISt17integral_constantIbLb1EESW_IbLb0EEEEDaSS_ST_EUlSS_E_NS1_11comp_targetILNS1_3genE8ELNS1_11target_archE1030ELNS1_3gpuE2ELNS1_3repE0EEENS1_30default_config_static_selectorELNS0_4arch9wavefront6targetE0EEEvT1_.numbered_sgpr, 0
	.set _ZN7rocprim17ROCPRIM_400000_NS6detail17trampoline_kernelINS0_14default_configENS1_27scan_by_key_config_selectorIllEEZZNS1_16scan_by_key_implILNS1_25lookback_scan_determinismE0ELb0ES3_PKlN6hipcub16HIPCUB_304000_NS21ConstantInputIteratorIllEEPllNSB_3SumENSB_8EqualityElEE10hipError_tPvRmT2_T3_T4_T5_mT6_T7_P12ihipStream_tbENKUlT_T0_E_clISt17integral_constantIbLb1EESW_IbLb0EEEEDaSS_ST_EUlSS_E_NS1_11comp_targetILNS1_3genE8ELNS1_11target_archE1030ELNS1_3gpuE2ELNS1_3repE0EEENS1_30default_config_static_selectorELNS0_4arch9wavefront6targetE0EEEvT1_.num_named_barrier, 0
	.set _ZN7rocprim17ROCPRIM_400000_NS6detail17trampoline_kernelINS0_14default_configENS1_27scan_by_key_config_selectorIllEEZZNS1_16scan_by_key_implILNS1_25lookback_scan_determinismE0ELb0ES3_PKlN6hipcub16HIPCUB_304000_NS21ConstantInputIteratorIllEEPllNSB_3SumENSB_8EqualityElEE10hipError_tPvRmT2_T3_T4_T5_mT6_T7_P12ihipStream_tbENKUlT_T0_E_clISt17integral_constantIbLb1EESW_IbLb0EEEEDaSS_ST_EUlSS_E_NS1_11comp_targetILNS1_3genE8ELNS1_11target_archE1030ELNS1_3gpuE2ELNS1_3repE0EEENS1_30default_config_static_selectorELNS0_4arch9wavefront6targetE0EEEvT1_.private_seg_size, 0
	.set _ZN7rocprim17ROCPRIM_400000_NS6detail17trampoline_kernelINS0_14default_configENS1_27scan_by_key_config_selectorIllEEZZNS1_16scan_by_key_implILNS1_25lookback_scan_determinismE0ELb0ES3_PKlN6hipcub16HIPCUB_304000_NS21ConstantInputIteratorIllEEPllNSB_3SumENSB_8EqualityElEE10hipError_tPvRmT2_T3_T4_T5_mT6_T7_P12ihipStream_tbENKUlT_T0_E_clISt17integral_constantIbLb1EESW_IbLb0EEEEDaSS_ST_EUlSS_E_NS1_11comp_targetILNS1_3genE8ELNS1_11target_archE1030ELNS1_3gpuE2ELNS1_3repE0EEENS1_30default_config_static_selectorELNS0_4arch9wavefront6targetE0EEEvT1_.uses_vcc, 0
	.set _ZN7rocprim17ROCPRIM_400000_NS6detail17trampoline_kernelINS0_14default_configENS1_27scan_by_key_config_selectorIllEEZZNS1_16scan_by_key_implILNS1_25lookback_scan_determinismE0ELb0ES3_PKlN6hipcub16HIPCUB_304000_NS21ConstantInputIteratorIllEEPllNSB_3SumENSB_8EqualityElEE10hipError_tPvRmT2_T3_T4_T5_mT6_T7_P12ihipStream_tbENKUlT_T0_E_clISt17integral_constantIbLb1EESW_IbLb0EEEEDaSS_ST_EUlSS_E_NS1_11comp_targetILNS1_3genE8ELNS1_11target_archE1030ELNS1_3gpuE2ELNS1_3repE0EEENS1_30default_config_static_selectorELNS0_4arch9wavefront6targetE0EEEvT1_.uses_flat_scratch, 0
	.set _ZN7rocprim17ROCPRIM_400000_NS6detail17trampoline_kernelINS0_14default_configENS1_27scan_by_key_config_selectorIllEEZZNS1_16scan_by_key_implILNS1_25lookback_scan_determinismE0ELb0ES3_PKlN6hipcub16HIPCUB_304000_NS21ConstantInputIteratorIllEEPllNSB_3SumENSB_8EqualityElEE10hipError_tPvRmT2_T3_T4_T5_mT6_T7_P12ihipStream_tbENKUlT_T0_E_clISt17integral_constantIbLb1EESW_IbLb0EEEEDaSS_ST_EUlSS_E_NS1_11comp_targetILNS1_3genE8ELNS1_11target_archE1030ELNS1_3gpuE2ELNS1_3repE0EEENS1_30default_config_static_selectorELNS0_4arch9wavefront6targetE0EEEvT1_.has_dyn_sized_stack, 0
	.set _ZN7rocprim17ROCPRIM_400000_NS6detail17trampoline_kernelINS0_14default_configENS1_27scan_by_key_config_selectorIllEEZZNS1_16scan_by_key_implILNS1_25lookback_scan_determinismE0ELb0ES3_PKlN6hipcub16HIPCUB_304000_NS21ConstantInputIteratorIllEEPllNSB_3SumENSB_8EqualityElEE10hipError_tPvRmT2_T3_T4_T5_mT6_T7_P12ihipStream_tbENKUlT_T0_E_clISt17integral_constantIbLb1EESW_IbLb0EEEEDaSS_ST_EUlSS_E_NS1_11comp_targetILNS1_3genE8ELNS1_11target_archE1030ELNS1_3gpuE2ELNS1_3repE0EEENS1_30default_config_static_selectorELNS0_4arch9wavefront6targetE0EEEvT1_.has_recursion, 0
	.set _ZN7rocprim17ROCPRIM_400000_NS6detail17trampoline_kernelINS0_14default_configENS1_27scan_by_key_config_selectorIllEEZZNS1_16scan_by_key_implILNS1_25lookback_scan_determinismE0ELb0ES3_PKlN6hipcub16HIPCUB_304000_NS21ConstantInputIteratorIllEEPllNSB_3SumENSB_8EqualityElEE10hipError_tPvRmT2_T3_T4_T5_mT6_T7_P12ihipStream_tbENKUlT_T0_E_clISt17integral_constantIbLb1EESW_IbLb0EEEEDaSS_ST_EUlSS_E_NS1_11comp_targetILNS1_3genE8ELNS1_11target_archE1030ELNS1_3gpuE2ELNS1_3repE0EEENS1_30default_config_static_selectorELNS0_4arch9wavefront6targetE0EEEvT1_.has_indirect_call, 0
	.section	.AMDGPU.csdata,"",@progbits
; Kernel info:
; codeLenInByte = 0
; TotalNumSgprs: 0
; NumVgprs: 0
; ScratchSize: 0
; MemoryBound: 0
; FloatMode: 240
; IeeeMode: 1
; LDSByteSize: 0 bytes/workgroup (compile time only)
; SGPRBlocks: 0
; VGPRBlocks: 0
; NumSGPRsForWavesPerEU: 1
; NumVGPRsForWavesPerEU: 1
; NamedBarCnt: 0
; Occupancy: 16
; WaveLimiterHint : 0
; COMPUTE_PGM_RSRC2:SCRATCH_EN: 0
; COMPUTE_PGM_RSRC2:USER_SGPR: 2
; COMPUTE_PGM_RSRC2:TRAP_HANDLER: 0
; COMPUTE_PGM_RSRC2:TGID_X_EN: 1
; COMPUTE_PGM_RSRC2:TGID_Y_EN: 0
; COMPUTE_PGM_RSRC2:TGID_Z_EN: 0
; COMPUTE_PGM_RSRC2:TIDIG_COMP_CNT: 0
	.section	.text._ZN7rocprim17ROCPRIM_400000_NS6detail30init_device_scan_by_key_kernelINS1_19lookback_scan_stateINS0_5tupleIJlbEEELb0ELb0EEEPKljNS1_16block_id_wrapperIjLb1EEEEEvT_jjPNSB_10value_typeET0_PNSt15iterator_traitsISE_E10value_typeEmT1_T2_,"axG",@progbits,_ZN7rocprim17ROCPRIM_400000_NS6detail30init_device_scan_by_key_kernelINS1_19lookback_scan_stateINS0_5tupleIJlbEEELb0ELb0EEEPKljNS1_16block_id_wrapperIjLb1EEEEEvT_jjPNSB_10value_typeET0_PNSt15iterator_traitsISE_E10value_typeEmT1_T2_,comdat
	.protected	_ZN7rocprim17ROCPRIM_400000_NS6detail30init_device_scan_by_key_kernelINS1_19lookback_scan_stateINS0_5tupleIJlbEEELb0ELb0EEEPKljNS1_16block_id_wrapperIjLb1EEEEEvT_jjPNSB_10value_typeET0_PNSt15iterator_traitsISE_E10value_typeEmT1_T2_ ; -- Begin function _ZN7rocprim17ROCPRIM_400000_NS6detail30init_device_scan_by_key_kernelINS1_19lookback_scan_stateINS0_5tupleIJlbEEELb0ELb0EEEPKljNS1_16block_id_wrapperIjLb1EEEEEvT_jjPNSB_10value_typeET0_PNSt15iterator_traitsISE_E10value_typeEmT1_T2_
	.globl	_ZN7rocprim17ROCPRIM_400000_NS6detail30init_device_scan_by_key_kernelINS1_19lookback_scan_stateINS0_5tupleIJlbEEELb0ELb0EEEPKljNS1_16block_id_wrapperIjLb1EEEEEvT_jjPNSB_10value_typeET0_PNSt15iterator_traitsISE_E10value_typeEmT1_T2_
	.p2align	8
	.type	_ZN7rocprim17ROCPRIM_400000_NS6detail30init_device_scan_by_key_kernelINS1_19lookback_scan_stateINS0_5tupleIJlbEEELb0ELb0EEEPKljNS1_16block_id_wrapperIjLb1EEEEEvT_jjPNSB_10value_typeET0_PNSt15iterator_traitsISE_E10value_typeEmT1_T2_,@function
_ZN7rocprim17ROCPRIM_400000_NS6detail30init_device_scan_by_key_kernelINS1_19lookback_scan_stateINS0_5tupleIJlbEEELb0ELb0EEEPKljNS1_16block_id_wrapperIjLb1EEEEEvT_jjPNSB_10value_typeET0_PNSt15iterator_traitsISE_E10value_typeEmT1_T2_: ; @_ZN7rocprim17ROCPRIM_400000_NS6detail30init_device_scan_by_key_kernelINS1_19lookback_scan_stateINS0_5tupleIJlbEEELb0ELb0EEEPKljNS1_16block_id_wrapperIjLb1EEEEEvT_jjPNSB_10value_typeET0_PNSt15iterator_traitsISE_E10value_typeEmT1_T2_
; %bb.0:
	s_clause 0x2
	s_load_b32 s2, s[0:1], 0x5c
	s_load_b32 s18, s[0:1], 0x50
	s_load_b256 s[4:11], s[0:1], 0x10
	s_bfe_u32 s3, ttmp6, 0x4000c
	s_and_b32 s12, ttmp6, 15
	s_add_co_i32 s3, s3, 1
	s_getreg_b32 s13, hwreg(HW_REG_IB_STS2, 6, 4)
	s_mul_i32 s3, ttmp9, s3
	s_delay_alu instid0(SALU_CYCLE_1)
	s_add_co_i32 s12, s12, s3
	s_wait_kmcnt 0x0
	s_and_b32 s19, s2, 0xffff
	s_cmp_eq_u32 s13, 0
	s_cselect_b32 s2, ttmp9, s12
	s_cmp_eq_u64 s[8:9], 0
	v_mad_u32 v0, s2, s19, v0
	s_cbranch_scc1 .LBB125_7
; %bb.1:
	s_cmp_lt_u32 s7, s6
	s_mov_b32 s20, exec_lo
	s_cselect_b32 s2, s7, 0
	s_delay_alu instid0(VALU_DEP_1) | instid1(SALU_CYCLE_1)
	v_cmpx_eq_u32_e64 s2, v0
	s_cbranch_execz .LBB125_6
; %bb.2:
	s_add_co_i32 s2, s7, 32
	s_load_b128 s[12:15], s[0:1], 0x0
	v_mov_b32_e32 v1, s2
	s_mov_b32 s3, 0
	global_load_u8 v1, v1, s[4:5] scope:SCOPE_DEV
	s_wait_loadcnt 0x0
	v_and_b32_e32 v2, 0xffff, v1
	v_readfirstlane_b32 s7, v1
	s_delay_alu instid0(VALU_DEP_2)
	v_cmp_ne_u32_e32 vcc_lo, 0, v2
	s_cbranch_vccnz .LBB125_5
; %bb.3:
	v_mov_b32_e32 v1, 0
	s_add_nc_u64 s[16:17], s[4:5], s[2:3]
.LBB125_4:                              ; =>This Inner Loop Header: Depth=1
	global_load_u8 v2, v1, s[16:17] scope:SCOPE_DEV
	s_wait_loadcnt 0x0
	v_and_b32_e32 v3, 0xffff, v2
	v_readfirstlane_b32 s7, v2
	s_delay_alu instid0(VALU_DEP_2)
	v_cmp_eq_u32_e32 vcc_lo, 0, v3
	s_cbranch_vccnz .LBB125_4
.LBB125_5:
	s_and_b32 s7, 0xffff, s7
	v_mov_b32_e32 v1, 0
	s_cmp_eq_u32 s7, 1
	global_wb scope:SCOPE_DEV
	s_wait_storecnt 0x0
	global_inv scope:SCOPE_DEV
	s_wait_kmcnt 0x0
	s_cselect_b32 s13, s13, s15
	s_cselect_b32 s12, s12, s14
	s_lshl_b64 s[2:3], s[2:3], 4
	s_delay_alu instid0(SALU_CYCLE_1)
	s_add_nc_u64 s[2:3], s[12:13], s[2:3]
	s_clause 0x1
	global_load_b64 v[2:3], v1, s[2:3]
	global_load_u8 v4, v1, s[2:3] offset:8
	s_wait_loadcnt 0x1
	global_store_b64 v1, v[2:3], s[8:9]
	s_wait_loadcnt 0x0
	global_store_b8 v1, v4, s[8:9] offset:8
.LBB125_6:
	s_wait_xcnt 0x0
	s_or_b32 exec_lo, exec_lo, s20
.LBB125_7:
	s_delay_alu instid0(SALU_CYCLE_1) | instskip(NEXT) | instid1(VALU_DEP_1)
	s_mov_b32 s2, exec_lo
	v_cmpx_eq_u32_e32 0, v0
	s_cbranch_execz .LBB125_9
; %bb.8:
	s_load_b64 s[8:9], s[0:1], 0x48
	v_mov_b32_e32 v1, 0
	s_wait_kmcnt 0x0
	global_store_b32 v1, v1, s[8:9]
.LBB125_9:
	s_wait_xcnt 0x0
	s_or_b32 exec_lo, exec_lo, s2
	s_delay_alu instid0(SALU_CYCLE_1)
	s_mov_b32 s2, exec_lo
	v_cmpx_gt_u32_e64 s6, v0
	s_cbranch_execz .LBB125_11
; %bb.10:
	v_dual_mov_b32 v2, 0 :: v_dual_add_nc_u32 v1, 32, v0
	global_store_b8 v1, v2, s[4:5]
.LBB125_11:
	s_wait_xcnt 0x0
	s_or_b32 exec_lo, exec_lo, s2
	v_mov_b32_e32 v1, 0
	s_mov_b32 s2, exec_lo
	v_cmpx_gt_u32_e32 32, v0
	s_cbranch_execz .LBB125_13
; %bb.12:
	s_delay_alu instid0(VALU_DEP_2)
	v_add_nc_u64_e32 v[2:3], s[4:5], v[0:1]
	v_mov_b32_e32 v4, 0xff
	global_store_b8 v[2:3], v4, off
.LBB125_13:
	s_wait_xcnt 0x0
	s_or_b32 exec_lo, exec_lo, s2
	s_load_b64 s[2:3], s[0:1], 0x38
	s_mov_b32 s4, exec_lo
	s_wait_kmcnt 0x0
	v_cmpx_gt_u64_e64 s[2:3], v[0:1]
	s_cbranch_execz .LBB125_16
; %bb.14:
	s_clause 0x1
	s_load_b32 s4, s[0:1], 0x40
	s_load_b64 s[6:7], s[0:1], 0x30
	s_mov_b32 s5, 0
	s_wait_xcnt 0x0
	s_mul_i32 s0, s18, s19
	s_mov_b32 s9, s5
	s_mov_b32 s1, s5
	s_wait_kmcnt 0x0
	v_mul_u64_e32 v[2:3], s[4:5], v[0:1]
	s_add_co_i32 s8, s4, -1
	v_lshl_add_u64 v[4:5], v[0:1], 3, s[6:7]
	s_lshl_b64 s[8:9], s[8:9], 3
	s_delay_alu instid0(SALU_CYCLE_1) | instskip(SKIP_1) | instid1(SALU_CYCLE_1)
	s_add_nc_u64 s[8:9], s[10:11], s[8:9]
	s_mul_u64 s[10:11], s[4:5], s[0:1]
	s_lshl_b64 s[6:7], s[10:11], 3
	s_delay_alu instid0(VALU_DEP_2)
	v_lshl_add_u64 v[2:3], v[2:3], 3, s[8:9]
	s_lshl_b64 s[8:9], s[0:1], 3
.LBB125_15:                             ; =>This Inner Loop Header: Depth=1
	global_load_b64 v[6:7], v[2:3], off
	v_add_nc_u64_e32 v[0:1], s[0:1], v[0:1]
	s_wait_xcnt 0x0
	v_add_nc_u64_e32 v[2:3], s[6:7], v[2:3]
	s_delay_alu instid0(VALU_DEP_2)
	v_cmp_le_u64_e32 vcc_lo, s[2:3], v[0:1]
	s_or_b32 s5, vcc_lo, s5
	s_wait_loadcnt 0x0
	global_store_b64 v[4:5], v[6:7], off
	s_wait_xcnt 0x0
	v_add_nc_u64_e32 v[4:5], s[8:9], v[4:5]
	s_and_not1_b32 exec_lo, exec_lo, s5
	s_cbranch_execnz .LBB125_15
.LBB125_16:
	s_endpgm
	.section	.rodata,"a",@progbits
	.p2align	6, 0x0
	.amdhsa_kernel _ZN7rocprim17ROCPRIM_400000_NS6detail30init_device_scan_by_key_kernelINS1_19lookback_scan_stateINS0_5tupleIJlbEEELb0ELb0EEEPKljNS1_16block_id_wrapperIjLb1EEEEEvT_jjPNSB_10value_typeET0_PNSt15iterator_traitsISE_E10value_typeEmT1_T2_
		.amdhsa_group_segment_fixed_size 0
		.amdhsa_private_segment_fixed_size 0
		.amdhsa_kernarg_size 336
		.amdhsa_user_sgpr_count 2
		.amdhsa_user_sgpr_dispatch_ptr 0
		.amdhsa_user_sgpr_queue_ptr 0
		.amdhsa_user_sgpr_kernarg_segment_ptr 1
		.amdhsa_user_sgpr_dispatch_id 0
		.amdhsa_user_sgpr_kernarg_preload_length 0
		.amdhsa_user_sgpr_kernarg_preload_offset 0
		.amdhsa_user_sgpr_private_segment_size 0
		.amdhsa_wavefront_size32 1
		.amdhsa_uses_dynamic_stack 0
		.amdhsa_enable_private_segment 0
		.amdhsa_system_sgpr_workgroup_id_x 1
		.amdhsa_system_sgpr_workgroup_id_y 0
		.amdhsa_system_sgpr_workgroup_id_z 0
		.amdhsa_system_sgpr_workgroup_info 0
		.amdhsa_system_vgpr_workitem_id 0
		.amdhsa_next_free_vgpr 8
		.amdhsa_next_free_sgpr 21
		.amdhsa_named_barrier_count 0
		.amdhsa_reserve_vcc 1
		.amdhsa_float_round_mode_32 0
		.amdhsa_float_round_mode_16_64 0
		.amdhsa_float_denorm_mode_32 3
		.amdhsa_float_denorm_mode_16_64 3
		.amdhsa_fp16_overflow 0
		.amdhsa_memory_ordered 1
		.amdhsa_forward_progress 1
		.amdhsa_inst_pref_size 6
		.amdhsa_round_robin_scheduling 0
		.amdhsa_exception_fp_ieee_invalid_op 0
		.amdhsa_exception_fp_denorm_src 0
		.amdhsa_exception_fp_ieee_div_zero 0
		.amdhsa_exception_fp_ieee_overflow 0
		.amdhsa_exception_fp_ieee_underflow 0
		.amdhsa_exception_fp_ieee_inexact 0
		.amdhsa_exception_int_div_zero 0
	.end_amdhsa_kernel
	.section	.text._ZN7rocprim17ROCPRIM_400000_NS6detail30init_device_scan_by_key_kernelINS1_19lookback_scan_stateINS0_5tupleIJlbEEELb0ELb0EEEPKljNS1_16block_id_wrapperIjLb1EEEEEvT_jjPNSB_10value_typeET0_PNSt15iterator_traitsISE_E10value_typeEmT1_T2_,"axG",@progbits,_ZN7rocprim17ROCPRIM_400000_NS6detail30init_device_scan_by_key_kernelINS1_19lookback_scan_stateINS0_5tupleIJlbEEELb0ELb0EEEPKljNS1_16block_id_wrapperIjLb1EEEEEvT_jjPNSB_10value_typeET0_PNSt15iterator_traitsISE_E10value_typeEmT1_T2_,comdat
.Lfunc_end125:
	.size	_ZN7rocprim17ROCPRIM_400000_NS6detail30init_device_scan_by_key_kernelINS1_19lookback_scan_stateINS0_5tupleIJlbEEELb0ELb0EEEPKljNS1_16block_id_wrapperIjLb1EEEEEvT_jjPNSB_10value_typeET0_PNSt15iterator_traitsISE_E10value_typeEmT1_T2_, .Lfunc_end125-_ZN7rocprim17ROCPRIM_400000_NS6detail30init_device_scan_by_key_kernelINS1_19lookback_scan_stateINS0_5tupleIJlbEEELb0ELb0EEEPKljNS1_16block_id_wrapperIjLb1EEEEEvT_jjPNSB_10value_typeET0_PNSt15iterator_traitsISE_E10value_typeEmT1_T2_
                                        ; -- End function
	.set _ZN7rocprim17ROCPRIM_400000_NS6detail30init_device_scan_by_key_kernelINS1_19lookback_scan_stateINS0_5tupleIJlbEEELb0ELb0EEEPKljNS1_16block_id_wrapperIjLb1EEEEEvT_jjPNSB_10value_typeET0_PNSt15iterator_traitsISE_E10value_typeEmT1_T2_.num_vgpr, 8
	.set _ZN7rocprim17ROCPRIM_400000_NS6detail30init_device_scan_by_key_kernelINS1_19lookback_scan_stateINS0_5tupleIJlbEEELb0ELb0EEEPKljNS1_16block_id_wrapperIjLb1EEEEEvT_jjPNSB_10value_typeET0_PNSt15iterator_traitsISE_E10value_typeEmT1_T2_.num_agpr, 0
	.set _ZN7rocprim17ROCPRIM_400000_NS6detail30init_device_scan_by_key_kernelINS1_19lookback_scan_stateINS0_5tupleIJlbEEELb0ELb0EEEPKljNS1_16block_id_wrapperIjLb1EEEEEvT_jjPNSB_10value_typeET0_PNSt15iterator_traitsISE_E10value_typeEmT1_T2_.numbered_sgpr, 21
	.set _ZN7rocprim17ROCPRIM_400000_NS6detail30init_device_scan_by_key_kernelINS1_19lookback_scan_stateINS0_5tupleIJlbEEELb0ELb0EEEPKljNS1_16block_id_wrapperIjLb1EEEEEvT_jjPNSB_10value_typeET0_PNSt15iterator_traitsISE_E10value_typeEmT1_T2_.num_named_barrier, 0
	.set _ZN7rocprim17ROCPRIM_400000_NS6detail30init_device_scan_by_key_kernelINS1_19lookback_scan_stateINS0_5tupleIJlbEEELb0ELb0EEEPKljNS1_16block_id_wrapperIjLb1EEEEEvT_jjPNSB_10value_typeET0_PNSt15iterator_traitsISE_E10value_typeEmT1_T2_.private_seg_size, 0
	.set _ZN7rocprim17ROCPRIM_400000_NS6detail30init_device_scan_by_key_kernelINS1_19lookback_scan_stateINS0_5tupleIJlbEEELb0ELb0EEEPKljNS1_16block_id_wrapperIjLb1EEEEEvT_jjPNSB_10value_typeET0_PNSt15iterator_traitsISE_E10value_typeEmT1_T2_.uses_vcc, 1
	.set _ZN7rocprim17ROCPRIM_400000_NS6detail30init_device_scan_by_key_kernelINS1_19lookback_scan_stateINS0_5tupleIJlbEEELb0ELb0EEEPKljNS1_16block_id_wrapperIjLb1EEEEEvT_jjPNSB_10value_typeET0_PNSt15iterator_traitsISE_E10value_typeEmT1_T2_.uses_flat_scratch, 0
	.set _ZN7rocprim17ROCPRIM_400000_NS6detail30init_device_scan_by_key_kernelINS1_19lookback_scan_stateINS0_5tupleIJlbEEELb0ELb0EEEPKljNS1_16block_id_wrapperIjLb1EEEEEvT_jjPNSB_10value_typeET0_PNSt15iterator_traitsISE_E10value_typeEmT1_T2_.has_dyn_sized_stack, 0
	.set _ZN7rocprim17ROCPRIM_400000_NS6detail30init_device_scan_by_key_kernelINS1_19lookback_scan_stateINS0_5tupleIJlbEEELb0ELb0EEEPKljNS1_16block_id_wrapperIjLb1EEEEEvT_jjPNSB_10value_typeET0_PNSt15iterator_traitsISE_E10value_typeEmT1_T2_.has_recursion, 0
	.set _ZN7rocprim17ROCPRIM_400000_NS6detail30init_device_scan_by_key_kernelINS1_19lookback_scan_stateINS0_5tupleIJlbEEELb0ELb0EEEPKljNS1_16block_id_wrapperIjLb1EEEEEvT_jjPNSB_10value_typeET0_PNSt15iterator_traitsISE_E10value_typeEmT1_T2_.has_indirect_call, 0
	.section	.AMDGPU.csdata,"",@progbits
; Kernel info:
; codeLenInByte = 716
; TotalNumSgprs: 23
; NumVgprs: 8
; ScratchSize: 0
; MemoryBound: 0
; FloatMode: 240
; IeeeMode: 1
; LDSByteSize: 0 bytes/workgroup (compile time only)
; SGPRBlocks: 0
; VGPRBlocks: 0
; NumSGPRsForWavesPerEU: 23
; NumVGPRsForWavesPerEU: 8
; NamedBarCnt: 0
; Occupancy: 16
; WaveLimiterHint : 0
; COMPUTE_PGM_RSRC2:SCRATCH_EN: 0
; COMPUTE_PGM_RSRC2:USER_SGPR: 2
; COMPUTE_PGM_RSRC2:TRAP_HANDLER: 0
; COMPUTE_PGM_RSRC2:TGID_X_EN: 1
; COMPUTE_PGM_RSRC2:TGID_Y_EN: 0
; COMPUTE_PGM_RSRC2:TGID_Z_EN: 0
; COMPUTE_PGM_RSRC2:TIDIG_COMP_CNT: 0
	.section	.text._ZN7rocprim17ROCPRIM_400000_NS6detail30init_device_scan_by_key_kernelINS1_19lookback_scan_stateINS0_5tupleIJlbEEELb0ELb0EEENS1_16block_id_wrapperIjLb1EEEEEvT_jjPNS9_10value_typeET0_,"axG",@progbits,_ZN7rocprim17ROCPRIM_400000_NS6detail30init_device_scan_by_key_kernelINS1_19lookback_scan_stateINS0_5tupleIJlbEEELb0ELb0EEENS1_16block_id_wrapperIjLb1EEEEEvT_jjPNS9_10value_typeET0_,comdat
	.protected	_ZN7rocprim17ROCPRIM_400000_NS6detail30init_device_scan_by_key_kernelINS1_19lookback_scan_stateINS0_5tupleIJlbEEELb0ELb0EEENS1_16block_id_wrapperIjLb1EEEEEvT_jjPNS9_10value_typeET0_ ; -- Begin function _ZN7rocprim17ROCPRIM_400000_NS6detail30init_device_scan_by_key_kernelINS1_19lookback_scan_stateINS0_5tupleIJlbEEELb0ELb0EEENS1_16block_id_wrapperIjLb1EEEEEvT_jjPNS9_10value_typeET0_
	.globl	_ZN7rocprim17ROCPRIM_400000_NS6detail30init_device_scan_by_key_kernelINS1_19lookback_scan_stateINS0_5tupleIJlbEEELb0ELb0EEENS1_16block_id_wrapperIjLb1EEEEEvT_jjPNS9_10value_typeET0_
	.p2align	8
	.type	_ZN7rocprim17ROCPRIM_400000_NS6detail30init_device_scan_by_key_kernelINS1_19lookback_scan_stateINS0_5tupleIJlbEEELb0ELb0EEENS1_16block_id_wrapperIjLb1EEEEEvT_jjPNS9_10value_typeET0_,@function
_ZN7rocprim17ROCPRIM_400000_NS6detail30init_device_scan_by_key_kernelINS1_19lookback_scan_stateINS0_5tupleIJlbEEELb0ELb0EEENS1_16block_id_wrapperIjLb1EEEEEvT_jjPNS9_10value_typeET0_: ; @_ZN7rocprim17ROCPRIM_400000_NS6detail30init_device_scan_by_key_kernelINS1_19lookback_scan_stateINS0_5tupleIJlbEEELb0ELb0EEENS1_16block_id_wrapperIjLb1EEEEEvT_jjPNS9_10value_typeET0_
; %bb.0:
	s_clause 0x1
	s_load_b32 s2, s[0:1], 0x3c
	s_load_b256 s[4:11], s[0:1], 0x10
	s_bfe_u32 s3, ttmp6, 0x4000c
	s_and_b32 s12, ttmp6, 15
	s_add_co_i32 s3, s3, 1
	s_getreg_b32 s13, hwreg(HW_REG_IB_STS2, 6, 4)
	s_mul_i32 s3, ttmp9, s3
	s_delay_alu instid0(SALU_CYCLE_1)
	s_add_co_i32 s12, s12, s3
	s_wait_kmcnt 0x0
	s_and_b32 s2, s2, 0xffff
	s_cmp_eq_u32 s13, 0
	s_cselect_b32 s3, ttmp9, s12
	s_cmp_eq_u64 s[8:9], 0
	v_mad_u32 v0, s3, s2, v0
	s_cbranch_scc1 .LBB126_7
; %bb.1:
	s_cmp_lt_u32 s7, s6
	s_mov_b32 s16, exec_lo
	s_cselect_b32 s2, s7, 0
	s_delay_alu instid0(VALU_DEP_1) | instid1(SALU_CYCLE_1)
	v_cmpx_eq_u32_e64 s2, v0
	s_cbranch_execz .LBB126_6
; %bb.2:
	s_add_co_i32 s2, s7, 32
	s_load_b128 s[12:15], s[0:1], 0x0
	v_mov_b32_e32 v1, s2
	s_mov_b32 s3, 0
	global_load_u8 v1, v1, s[4:5] scope:SCOPE_DEV
	s_wait_loadcnt 0x0
	v_and_b32_e32 v2, 0xffff, v1
	v_readfirstlane_b32 s7, v1
	s_delay_alu instid0(VALU_DEP_2)
	v_cmp_ne_u32_e32 vcc_lo, 0, v2
	s_cbranch_vccnz .LBB126_5
; %bb.3:
	v_mov_b32_e32 v1, 0
	s_add_nc_u64 s[0:1], s[4:5], s[2:3]
.LBB126_4:                              ; =>This Inner Loop Header: Depth=1
	global_load_u8 v2, v1, s[0:1] scope:SCOPE_DEV
	s_wait_loadcnt 0x0
	v_and_b32_e32 v3, 0xffff, v2
	v_readfirstlane_b32 s7, v2
	s_delay_alu instid0(VALU_DEP_2)
	v_cmp_eq_u32_e32 vcc_lo, 0, v3
	s_cbranch_vccnz .LBB126_4
.LBB126_5:
	s_and_b32 s0, 0xffff, s7
	v_mov_b32_e32 v1, 0
	s_cmp_eq_u32 s0, 1
	global_wb scope:SCOPE_DEV
	s_wait_storecnt 0x0
	global_inv scope:SCOPE_DEV
	s_wait_kmcnt 0x0
	s_cselect_b32 s1, s13, s15
	s_cselect_b32 s0, s12, s14
	s_lshl_b64 s[2:3], s[2:3], 4
	s_delay_alu instid0(SALU_CYCLE_1)
	s_add_nc_u64 s[0:1], s[0:1], s[2:3]
	s_clause 0x1
	global_load_b64 v[2:3], v1, s[0:1]
	global_load_u8 v4, v1, s[0:1] offset:8
	s_wait_loadcnt 0x1
	global_store_b64 v1, v[2:3], s[8:9]
	s_wait_loadcnt 0x0
	global_store_b8 v1, v4, s[8:9] offset:8
.LBB126_6:
	s_wait_xcnt 0x0
	s_or_b32 exec_lo, exec_lo, s16
.LBB126_7:
	s_delay_alu instid0(SALU_CYCLE_1) | instskip(NEXT) | instid1(VALU_DEP_1)
	s_mov_b32 s0, exec_lo
	v_cmpx_eq_u32_e32 0, v0
	s_cbranch_execz .LBB126_9
; %bb.8:
	v_mov_b32_e32 v1, 0
	global_store_b32 v1, v1, s[10:11]
.LBB126_9:
	s_wait_xcnt 0x0
	s_or_b32 exec_lo, exec_lo, s0
	s_delay_alu instid0(SALU_CYCLE_1)
	s_mov_b32 s0, exec_lo
	v_cmpx_gt_u32_e64 s6, v0
	s_cbranch_execz .LBB126_11
; %bb.10:
	v_dual_mov_b32 v2, 0 :: v_dual_add_nc_u32 v1, 32, v0
	global_store_b8 v1, v2, s[4:5]
.LBB126_11:
	s_wait_xcnt 0x0
	s_or_b32 exec_lo, exec_lo, s0
	s_delay_alu instid0(SALU_CYCLE_1)
	s_mov_b32 s0, exec_lo
	v_cmpx_gt_u32_e32 32, v0
	s_cbranch_execz .LBB126_13
; %bb.12:
	v_mov_b32_e32 v1, 0xff
	global_store_b8 v0, v1, s[4:5]
.LBB126_13:
	s_endpgm
	.section	.rodata,"a",@progbits
	.p2align	6, 0x0
	.amdhsa_kernel _ZN7rocprim17ROCPRIM_400000_NS6detail30init_device_scan_by_key_kernelINS1_19lookback_scan_stateINS0_5tupleIJlbEEELb0ELb0EEENS1_16block_id_wrapperIjLb1EEEEEvT_jjPNS9_10value_typeET0_
		.amdhsa_group_segment_fixed_size 0
		.amdhsa_private_segment_fixed_size 0
		.amdhsa_kernarg_size 304
		.amdhsa_user_sgpr_count 2
		.amdhsa_user_sgpr_dispatch_ptr 0
		.amdhsa_user_sgpr_queue_ptr 0
		.amdhsa_user_sgpr_kernarg_segment_ptr 1
		.amdhsa_user_sgpr_dispatch_id 0
		.amdhsa_user_sgpr_kernarg_preload_length 0
		.amdhsa_user_sgpr_kernarg_preload_offset 0
		.amdhsa_user_sgpr_private_segment_size 0
		.amdhsa_wavefront_size32 1
		.amdhsa_uses_dynamic_stack 0
		.amdhsa_enable_private_segment 0
		.amdhsa_system_sgpr_workgroup_id_x 1
		.amdhsa_system_sgpr_workgroup_id_y 0
		.amdhsa_system_sgpr_workgroup_id_z 0
		.amdhsa_system_sgpr_workgroup_info 0
		.amdhsa_system_vgpr_workitem_id 0
		.amdhsa_next_free_vgpr 5
		.amdhsa_next_free_sgpr 17
		.amdhsa_named_barrier_count 0
		.amdhsa_reserve_vcc 1
		.amdhsa_float_round_mode_32 0
		.amdhsa_float_round_mode_16_64 0
		.amdhsa_float_denorm_mode_32 3
		.amdhsa_float_denorm_mode_16_64 3
		.amdhsa_fp16_overflow 0
		.amdhsa_memory_ordered 1
		.amdhsa_forward_progress 1
		.amdhsa_inst_pref_size 4
		.amdhsa_round_robin_scheduling 0
		.amdhsa_exception_fp_ieee_invalid_op 0
		.amdhsa_exception_fp_denorm_src 0
		.amdhsa_exception_fp_ieee_div_zero 0
		.amdhsa_exception_fp_ieee_overflow 0
		.amdhsa_exception_fp_ieee_underflow 0
		.amdhsa_exception_fp_ieee_inexact 0
		.amdhsa_exception_int_div_zero 0
	.end_amdhsa_kernel
	.section	.text._ZN7rocprim17ROCPRIM_400000_NS6detail30init_device_scan_by_key_kernelINS1_19lookback_scan_stateINS0_5tupleIJlbEEELb0ELb0EEENS1_16block_id_wrapperIjLb1EEEEEvT_jjPNS9_10value_typeET0_,"axG",@progbits,_ZN7rocprim17ROCPRIM_400000_NS6detail30init_device_scan_by_key_kernelINS1_19lookback_scan_stateINS0_5tupleIJlbEEELb0ELb0EEENS1_16block_id_wrapperIjLb1EEEEEvT_jjPNS9_10value_typeET0_,comdat
.Lfunc_end126:
	.size	_ZN7rocprim17ROCPRIM_400000_NS6detail30init_device_scan_by_key_kernelINS1_19lookback_scan_stateINS0_5tupleIJlbEEELb0ELb0EEENS1_16block_id_wrapperIjLb1EEEEEvT_jjPNS9_10value_typeET0_, .Lfunc_end126-_ZN7rocprim17ROCPRIM_400000_NS6detail30init_device_scan_by_key_kernelINS1_19lookback_scan_stateINS0_5tupleIJlbEEELb0ELb0EEENS1_16block_id_wrapperIjLb1EEEEEvT_jjPNS9_10value_typeET0_
                                        ; -- End function
	.set _ZN7rocprim17ROCPRIM_400000_NS6detail30init_device_scan_by_key_kernelINS1_19lookback_scan_stateINS0_5tupleIJlbEEELb0ELb0EEENS1_16block_id_wrapperIjLb1EEEEEvT_jjPNS9_10value_typeET0_.num_vgpr, 5
	.set _ZN7rocprim17ROCPRIM_400000_NS6detail30init_device_scan_by_key_kernelINS1_19lookback_scan_stateINS0_5tupleIJlbEEELb0ELb0EEENS1_16block_id_wrapperIjLb1EEEEEvT_jjPNS9_10value_typeET0_.num_agpr, 0
	.set _ZN7rocprim17ROCPRIM_400000_NS6detail30init_device_scan_by_key_kernelINS1_19lookback_scan_stateINS0_5tupleIJlbEEELb0ELb0EEENS1_16block_id_wrapperIjLb1EEEEEvT_jjPNS9_10value_typeET0_.numbered_sgpr, 17
	.set _ZN7rocprim17ROCPRIM_400000_NS6detail30init_device_scan_by_key_kernelINS1_19lookback_scan_stateINS0_5tupleIJlbEEELb0ELb0EEENS1_16block_id_wrapperIjLb1EEEEEvT_jjPNS9_10value_typeET0_.num_named_barrier, 0
	.set _ZN7rocprim17ROCPRIM_400000_NS6detail30init_device_scan_by_key_kernelINS1_19lookback_scan_stateINS0_5tupleIJlbEEELb0ELb0EEENS1_16block_id_wrapperIjLb1EEEEEvT_jjPNS9_10value_typeET0_.private_seg_size, 0
	.set _ZN7rocprim17ROCPRIM_400000_NS6detail30init_device_scan_by_key_kernelINS1_19lookback_scan_stateINS0_5tupleIJlbEEELb0ELb0EEENS1_16block_id_wrapperIjLb1EEEEEvT_jjPNS9_10value_typeET0_.uses_vcc, 1
	.set _ZN7rocprim17ROCPRIM_400000_NS6detail30init_device_scan_by_key_kernelINS1_19lookback_scan_stateINS0_5tupleIJlbEEELb0ELb0EEENS1_16block_id_wrapperIjLb1EEEEEvT_jjPNS9_10value_typeET0_.uses_flat_scratch, 0
	.set _ZN7rocprim17ROCPRIM_400000_NS6detail30init_device_scan_by_key_kernelINS1_19lookback_scan_stateINS0_5tupleIJlbEEELb0ELb0EEENS1_16block_id_wrapperIjLb1EEEEEvT_jjPNS9_10value_typeET0_.has_dyn_sized_stack, 0
	.set _ZN7rocprim17ROCPRIM_400000_NS6detail30init_device_scan_by_key_kernelINS1_19lookback_scan_stateINS0_5tupleIJlbEEELb0ELb0EEENS1_16block_id_wrapperIjLb1EEEEEvT_jjPNS9_10value_typeET0_.has_recursion, 0
	.set _ZN7rocprim17ROCPRIM_400000_NS6detail30init_device_scan_by_key_kernelINS1_19lookback_scan_stateINS0_5tupleIJlbEEELb0ELb0EEENS1_16block_id_wrapperIjLb1EEEEEvT_jjPNS9_10value_typeET0_.has_indirect_call, 0
	.section	.AMDGPU.csdata,"",@progbits
; Kernel info:
; codeLenInByte = 488
; TotalNumSgprs: 19
; NumVgprs: 5
; ScratchSize: 0
; MemoryBound: 0
; FloatMode: 240
; IeeeMode: 1
; LDSByteSize: 0 bytes/workgroup (compile time only)
; SGPRBlocks: 0
; VGPRBlocks: 0
; NumSGPRsForWavesPerEU: 19
; NumVGPRsForWavesPerEU: 5
; NamedBarCnt: 0
; Occupancy: 16
; WaveLimiterHint : 0
; COMPUTE_PGM_RSRC2:SCRATCH_EN: 0
; COMPUTE_PGM_RSRC2:USER_SGPR: 2
; COMPUTE_PGM_RSRC2:TRAP_HANDLER: 0
; COMPUTE_PGM_RSRC2:TGID_X_EN: 1
; COMPUTE_PGM_RSRC2:TGID_Y_EN: 0
; COMPUTE_PGM_RSRC2:TGID_Z_EN: 0
; COMPUTE_PGM_RSRC2:TIDIG_COMP_CNT: 0
	.section	.text._ZN7rocprim17ROCPRIM_400000_NS6detail17trampoline_kernelINS0_14default_configENS1_27scan_by_key_config_selectorIllEEZZNS1_16scan_by_key_implILNS1_25lookback_scan_determinismE0ELb0ES3_PKlN6hipcub16HIPCUB_304000_NS21ConstantInputIteratorIllEEPllNSB_3SumENSB_8EqualityElEE10hipError_tPvRmT2_T3_T4_T5_mT6_T7_P12ihipStream_tbENKUlT_T0_E_clISt17integral_constantIbLb0EESW_IbLb1EEEEDaSS_ST_EUlSS_E_NS1_11comp_targetILNS1_3genE0ELNS1_11target_archE4294967295ELNS1_3gpuE0ELNS1_3repE0EEENS1_30default_config_static_selectorELNS0_4arch9wavefront6targetE0EEEvT1_,"axG",@progbits,_ZN7rocprim17ROCPRIM_400000_NS6detail17trampoline_kernelINS0_14default_configENS1_27scan_by_key_config_selectorIllEEZZNS1_16scan_by_key_implILNS1_25lookback_scan_determinismE0ELb0ES3_PKlN6hipcub16HIPCUB_304000_NS21ConstantInputIteratorIllEEPllNSB_3SumENSB_8EqualityElEE10hipError_tPvRmT2_T3_T4_T5_mT6_T7_P12ihipStream_tbENKUlT_T0_E_clISt17integral_constantIbLb0EESW_IbLb1EEEEDaSS_ST_EUlSS_E_NS1_11comp_targetILNS1_3genE0ELNS1_11target_archE4294967295ELNS1_3gpuE0ELNS1_3repE0EEENS1_30default_config_static_selectorELNS0_4arch9wavefront6targetE0EEEvT1_,comdat
	.protected	_ZN7rocprim17ROCPRIM_400000_NS6detail17trampoline_kernelINS0_14default_configENS1_27scan_by_key_config_selectorIllEEZZNS1_16scan_by_key_implILNS1_25lookback_scan_determinismE0ELb0ES3_PKlN6hipcub16HIPCUB_304000_NS21ConstantInputIteratorIllEEPllNSB_3SumENSB_8EqualityElEE10hipError_tPvRmT2_T3_T4_T5_mT6_T7_P12ihipStream_tbENKUlT_T0_E_clISt17integral_constantIbLb0EESW_IbLb1EEEEDaSS_ST_EUlSS_E_NS1_11comp_targetILNS1_3genE0ELNS1_11target_archE4294967295ELNS1_3gpuE0ELNS1_3repE0EEENS1_30default_config_static_selectorELNS0_4arch9wavefront6targetE0EEEvT1_ ; -- Begin function _ZN7rocprim17ROCPRIM_400000_NS6detail17trampoline_kernelINS0_14default_configENS1_27scan_by_key_config_selectorIllEEZZNS1_16scan_by_key_implILNS1_25lookback_scan_determinismE0ELb0ES3_PKlN6hipcub16HIPCUB_304000_NS21ConstantInputIteratorIllEEPllNSB_3SumENSB_8EqualityElEE10hipError_tPvRmT2_T3_T4_T5_mT6_T7_P12ihipStream_tbENKUlT_T0_E_clISt17integral_constantIbLb0EESW_IbLb1EEEEDaSS_ST_EUlSS_E_NS1_11comp_targetILNS1_3genE0ELNS1_11target_archE4294967295ELNS1_3gpuE0ELNS1_3repE0EEENS1_30default_config_static_selectorELNS0_4arch9wavefront6targetE0EEEvT1_
	.globl	_ZN7rocprim17ROCPRIM_400000_NS6detail17trampoline_kernelINS0_14default_configENS1_27scan_by_key_config_selectorIllEEZZNS1_16scan_by_key_implILNS1_25lookback_scan_determinismE0ELb0ES3_PKlN6hipcub16HIPCUB_304000_NS21ConstantInputIteratorIllEEPllNSB_3SumENSB_8EqualityElEE10hipError_tPvRmT2_T3_T4_T5_mT6_T7_P12ihipStream_tbENKUlT_T0_E_clISt17integral_constantIbLb0EESW_IbLb1EEEEDaSS_ST_EUlSS_E_NS1_11comp_targetILNS1_3genE0ELNS1_11target_archE4294967295ELNS1_3gpuE0ELNS1_3repE0EEENS1_30default_config_static_selectorELNS0_4arch9wavefront6targetE0EEEvT1_
	.p2align	8
	.type	_ZN7rocprim17ROCPRIM_400000_NS6detail17trampoline_kernelINS0_14default_configENS1_27scan_by_key_config_selectorIllEEZZNS1_16scan_by_key_implILNS1_25lookback_scan_determinismE0ELb0ES3_PKlN6hipcub16HIPCUB_304000_NS21ConstantInputIteratorIllEEPllNSB_3SumENSB_8EqualityElEE10hipError_tPvRmT2_T3_T4_T5_mT6_T7_P12ihipStream_tbENKUlT_T0_E_clISt17integral_constantIbLb0EESW_IbLb1EEEEDaSS_ST_EUlSS_E_NS1_11comp_targetILNS1_3genE0ELNS1_11target_archE4294967295ELNS1_3gpuE0ELNS1_3repE0EEENS1_30default_config_static_selectorELNS0_4arch9wavefront6targetE0EEEvT1_,@function
_ZN7rocprim17ROCPRIM_400000_NS6detail17trampoline_kernelINS0_14default_configENS1_27scan_by_key_config_selectorIllEEZZNS1_16scan_by_key_implILNS1_25lookback_scan_determinismE0ELb0ES3_PKlN6hipcub16HIPCUB_304000_NS21ConstantInputIteratorIllEEPllNSB_3SumENSB_8EqualityElEE10hipError_tPvRmT2_T3_T4_T5_mT6_T7_P12ihipStream_tbENKUlT_T0_E_clISt17integral_constantIbLb0EESW_IbLb1EEEEDaSS_ST_EUlSS_E_NS1_11comp_targetILNS1_3genE0ELNS1_11target_archE4294967295ELNS1_3gpuE0ELNS1_3repE0EEENS1_30default_config_static_selectorELNS0_4arch9wavefront6targetE0EEEvT1_: ; @_ZN7rocprim17ROCPRIM_400000_NS6detail17trampoline_kernelINS0_14default_configENS1_27scan_by_key_config_selectorIllEEZZNS1_16scan_by_key_implILNS1_25lookback_scan_determinismE0ELb0ES3_PKlN6hipcub16HIPCUB_304000_NS21ConstantInputIteratorIllEEPllNSB_3SumENSB_8EqualityElEE10hipError_tPvRmT2_T3_T4_T5_mT6_T7_P12ihipStream_tbENKUlT_T0_E_clISt17integral_constantIbLb0EESW_IbLb1EEEEDaSS_ST_EUlSS_E_NS1_11comp_targetILNS1_3genE0ELNS1_11target_archE4294967295ELNS1_3gpuE0ELNS1_3repE0EEENS1_30default_config_static_selectorELNS0_4arch9wavefront6targetE0EEEvT1_
; %bb.0:
	s_clause 0x3
	s_load_b128 s[4:7], s[0:1], 0x0
	s_load_b64 s[8:9], s[0:1], 0x10
	s_load_b256 s[24:31], s[0:1], 0x38
	s_load_b64 s[46:47], s[0:1], 0x58
	v_cmp_ne_u32_e64 s3, 0, v0
	v_cmp_eq_u32_e64 s2, 0, v0
	s_and_saveexec_b32 s10, s2
	s_cbranch_execz .LBB127_4
; %bb.1:
	s_mov_b32 s12, exec_lo
	s_mov_b32 s11, exec_lo
	v_mbcnt_lo_u32_b32 v1, s12, 0
                                        ; implicit-def: $vgpr2
	s_delay_alu instid0(VALU_DEP_1)
	v_cmpx_eq_u32_e32 0, v1
	s_cbranch_execz .LBB127_3
; %bb.2:
	s_load_b64 s[14:15], s[0:1], 0x88
	s_bcnt1_i32_b32 s12, s12
	s_delay_alu instid0(SALU_CYCLE_1)
	v_dual_mov_b32 v2, 0 :: v_dual_mov_b32 v3, s12
	s_wait_xcnt 0x0
	s_wait_kmcnt 0x0
	global_atomic_add_u32 v2, v2, v3, s[14:15] th:TH_ATOMIC_RETURN scope:SCOPE_DEV
.LBB127_3:
	s_wait_xcnt 0x0
	s_or_b32 exec_lo, exec_lo, s11
	s_wait_loadcnt 0x0
	v_readfirstlane_b32 s11, v2
	s_delay_alu instid0(VALU_DEP_1)
	v_dual_mov_b32 v2, 0 :: v_dual_add_nc_u32 v1, s11, v1
	ds_store_b32 v2, v1
.LBB127_4:
	s_or_b32 exec_lo, exec_lo, s10
	v_mov_b32_e32 v1, 0
	s_clause 0x2
	s_load_b64 s[34:35], s[0:1], 0x20
	s_load_b32 s48, s[0:1], 0x60
	s_load_b256 s[36:43], s[0:1], 0x68
	s_wait_dscnt 0x0
	s_barrier_signal -1
	s_barrier_wait -1
	ds_load_b32 v2, v1
	s_mov_b32 s49, 0
	s_wait_kmcnt 0x0
	s_lshl_b64 s[44:45], s[6:7], 3
	s_mov_b32 s13, s49
	s_add_nc_u64 s[6:7], s[4:5], s[44:45]
	s_wait_dscnt 0x0
	s_barrier_signal -1
	s_barrier_wait -1
	s_barrier_signal -1
	s_barrier_wait -1
	s_mul_u64 s[0:1], s[46:47], s[48:49]
	s_cmp_lg_u64 s[40:41], 0
	s_cselect_b32 s5, -1, 0
	v_readfirstlane_b32 s48, v2
	s_add_nc_u64 s[10:11], s[0:1], s[48:49]
	s_add_nc_u64 s[0:1], s[36:37], -1
	s_mul_i32 s12, s48, 0xe00
	v_cmp_ge_u64_e64 s31, s[10:11], s[0:1]
	s_lshl_b64 s[36:37], s[12:13], 3
	s_mul_i32 s33, s0, 0xfffff200
	s_add_nc_u64 s[6:7], s[6:7], s[36:37]
	s_and_b32 vcc_lo, exec_lo, s31
	s_cbranch_vccz .LBB127_36
; %bb.5:
	global_load_b64 v[2:3], v1, s[6:7]
	s_add_co_i32 s17, s33, s30
	s_mov_b32 s0, exec_lo
	s_wait_loadcnt 0x0
	v_mov_b64_e32 v[4:5], v[2:3]
	v_cmpx_gt_u32_e64 s17, v0
	s_cbranch_execz .LBB127_7
; %bb.6:
	global_load_b64 v[4:5], v0, s[6:7] scale_offset
.LBB127_7:
	s_wait_xcnt 0x0
	s_or_b32 exec_lo, exec_lo, s0
	v_mov_b64_e32 v[6:7], v[2:3]
	v_or_b32_e32 v1, 0x100, v0
	s_mov_b32 s0, exec_lo
	s_delay_alu instid0(VALU_DEP_1)
	v_cmpx_gt_u32_e64 s17, v1
	s_cbranch_execz .LBB127_9
; %bb.8:
	global_load_b64 v[6:7], v0, s[6:7] offset:2048 scale_offset
.LBB127_9:
	s_wait_xcnt 0x0
	s_or_b32 exec_lo, exec_lo, s0
	v_mov_b64_e32 v[8:9], v[2:3]
	v_or_b32_e32 v1, 0x200, v0
	s_mov_b32 s0, exec_lo
	s_delay_alu instid0(VALU_DEP_1)
	v_cmpx_gt_u32_e64 s17, v1
	s_cbranch_execz .LBB127_11
; %bb.10:
	global_load_b64 v[8:9], v0, s[6:7] offset:4096 scale_offset
.LBB127_11:
	;; [unrolled: 11-line block ×12, first 2 shown]
	s_wait_xcnt 0x0
	s_or_b32 exec_lo, exec_lo, s0
	v_or_b32_e32 v1, 0xd00, v0
	s_mov_b32 s0, exec_lo
	s_delay_alu instid0(VALU_DEP_1)
	v_cmpx_gt_u32_e64 s17, v1
	s_cbranch_execz .LBB127_33
; %bb.32:
	global_load_b64 v[2:3], v0, s[6:7] offset:26624 scale_offset
.LBB127_33:
	s_wait_xcnt 0x0
	s_or_b32 exec_lo, exec_lo, s0
	v_lshlrev_b32_e32 v30, 3, v0
	s_cmp_eq_u64 s[10:11], 0
	s_mov_b64 s[0:1], s[6:7]
	s_wait_loadcnt 0x0
	ds_store_2addr_stride64_b64 v30, v[4:5], v[6:7] offset1:4
	ds_store_2addr_stride64_b64 v30, v[8:9], v[10:11] offset0:8 offset1:12
	ds_store_2addr_stride64_b64 v30, v[12:13], v[14:15] offset0:16 offset1:20
	ds_store_2addr_stride64_b64 v30, v[16:17], v[18:19] offset0:24 offset1:28
	ds_store_2addr_stride64_b64 v30, v[20:21], v[22:23] offset0:32 offset1:36
	ds_store_2addr_stride64_b64 v30, v[24:25], v[26:27] offset0:40 offset1:44
	ds_store_2addr_stride64_b64 v30, v[28:29], v[2:3] offset0:48 offset1:52
	v_mad_u32_u24 v20, 0x68, v0, v30
	s_wait_dscnt 0x0
	s_barrier_signal -1
	s_barrier_wait -1
	ds_load_b128 v[76:79], v20 offset:16
	ds_load_2addr_b64 v[64:67], v20 offset0:3 offset1:4
	ds_load_b128 v[72:75], v20
	ds_load_2addr_b64 v[80:83], v20 offset0:1 offset1:2
	ds_load_2addr_b64 v[56:59], v20 offset0:7 offset1:8
	;; [unrolled: 1-line block ×5, first 2 shown]
	ds_load_b64 v[86:87], v20 offset:104
	s_cbranch_scc1 .LBB127_39
; %bb.34:
	s_and_not1_b32 vcc_lo, exec_lo, s5
	s_cbranch_vccnz .LBB127_37
; %bb.35:
	s_lshl_b64 s[0:1], s[10:11], 3
	s_mov_b32 s4, 0
	s_add_nc_u64 s[0:1], s[42:43], s[0:1]
	s_delay_alu instid0(SALU_CYCLE_1)
	s_add_nc_u64 s[0:1], s[0:1], -8
	s_branch .LBB127_38
.LBB127_36:
                                        ; implicit-def: $sgpr13
                                        ; implicit-def: $vgpr97
                                        ; implicit-def: $vgpr89
                                        ; implicit-def: $vgpr96
                                        ; implicit-def: $vgpr95
                                        ; implicit-def: $vgpr107
                                        ; implicit-def: $vgpr90
                                        ; implicit-def: $vgpr102
                                        ; implicit-def: $vgpr100
                                        ; implicit-def: $vgpr20_vgpr21
                                        ; implicit-def: $vgpr34_vgpr35
                                        ; implicit-def: $vgpr38_vgpr39
                                        ; implicit-def: $vgpr42_vgpr43
                                        ; implicit-def: $vgpr46_vgpr47
                                        ; implicit-def: $vgpr50_vgpr51
                                        ; implicit-def: $vgpr4_vgpr5
                                        ; implicit-def: $vgpr1
                                        ; implicit-def: $vgpr93
                                        ; implicit-def: $vgpr91
                                        ; implicit-def: $vgpr92
                                        ; implicit-def: $vgpr94
                                        ; implicit-def: $vgpr103
                                        ; implicit-def: $vgpr99
                                        ; implicit-def: $vgpr101
                                        ; implicit-def: $vgpr98
                                        ; implicit-def: $vgpr88
                                        ; implicit-def: $vgpr108
                                        ; implicit-def: $vgpr105
                                        ; implicit-def: $vgpr104
                                        ; implicit-def: $vgpr84_vgpr85
                                        ; implicit-def: $vgpr28_vgpr29
                                        ; implicit-def: $vgpr24_vgpr25
                                        ; implicit-def: $vgpr16_vgpr17
                                        ; implicit-def: $vgpr12_vgpr13
                                        ; implicit-def: $vgpr30_vgpr31
                                        ; implicit-def: $vgpr26_vgpr27
                                        ; implicit-def: $vgpr22_vgpr23
                                        ; implicit-def: $vgpr14_vgpr15
                                        ; implicit-def: $vgpr10_vgpr11
                                        ; implicit-def: $vgpr6_vgpr7
	v_lshlrev_b32_e32 v60, 3, v0
	s_cbranch_execnz .LBB127_68
	s_branch .LBB127_76
.LBB127_37:
	s_add_nc_u64 s[0:1], s[6:7], -8
	s_mov_b32 s4, -1
.LBB127_38:
	s_delay_alu instid0(SALU_CYCLE_1)
	s_and_not1_b32 vcc_lo, exec_lo, s4
.LBB127_39:
	v_mov_b32_e32 v1, 0
	v_mad_i32_i24 v2, 0xffffff98, v0, v20
	global_load_b64 v[8:9], v1, s[0:1]
	s_wait_dscnt 0x0
	ds_store_b64 v2, v[86:87] offset:28672
	s_wait_loadcnt_dscnt 0x0
	s_barrier_signal -1
	s_barrier_wait -1
	s_and_saveexec_b32 s0, s3
; %bb.40:
	v_mul_i32_i24_e32 v2, 0xffffff98, v0
	s_delay_alu instid0(VALU_DEP_1)
	v_add_nc_u32_e32 v2, v20, v2
	ds_load_b64 v[8:9], v2 offset:28664
; %bb.41:
	s_or_b32 exec_lo, exec_lo, s0
	v_mov_b64_e32 v[2:3], s[8:9]
	v_mul_u32_u24_e32 v106, 14, v0
	s_wait_dscnt 0x0
	s_barrier_signal -1
	s_barrier_wait -1
	v_mov_b64_e32 v[34:35], 0
	ds_store_2addr_stride64_b64 v30, v[2:3], v[2:3] offset1:4
	ds_store_2addr_stride64_b64 v30, v[2:3], v[2:3] offset0:8 offset1:12
	ds_store_2addr_stride64_b64 v30, v[2:3], v[2:3] offset0:16 offset1:20
	;; [unrolled: 1-line block ×6, first 2 shown]
	v_mov_b64_e32 v[32:33], 0
	v_mov_b64_e32 v[38:39], 0
	;; [unrolled: 1-line block ×23, first 2 shown]
	v_cmp_gt_u32_e32 vcc_lo, s17, v106
	v_dual_mov_b32 v97, 0 :: v_dual_mov_b32 v89, 0
	v_dual_mov_b32 v96, 0 :: v_dual_mov_b32 v95, 0
	;; [unrolled: 1-line block ×10, first 2 shown]
	s_mov_b32 s12, 0
	s_wait_dscnt 0x0
	s_barrier_signal -1
	s_barrier_wait -1
                                        ; implicit-def: $sgpr13
	s_and_saveexec_b32 s14, vcc_lo
	s_cbranch_execz .LBB127_67
; %bb.42:
	ds_load_b64 v[2:3], v20
	v_dual_mov_b32 v97, 0 :: v_dual_bitop2_b32 v1, 1, v106 bitop3:0x54
	v_mov_b64_e32 v[34:35], 0
	v_mov_b64_e32 v[32:33], 0
	v_mov_b64_e32 v[38:39], 0
	v_mov_b64_e32 v[36:37], 0
	v_mov_b64_e32 v[42:43], 0
	v_mov_b64_e32 v[40:41], 0
	v_mov_b64_e32 v[46:47], 0
	v_mov_b64_e32 v[44:45], 0
	v_mov_b64_e32 v[50:51], 0
	v_mov_b64_e32 v[48:49], 0
	v_mov_b64_e32 v[4:5], 0
	v_mov_b64_e32 v[18:19], 0
	v_mov_b64_e32 v[30:31], 0
	v_mov_b64_e32 v[84:85], 0
	v_mov_b64_e32 v[26:27], 0
	v_mov_b64_e32 v[28:29], 0
	v_mov_b64_e32 v[22:23], 0
	v_mov_b64_e32 v[24:25], 0
	v_mov_b64_e32 v[14:15], 0
	v_mov_b64_e32 v[16:17], 0
	v_mov_b64_e32 v[10:11], 0
	v_mov_b64_e32 v[12:13], 0
	v_mov_b64_e32 v[6:7], 0
	v_cmp_gt_u32_e64 s0, s17, v1
	v_dual_mov_b32 v89, 0 :: v_dual_mov_b32 v96, 0
	v_dual_mov_b32 v95, 0 :: v_dual_mov_b32 v107, 0
	v_dual_mov_b32 v90, 0 :: v_dual_mov_b32 v102, 0
	v_dual_mov_b32 v100, 0 :: v_dual_mov_b32 v93, 0
	v_dual_mov_b32 v91, 0 :: v_dual_mov_b32 v92, 0
	v_dual_mov_b32 v94, 0 :: v_dual_mov_b32 v103, 0
	v_dual_mov_b32 v99, 0 :: v_dual_mov_b32 v101, 0
	v_dual_mov_b32 v98, 0 :: v_dual_mov_b32 v88, 0
	v_dual_mov_b32 v108, 0 :: v_dual_mov_b32 v105, 0
	v_mov_b32_e32 v104, 0
	s_mov_b32 s1, 0
	v_cmp_ne_u64_e32 vcc_lo, v[8:9], v[72:73]
                                        ; implicit-def: $sgpr13
	s_and_saveexec_b32 s15, s0
	s_cbranch_execz .LBB127_66
; %bb.43:
	ds_load_2addr_b64 v[6:9], v20 offset0:1 offset1:2
	v_cmp_ne_u64_e64 s0, v[74:75], v[82:83]
	v_cmp_ne_u64_e64 s4, v[72:73], v[80:81]
	v_dual_add_nc_u32 v5, 2, v106 :: v_dual_mov_b32 v97, 0
	v_cmp_ne_u64_e64 s1, v[78:79], v[66:67]
	v_mov_b64_e32 v[34:35], 0
	v_mov_b64_e32 v[32:33], 0
	v_cndmask_b32_e64 v1, 0, 1, s0
	v_cmp_ne_u64_e64 s0, v[76:77], v[64:65]
	v_mov_b64_e32 v[38:39], 0
	v_mov_b64_e32 v[36:37], 0
	;; [unrolled: 1-line block ×19, first 2 shown]
	v_lshlrev_b16 v1, 8, v1
	v_cndmask_b32_e64 v4, 0, 1, s4
	v_cmp_gt_u32_e64 s4, s17, v5
	v_dual_mov_b32 v89, 0 :: v_dual_mov_b32 v96, 0
	v_dual_mov_b32 v95, 0 :: v_dual_mov_b32 v90, 0
	v_dual_mov_b32 v102, 0 :: v_dual_mov_b32 v100, 0
	v_dual_mov_b32 v93, 0 :: v_dual_mov_b32 v91, 0
	v_dual_mov_b32 v92, 0 :: v_dual_mov_b32 v94, 0
	v_dual_mov_b32 v103, 0 :: v_dual_mov_b32 v99, 0
	v_dual_mov_b32 v101, 0 :: v_dual_mov_b32 v98, 0
	v_dual_mov_b32 v108, 0 :: v_dual_mov_b32 v105, 0
	v_mov_b32_e32 v104, 0
	s_mov_b32 s18, 0
                                        ; implicit-def: $sgpr13
	s_and_saveexec_b32 s16, s4
	s_cbranch_execz .LBB127_65
; %bb.44:
	v_cndmask_b32_e64 v5, 0, 1, s1
	v_cndmask_b32_e64 v10, 0, 1, s0
	v_and_b32_e32 v11, 0xffff, v1
	v_dual_mov_b32 v97, 0 :: v_dual_add_nc_u32 v12, 3, v106
	s_delay_alu instid0(VALU_DEP_4)
	v_lshlrev_b16 v5, 8, v5
	v_mov_b32_e32 v95, 0
	v_mov_b64_e32 v[34:35], 0
	v_mov_b64_e32 v[32:33], 0
	;; [unrolled: 1-line block ×3, first 2 shown]
	v_or_b32_e32 v5, v10, v5
	v_mov_b64_e32 v[36:37], 0
	v_mov_b64_e32 v[42:43], 0
	;; [unrolled: 1-line block ×4, first 2 shown]
	v_dual_mov_b32 v93, 0 :: v_dual_lshlrev_b32 v48, 16, v5
	v_mov_b64_e32 v[44:45], 0
	v_mov_b64_e32 v[50:51], 0
	;; [unrolled: 1-line block ×3, first 2 shown]
	s_delay_alu instid0(VALU_DEP_4) | instskip(SKIP_3) | instid1(VALU_DEP_4)
	v_dual_mov_b32 v91, 0 :: v_dual_bitop2_b32 v10, v11, v48 bitop3:0x54
	v_mov_b64_e32 v[30:31], 0
	v_mov_b64_e32 v[84:85], 0
	;; [unrolled: 1-line block ×3, first 2 shown]
	v_dual_lshrrev_b32 v90, 8, v10 :: v_dual_mov_b32 v92, 0
	v_mov_b64_e32 v[28:29], 0
	v_mov_b64_e32 v[22:23], 0
	;; [unrolled: 1-line block ×6, first 2 shown]
	v_dual_mov_b32 v89, 0 :: v_dual_mov_b32 v96, 0
	v_dual_mov_b32 v102, 0 :: v_dual_mov_b32 v100, 0
	v_cmp_gt_u32_e64 s0, s17, v12
	v_dual_mov_b32 v94, 0 :: v_dual_mov_b32 v103, 0
	v_dual_mov_b32 v99, 0 :: v_dual_mov_b32 v101, 0
	;; [unrolled: 1-line block ×3, first 2 shown]
	v_mov_b32_e32 v104, 0
	s_mov_b32 s1, 0
                                        ; implicit-def: $sgpr13
	s_and_saveexec_b32 s18, s0
	s_cbranch_execz .LBB127_64
; %bb.45:
	ds_load_2addr_b64 v[10:13], v20 offset0:3 offset1:4
	v_dual_mov_b32 v97, 0 :: v_dual_add_nc_u32 v14, 4, v106
	v_mov_b64_e32 v[34:35], 0
	v_mov_b64_e32 v[32:33], 0
	;; [unrolled: 1-line block ×3, first 2 shown]
	s_delay_alu instid0(VALU_DEP_4)
	v_cmp_gt_u32_e64 s0, s17, v14
	v_mov_b64_e32 v[36:37], 0
	v_mov_b64_e32 v[42:43], 0
	v_mov_b64_e32 v[40:41], 0
	v_mov_b64_e32 v[46:47], 0
	v_mov_b64_e32 v[44:45], 0
	v_mov_b64_e32 v[18:19], 0
	v_mov_b64_e32 v[30:31], 0
	v_mov_b64_e32 v[84:85], 0
	v_mov_b64_e32 v[26:27], 0
	v_mov_b64_e32 v[28:29], 0
	v_mov_b64_e32 v[22:23], 0
	v_mov_b64_e32 v[24:25], 0
	v_mov_b64_e32 v[14:15], 0
	v_mov_b64_e32 v[16:17], 0
	v_dual_mov_b32 v89, 0 :: v_dual_mov_b32 v96, 0
	v_dual_mov_b32 v95, 0 :: v_dual_mov_b32 v100, 0
	;; [unrolled: 1-line block ×6, first 2 shown]
	v_mov_b32_e32 v104, 0
                                        ; implicit-def: $sgpr13
	s_and_saveexec_b32 s19, s0
	s_cbranch_execz .LBB127_63
; %bb.46:
	v_dual_mov_b32 v97, 0 :: v_dual_add_nc_u32 v14, 5, v106
	v_mov_b64_e32 v[34:35], 0
	v_mov_b64_e32 v[32:33], 0
	;; [unrolled: 1-line block ×3, first 2 shown]
	s_delay_alu instid0(VALU_DEP_4)
	v_cmp_gt_u32_e64 s0, s17, v14
	v_mov_b64_e32 v[36:37], 0
	v_mov_b64_e32 v[42:43], 0
	;; [unrolled: 1-line block ×12, first 2 shown]
	v_dual_mov_b32 v89, 0 :: v_dual_mov_b32 v96, 0
	v_dual_mov_b32 v95, 0 :: v_dual_mov_b32 v93, 0
	;; [unrolled: 1-line block ×5, first 2 shown]
                                        ; implicit-def: $sgpr13
	s_and_saveexec_b32 s20, s0
	s_cbranch_execz .LBB127_62
; %bb.47:
	ds_load_2addr_b64 v[14:17], v20 offset0:5 offset1:6
	v_cmp_ne_u64_e64 s0, v[68:69], v[70:71]
	v_cmp_ne_u64_e64 s4, v[66:67], v[68:69]
	v_dual_add_nc_u32 v19, 6, v106 :: v_dual_mov_b32 v89, 0
	v_cmp_ne_u64_e64 s1, v[56:57], v[58:59]
	v_mov_b64_e32 v[34:35], 0
	v_mov_b64_e32 v[32:33], 0
	v_cndmask_b32_e64 v18, 0, 1, s0
	v_cmp_ne_u64_e64 s0, v[70:71], v[56:57]
	v_cndmask_b32_e64 v45, 0, 1, s4
	v_cmp_gt_u32_e64 s4, s17, v19
	v_mov_b64_e32 v[38:39], 0
	v_lshlrev_b16 v44, 8, v18
	v_mov_b64_e32 v[36:37], 0
	v_mov_b64_e32 v[42:43], 0
	v_mov_b64_e32 v[40:41], 0
	v_mov_b64_e32 v[18:19], 0
	v_mov_b64_e32 v[30:31], 0
	v_mov_b64_e32 v[84:85], 0
	v_mov_b64_e32 v[26:27], 0
	v_mov_b64_e32 v[28:29], 0
	v_mov_b64_e32 v[22:23], 0
	v_mov_b64_e32 v[24:25], 0
	v_dual_mov_b32 v96, 0 :: v_dual_mov_b32 v95, 0
	v_dual_mov_b32 v93, 0 :: v_dual_mov_b32 v91, 0
	;; [unrolled: 1-line block ×4, first 2 shown]
	v_mov_b32_e32 v98, 0
	s_mov_b32 s22, 0
                                        ; implicit-def: $sgpr13
	s_and_saveexec_b32 s21, s4
	s_cbranch_execz .LBB127_61
; %bb.48:
	v_cndmask_b32_e64 v18, 0, 1, s1
	v_cndmask_b32_e64 v19, 0, 1, s0
	v_and_b32_e32 v21, 0xffff, v44
	v_mov_b64_e32 v[34:35], 0
	v_mov_b64_e32 v[32:33], 0
	v_lshlrev_b16 v18, 8, v18
	v_mov_b32_e32 v95, 0
	v_mov_b64_e32 v[38:39], 0
	v_mov_b64_e32 v[36:37], 0
	;; [unrolled: 1-line block ×3, first 2 shown]
	v_or_b32_e32 v40, v19, v18
	v_mov_b64_e32 v[18:19], 0
	v_mov_b64_e32 v[30:31], 0
	;; [unrolled: 1-line block ×4, first 2 shown]
	v_dual_mov_b32 v92, 0 :: v_dual_lshlrev_b32 v41, 16, v40
	v_mov_b64_e32 v[28:29], 0
	v_mov_b64_e32 v[22:23], 0
	v_dual_add_nc_u32 v24, 7, v106 :: v_dual_mov_b32 v96, 0
	s_delay_alu instid0(VALU_DEP_4) | instskip(SKIP_1) | instid1(VALU_DEP_2)
	v_dual_mov_b32 v94, 0 :: v_dual_bitop2_b32 v21, v21, v41 bitop3:0x54
	v_dual_mov_b32 v93, 0 :: v_dual_mov_b32 v91, 0
	v_dual_mov_b32 v98, 0 :: v_dual_lshrrev_b32 v89, 8, v21
	s_mov_b32 s1, 0
	s_mov_b32 s22, exec_lo
                                        ; implicit-def: $sgpr13
	v_cmpx_gt_u32_e64 s17, v24
	s_cbranch_execz .LBB127_60
; %bb.49:
	ds_load_2addr_b64 v[22:25], v20 offset0:7 offset1:8
	v_dual_mov_b32 v95, 0 :: v_dual_add_nc_u32 v18, 8, v106
	v_mov_b64_e32 v[34:35], 0
	v_mov_b64_e32 v[32:33], 0
	;; [unrolled: 1-line block ×3, first 2 shown]
	s_delay_alu instid0(VALU_DEP_4)
	v_cmp_gt_u32_e64 s0, s17, v18
	v_mov_b64_e32 v[36:37], 0
	v_mov_b64_e32 v[18:19], 0
	;; [unrolled: 1-line block ×6, first 2 shown]
	v_dual_mov_b32 v93, 0 :: v_dual_mov_b32 v91, 0
	v_dual_mov_b32 v92, 0 :: v_dual_mov_b32 v94, 0
                                        ; implicit-def: $sgpr13
	s_and_saveexec_b32 s23, s0
	s_cbranch_execz .LBB127_59
; %bb.50:
	v_dual_mov_b32 v93, 0 :: v_dual_add_nc_u32 v18, 9, v106
	v_mov_b64_e32 v[34:35], 0
	v_mov_b64_e32 v[32:33], 0
	;; [unrolled: 1-line block ×3, first 2 shown]
	s_delay_alu instid0(VALU_DEP_4)
	v_cmp_gt_u32_e64 s0, s17, v18
	v_mov_b64_e32 v[18:19], 0
	v_mov_b64_e32 v[30:31], 0
	;; [unrolled: 1-line block ×4, first 2 shown]
	v_dual_mov_b32 v91, 0 :: v_dual_mov_b32 v92, 0
	v_mov_b32_e32 v94, 0
                                        ; implicit-def: $sgpr13
	s_and_saveexec_b32 s40, s0
	s_cbranch_execz .LBB127_58
; %bb.51:
	ds_load_2addr_b64 v[26:29], v20 offset0:9 offset1:10
	v_cmp_ne_u64_e64 s0, v[60:61], v[62:63]
	v_cmp_ne_u64_e64 s4, v[58:59], v[60:61]
	v_dual_add_nc_u32 v19, 10, v106 :: v_dual_mov_b32 v91, 0
	v_cmp_ne_u64_e64 s1, v[52:53], v[54:55]
	v_mov_b64_e32 v[34:35], 0
	v_mov_b64_e32 v[32:33], 0
	v_cndmask_b32_e64 v18, 0, 1, s0
	v_cmp_ne_u64_e64 s0, v[62:63], v[52:53]
	v_cndmask_b32_e64 v37, 0, 1, s4
	v_cmp_gt_u32_e64 s4, s17, v19
	v_mov_b64_e32 v[30:31], 0
	v_lshlrev_b16 v36, 8, v18
	v_mov_b64_e32 v[18:19], 0
	v_mov_b64_e32 v[84:85], 0
	v_dual_mov_b32 v92, 0 :: v_dual_mov_b32 v94, 0
                                        ; implicit-def: $sgpr13
	s_and_saveexec_b32 s41, s4
	s_cbranch_execz .LBB127_57
; %bb.52:
	v_cndmask_b32_e64 v18, 0, 1, s1
	v_cndmask_b32_e64 v19, 0, 1, s0
	v_mov_b64_e32 v[30:31], 0
	v_mov_b32_e32 v94, 0
	s_mov_b32 s4, 0
	v_lshlrev_b16 v18, 8, v18
	s_mov_b32 s1, exec_lo
                                        ; implicit-def: $sgpr13
	s_delay_alu instid0(VALU_DEP_1) | instskip(SKIP_1) | instid1(VALU_DEP_2)
	v_dual_mov_b32 v92, 0 :: v_dual_bitop2_b32 v34, v19, v18 bitop3:0x54
	v_and_b32_e32 v18, 0xffff, v36
	v_lshlrev_b32_e32 v35, 16, v34
	s_delay_alu instid0(VALU_DEP_1) | instskip(SKIP_1) | instid1(VALU_DEP_2)
	v_dual_add_nc_u32 v21, 11, v106 :: v_dual_bitop2_b32 v32, v18, v35 bitop3:0x54
	v_mov_b64_e32 v[18:19], 0
	v_lshrrev_b32_e32 v91, 8, v32
	s_delay_alu instid0(VALU_DEP_3)
	v_cmpx_gt_u32_e64 s17, v21
	s_cbranch_execz .LBB127_56
; %bb.53:
	ds_load_2addr_b64 v[30:33], v20 offset0:11 offset1:12
	v_mov_b64_e32 v[18:19], 0
	v_dual_mov_b32 v94, 0 :: v_dual_add_nc_u32 v21, 12, v106
	s_mov_b32 s49, exec_lo
                                        ; implicit-def: $sgpr13
	s_delay_alu instid0(VALU_DEP_1)
	v_cmpx_gt_u32_e64 s17, v21
	s_xor_b32 s49, exec_lo, s49
	s_cbranch_execz .LBB127_55
; %bb.54:
	ds_load_b64 v[20:21], v20 offset:104
	v_dual_add_nc_u32 v18, 13, v106 :: v_dual_lshrrev_b32 v94, 24, v35
	v_cmp_ne_u64_e64 s13, v[54:55], v[86:87]
	s_delay_alu instid0(VALU_DEP_2)
	v_cmp_gt_u32_e64 s0, s17, v18
	s_wait_dscnt 0x1
	v_mov_b64_e32 v[18:19], v[32:33]
	s_and_b32 s4, s0, exec_lo
.LBB127_55:
	s_or_b32 exec_lo, exec_lo, s49
	v_mov_b32_e32 v92, v34
	s_and_b32 s4, s4, exec_lo
.LBB127_56:
	s_or_b32 exec_lo, exec_lo, s1
	s_wait_dscnt 0x0
	v_mov_b64_e32 v[34:35], v[30:31]
	v_mov_b64_e32 v[32:33], v[28:29]
	;; [unrolled: 1-line block ×3, first 2 shown]
	s_and_b32 s49, s4, exec_lo
.LBB127_57:
	s_or_b32 exec_lo, exec_lo, s41
	s_wait_dscnt 0x0
	v_mov_b64_e32 v[38:39], v[26:27]
	v_or_b32_e32 v93, v37, v36
	s_and_b32 s1, s49, exec_lo
.LBB127_58:
	s_or_b32 exec_lo, exec_lo, s40
	s_wait_dscnt 0x0
	v_mov_b64_e32 v[36:37], v[24:25]
	v_mov_b64_e32 v[28:29], v[24:25]
	v_lshrrev_b32_e32 v95, 24, v41
	s_and_b32 s1, s1, exec_lo
.LBB127_59:
	s_or_b32 exec_lo, exec_lo, s23
	s_wait_dscnt 0x0
	v_mov_b64_e32 v[42:43], v[22:23]
	v_dual_mov_b32 v96, v40 :: v_dual_mov_b32 v98, v95
	s_and_b32 s1, s1, exec_lo
.LBB127_60:
	s_or_b32 exec_lo, exec_lo, s22
	s_wait_dscnt 0x0
	v_mov_b64_e32 v[40:41], v[16:17]
	v_mov_b64_e32 v[24:25], v[16:17]
	v_dual_mov_b32 v99, v89 :: v_dual_mov_b32 v101, v96
	s_and_b32 s22, s1, exec_lo
.LBB127_61:
	s_or_b32 exec_lo, exec_lo, s21
	s_wait_dscnt 0x0
	v_mov_b64_e32 v[46:47], v[14:15]
	v_or_b32_e32 v97, v45, v44
	s_and_b32 s1, s22, exec_lo
.LBB127_62:
	s_or_b32 exec_lo, exec_lo, s20
	s_delay_alu instid0(VALU_DEP_1)
	v_dual_mov_b32 v103, v97 :: v_dual_lshrrev_b32 v100, 24, v48
	s_wait_dscnt 0x0
	v_mov_b64_e32 v[44:45], v[12:13]
	v_mov_b64_e32 v[16:17], v[12:13]
	s_and_b32 s1, s1, exec_lo
	v_mov_b32_e32 v104, v100
.LBB127_63:
	s_or_b32 exec_lo, exec_lo, s19
	s_wait_dscnt 0x0
	v_mov_b64_e32 v[50:51], v[10:11]
	v_dual_mov_b32 v102, v5 :: v_dual_mov_b32 v105, v5
	s_and_b32 s1, s1, exec_lo
.LBB127_64:
	s_or_b32 exec_lo, exec_lo, s18
	s_wait_dscnt 0x0
	v_mov_b64_e32 v[48:49], v[8:9]
	v_mov_b64_e32 v[12:13], v[8:9]
	v_mov_b32_e32 v108, v90
	s_and_b32 s18, s1, exec_lo
.LBB127_65:
	s_or_b32 exec_lo, exec_lo, s16
	v_or_b32_e32 v107, v4, v1
	s_wait_dscnt 0x0
	v_mov_b64_e32 v[4:5], v[6:7]
	s_and_b32 s1, s18, exec_lo
	s_delay_alu instid0(VALU_DEP_2)
	v_mov_b32_e32 v88, v107
.LBB127_66:
	s_or_b32 exec_lo, exec_lo, s15
	v_cndmask_b32_e64 v1, 0, 1, vcc_lo
	s_and_b32 s49, s1, exec_lo
.LBB127_67:
	s_or_b32 exec_lo, exec_lo, s14
	v_lshlrev_b32_e32 v60, 3, v0
	s_and_b32 vcc_lo, exec_lo, s12
	s_cbranch_vccz .LBB127_76
.LBB127_68:
	s_wait_dscnt 0x0
	s_clause 0xd
	global_load_b64 v[2:3], v0, s[6:7] scale_offset
	global_load_b64 v[4:5], v0, s[6:7] offset:2048 scale_offset
	global_load_b64 v[6:7], v0, s[6:7] offset:4096 scale_offset
	;; [unrolled: 1-line block ×13, first 2 shown]
	v_mad_u32_u24 v54, 0x68, v0, v60
	s_cmp_eq_u64 s[10:11], 0
	s_wait_loadcnt 0xc
	ds_store_2addr_stride64_b64 v60, v[2:3], v[4:5] offset1:4
	s_wait_loadcnt 0xa
	ds_store_2addr_stride64_b64 v60, v[6:7], v[8:9] offset0:8 offset1:12
	s_wait_loadcnt 0x8
	ds_store_2addr_stride64_b64 v60, v[10:11], v[12:13] offset0:16 offset1:20
	s_wait_loadcnt 0x6
	ds_store_2addr_stride64_b64 v60, v[14:15], v[16:17] offset0:24 offset1:28
	s_wait_loadcnt 0x4
	ds_store_2addr_stride64_b64 v60, v[18:19], v[20:21] offset0:32 offset1:36
	s_wait_loadcnt 0x2
	ds_store_2addr_stride64_b64 v60, v[22:23], v[24:25] offset0:40 offset1:44
	s_wait_loadcnt 0x0
	ds_store_2addr_stride64_b64 v60, v[26:27], v[28:29] offset0:48 offset1:52
	s_wait_dscnt 0x0
	s_barrier_signal -1
	s_barrier_wait -1
	ds_load_b128 v[14:17], v54 offset:16
	ds_load_2addr_b64 v[10:13], v54 offset0:3 offset1:4
	ds_load_b128 v[6:9], v54
	ds_load_2addr_b64 v[2:5], v54 offset0:1 offset1:2
	ds_load_2addr_b64 v[22:25], v54 offset0:7 offset1:8
	;; [unrolled: 1-line block ×5, first 2 shown]
	ds_load_b64 v[34:35], v54 offset:104
	s_cbranch_scc1 .LBB127_73
; %bb.69:
	s_and_not1_b32 vcc_lo, exec_lo, s5
	s_cbranch_vccnz .LBB127_71
; %bb.70:
	s_lshl_b64 s[0:1], s[10:11], 3
	s_delay_alu instid0(SALU_CYCLE_1) | instskip(NEXT) | instid1(SALU_CYCLE_1)
	s_add_nc_u64 s[0:1], s[42:43], s[0:1]
	s_add_nc_u64 s[6:7], s[0:1], -8
	s_mov_b32 s0, 0
	s_branch .LBB127_72
.LBB127_71:
	s_add_nc_u64 s[6:7], s[6:7], -8
	s_mov_b32 s0, -1
.LBB127_72:
	s_delay_alu instid0(SALU_CYCLE_1)
	s_and_not1_b32 vcc_lo, exec_lo, s0
.LBB127_73:
	v_mov_b32_e32 v1, 0
	global_load_b64 v[52:53], v1, s[6:7]
	s_wait_xcnt 0x0
	v_mad_i32_i24 v1, 0xffffff98, v0, v54
	s_wait_dscnt 0x0
	ds_store_b64 v1, v[34:35] offset:28672
	s_wait_loadcnt_dscnt 0x0
	s_barrier_signal -1
	s_barrier_wait -1
	s_and_saveexec_b32 s0, s3
; %bb.74:
	v_mul_i32_i24_e32 v1, 0xffffff98, v0
	s_delay_alu instid0(VALU_DEP_1)
	v_add_nc_u32_e32 v1, v54, v1
	ds_load_b64 v[52:53], v1 offset:28664
; %bb.75:
	s_or_b32 exec_lo, exec_lo, s0
	v_cmp_ne_u64_e32 vcc_lo, v[30:31], v[32:33]
	s_wait_dscnt 0x0
	s_barrier_signal -1
	s_barrier_wait -1
	v_cmp_ne_u64_e64 s13, v[28:29], v[34:35]
	s_mov_b32 s49, -1
	v_cndmask_b32_e64 v1, 0, 1, vcc_lo
	v_cmp_ne_u64_e32 vcc_lo, v[26:27], v[28:29]
	s_delay_alu instid0(VALU_DEP_2) | instskip(SKIP_2) | instid1(VALU_DEP_2)
	v_lshlrev_b16 v1, 8, v1
	v_cndmask_b32_e64 v36, 0, 1, vcc_lo
	v_cmp_ne_u64_e32 vcc_lo, v[24:25], v[30:31]
	v_lshlrev_b16 v31, 8, v36
	v_cndmask_b32_e64 v30, 0, 1, vcc_lo
	v_cmp_ne_u64_e32 vcc_lo, v[32:33], v[26:27]
	v_cndmask_b32_e64 v26, 0, 1, vcc_lo
	v_cmp_ne_u64_e32 vcc_lo, v[22:23], v[24:25]
	;; [unrolled: 2-line block ×3, first 2 shown]
	s_delay_alu instid0(VALU_DEP_2) | instskip(SKIP_2) | instid1(VALU_DEP_2)
	v_lshlrev_b16 v24, 8, v24
	v_cndmask_b32_e64 v22, 0, 1, vcc_lo
	v_cmp_ne_u64_e32 vcc_lo, v[18:19], v[20:21]
	v_or_b32_e32 v96, v22, v24
	v_or_b32_e32 v92, v26, v31
	v_cndmask_b32_e64 v20, 0, 1, vcc_lo
	v_cmp_ne_u64_e32 vcc_lo, v[16:17], v[12:13]
	s_delay_alu instid0(VALU_DEP_2)
	v_lshlrev_b16 v17, 8, v20
	v_dual_lshlrev_b32 v20, 16, v96 :: v_dual_bitop2_b32 v93, v30, v1 bitop3:0x54
	v_lshlrev_b32_e32 v23, 16, v92
	v_cndmask_b32_e64 v16, 0, 1, vcc_lo
	v_cmp_ne_u64_e32 vcc_lo, v[14:15], v[10:11]
	v_and_b32_e32 v1, 0xffff, v1
	s_delay_alu instid0(VALU_DEP_4) | instskip(NEXT) | instid1(VALU_DEP_4)
	v_dual_lshrrev_b32 v95, 24, v20 :: v_dual_lshrrev_b32 v94, 24, v23
	v_lshlrev_b16 v16, 8, v16
	s_delay_alu instid0(VALU_DEP_2) | instskip(SKIP_3) | instid1(VALU_DEP_3)
	v_dual_mov_b32 v101, v96 :: v_dual_mov_b32 v98, v95
	v_cndmask_b32_e64 v10, 0, 1, vcc_lo
	v_cmp_ne_u64_e32 vcc_lo, v[8:9], v[4:5]
	v_and_b32_e32 v5, 0xffff, v17
	v_or_b32_e32 v102, v10, v16
	v_or_b32_e32 v1, v1, v23
	v_cndmask_b32_e64 v4, 0, 1, vcc_lo
	v_cmp_ne_u64_e32 vcc_lo, v[12:13], v[18:19]
	s_delay_alu instid0(VALU_DEP_3) | instskip(NEXT) | instid1(VALU_DEP_3)
	v_dual_lshrrev_b32 v91, 8, v1 :: v_dual_bitop2_b32 v1, v5, v20 bitop3:0x54
	v_lshlrev_b16 v4, 8, v4
	v_lshlrev_b32_e32 v5, 16, v102
	v_cndmask_b32_e64 v8, 0, 1, vcc_lo
	v_cmp_ne_u64_e32 vcc_lo, v[6:7], v[2:3]
	v_mov_b64_e32 v[2:3], s[8:9]
	v_lshrrev_b32_e32 v89, 8, v1
	ds_store_2addr_stride64_b64 v60, v[2:3], v[2:3] offset1:4
	ds_store_2addr_stride64_b64 v60, v[2:3], v[2:3] offset0:8 offset1:12
	ds_store_2addr_stride64_b64 v60, v[2:3], v[2:3] offset0:16 offset1:20
	;; [unrolled: 1-line block ×6, first 2 shown]
	v_or_b32_e32 v97, v8, v17
	v_and_b32_e32 v8, 0xffff, v4
	v_cndmask_b32_e64 v1, 0, 1, vcc_lo
	s_wait_dscnt 0x0
	s_barrier_signal -1
	s_barrier_wait -1
	v_dual_lshrrev_b32 v100, 24, v5 :: v_dual_bitop2_b32 v2, v8, v5 bitop3:0x54
	ds_load_b128 v[36:39], v54 offset:64
	ds_load_b128 v[32:35], v54 offset:80
	v_or_b32_e32 v107, v1, v4
	ds_load_b128 v[44:47], v54 offset:32
	ds_load_b128 v[40:43], v54 offset:48
	v_lshrrev_b32_e32 v90, 8, v2
	ds_load_b128 v[2:5], v54
	ds_load_b128 v[48:51], v54 offset:16
	ds_load_b128 v[18:21], v54 offset:96
	v_cmp_ne_u64_e32 vcc_lo, v[52:53], v[6:7]
	v_dual_mov_b32 v103, v97 :: v_dual_mov_b32 v99, v89
	v_dual_mov_b32 v88, v107 :: v_dual_mov_b32 v108, v90
	;; [unrolled: 1-line block ×3, first 2 shown]
	v_cndmask_b32_e64 v1, 0, 1, vcc_lo
	s_wait_dscnt 0x6
	v_mov_b64_e32 v[26:27], v[38:39]
	s_wait_dscnt 0x5
	v_mov_b64_e32 v[30:31], v[34:35]
	v_mov_b64_e32 v[84:85], v[32:33]
	;; [unrolled: 1-line block ×3, first 2 shown]
	s_wait_dscnt 0x3
	v_mov_b64_e32 v[22:23], v[42:43]
	v_mov_b64_e32 v[24:25], v[40:41]
	;; [unrolled: 1-line block ×4, first 2 shown]
	s_wait_dscnt 0x1
	v_mov_b64_e32 v[12:13], v[48:49]
	v_mov_b64_e32 v[10:11], v[50:51]
	;; [unrolled: 1-line block ×3, first 2 shown]
.LBB127_76:
	v_mov_b64_e32 v[8:9], 0
	v_mov_b32_e32 v61, 0
	s_and_saveexec_b32 s0, s49
	s_cbranch_execz .LBB127_78
; %bb.77:
	v_mov_b64_e32 v[6:7], v[4:5]
	v_mov_b64_e32 v[12:13], v[48:49]
	v_mov_b64_e32 v[10:11], v[50:51]
	v_mov_b64_e32 v[16:17], v[44:45]
	v_mov_b64_e32 v[14:15], v[46:47]
	v_mov_b64_e32 v[24:25], v[40:41]
	v_mov_b64_e32 v[22:23], v[42:43]
	v_mov_b64_e32 v[28:29], v[36:37]
	v_mov_b64_e32 v[26:27], v[38:39]
	v_mov_b64_e32 v[84:85], v[32:33]
	v_mov_b64_e32 v[30:31], v[34:35]
	s_wait_dscnt 0x0
	v_mov_b64_e32 v[8:9], v[20:21]
	v_cndmask_b32_e64 v61, 0, 1, s13
	v_dual_mov_b32 v88, v107 :: v_dual_mov_b32 v108, v90
	v_dual_mov_b32 v105, v102 :: v_dual_mov_b32 v104, v100
	;; [unrolled: 1-line block ×4, first 2 shown]
.LBB127_78:
	s_or_b32 exec_lo, exec_lo, s0
	v_and_b32_e32 v66, 1, v108
	s_delay_alu instid0(VALU_DEP_3) | instskip(NEXT) | instid1(VALU_DEP_3)
	v_dual_lshrrev_b32 v65, 1, v0 :: v_dual_bitop2_b32 v64, 1, v103 bitop3:0x40
	v_and_b32_e32 v63, 1, v98
	v_and_b32_e32 v62, 1, v92
	;; [unrolled: 1-line block ×6, first 2 shown]
	v_cmp_eq_u32_e64 s15, 1, v66
	v_bitop3_b16 v68, v104, 0xff, v105 bitop3:0xc8
	v_and_b32_e32 v74, 0xff, v98
	v_and_b32_e32 v76, 0xff, v101
	;; [unrolled: 1-line block ×4, first 2 shown]
	v_cmp_eq_u32_e64 s16, 1, v64
	v_bitop3_b16 v69, v101, 0xff, v99 bitop3:0xc8
	v_cmp_eq_u32_e64 s17, 1, v63
	v_and_b32_e32 v71, 0xff, v94
	v_and_b32_e32 v72, 0xff, v92
	;; [unrolled: 1-line block ×4, first 2 shown]
	v_bitop3_b16 v70, v91, 0xff, v93 bitop3:0xc8
	v_cmp_eq_u32_e64 s18, 1, v62
	v_cmp_eq_u16_e64 s0, 0, v61
	v_bitop3_b16 v67, v61, 0xff, v94 bitop3:0xc8
	s_cmp_lg_u32 s48, 0
	s_wait_dscnt 0x0
	v_cmp_gt_u32_e32 vcc_lo, 32, v0
	s_barrier_signal -1
	s_barrier_wait -1
	s_cbranch_scc0 .LBB127_128
; %bb.79:
	v_cmp_eq_u16_e64 s1, 0, v82
	v_cmp_eq_u16_e64 s4, 0, v81
	;; [unrolled: 1-line block ×5, first 2 shown]
	v_dual_cndmask_b32 v5, 0, v3, s1 :: v_dual_cndmask_b32 v4, 0, v2, s1
	v_cmp_eq_u16_e64 s8, 0, v77
	v_cmp_eq_u16_e64 s9, 0, v76
	;; [unrolled: 1-line block ×4, first 2 shown]
	v_add_nc_u64_e32 v[4:5], v[4:5], v[6:7]
	v_cmp_eq_u16_e64 s12, 0, v73
	v_cmp_eq_u16_e64 s13, 0, v72
	;; [unrolled: 1-line block ×3, first 2 shown]
	v_cmp_ne_u16_e64 s21, 0, v70
	v_bitop3_b16 v20, v88, 0xff, v1 bitop3:0xc8
	v_cmp_ne_u16_e64 s20, 0, v69
	v_dual_cndmask_b32 v5, 0, v5, s4 :: v_dual_cndmask_b32 v4, 0, v4, s4
	v_cmp_ne_u16_e64 s22, 0, v67
	v_cmp_ne_u16_e64 s19, 0, v68
	s_or_b32 s18, s21, s18
	v_cmp_ne_u16_e64 s23, 0, v20
	v_add_nc_u64_e32 v[4:5], v[4:5], v[12:13]
	s_or_b32 s17, s20, s17
	s_or_b32 s18, s22, s18
	;; [unrolled: 1-line block ×4, first 2 shown]
	v_and_b32_e32 v21, 0x70, v65
	s_or_b32 s15, s23, s15
	v_dual_cndmask_b32 v5, 0, v5, s5 :: v_dual_cndmask_b32 v4, 0, v4, s5
	s_or_b32 s16, s17, s16
	s_delay_alu instid0(VALU_DEP_2) | instskip(SKIP_1) | instid1(VALU_DEP_2)
	v_lshl_add_u32 v20, v0, 4, v21
	s_or_b32 s18, s16, s15
	v_add_nc_u64_e32 v[4:5], v[4:5], v[10:11]
	v_cndmask_b32_e64 v35, 0, 1, s18
	s_delay_alu instid0(VALU_DEP_2) | instskip(NEXT) | instid1(VALU_DEP_1)
	v_dual_cndmask_b32 v5, 0, v5, s6 :: v_dual_cndmask_b32 v4, 0, v4, s6
	v_add_nc_u64_e32 v[4:5], v[4:5], v[16:17]
	s_delay_alu instid0(VALU_DEP_1) | instskip(NEXT) | instid1(VALU_DEP_1)
	v_dual_cndmask_b32 v5, 0, v5, s7 :: v_dual_cndmask_b32 v4, 0, v4, s7
	v_add_nc_u64_e32 v[4:5], v[4:5], v[14:15]
	s_delay_alu instid0(VALU_DEP_1) | instskip(NEXT) | instid1(VALU_DEP_1)
	;; [unrolled: 3-line block ×9, first 2 shown]
	v_dual_cndmask_b32 v5, 0, v5, s0 :: v_dual_cndmask_b32 v4, 0, v4, s0
	v_add_nc_u64_e32 v[4:5], v[4:5], v[8:9]
	ds_store_b64 v20, v[4:5]
	ds_store_b8 v20, v35 offset:8
	s_wait_dscnt 0x0
	s_barrier_signal -1
	s_barrier_wait -1
	s_and_saveexec_b32 s19, vcc_lo
	s_cbranch_execz .LBB127_91
; %bb.80:
	v_dual_lshlrev_b32 v20, 2, v0 :: v_dual_lshlrev_b32 v21, 7, v0
	s_delay_alu instid0(VALU_DEP_1) | instskip(NEXT) | instid1(VALU_DEP_1)
	v_and_b32_e32 v20, 0x3f0, v20
	v_add_nc_u32_e32 v34, v20, v21
	ds_load_u8 v37, v34 offset:24
	ds_load_b64 v[20:21], v34
	ds_load_2addr_b64 v[38:41], v34 offset0:2 offset1:4
	ds_load_u8 v46, v34 offset:40
	ds_load_b32 v36, v34 offset:8
	ds_load_u8 v47, v34 offset:56
	ds_load_u8 v48, v34 offset:72
	;; [unrolled: 1-line block ×4, first 2 shown]
	s_wait_dscnt 0x8
	v_cmp_eq_u16_e64 s15, 0, v37
	s_wait_dscnt 0x7
	s_delay_alu instid0(VALU_DEP_1)
	v_dual_cndmask_b32 v33, 0, v21, s15 :: v_dual_cndmask_b32 v32, 0, v20, s15
	s_wait_dscnt 0x5
	v_cmp_eq_u16_e64 s15, 0, v46
	ds_load_2addr_b64 v[42:45], v34 offset0:6 offset1:8
	s_wait_dscnt 0x4
	v_bitop3_b16 v37, v46, v47, v37 bitop3:0xfe
	v_add_nc_u64_e32 v[32:33], v[32:33], v[38:39]
	s_delay_alu instid0(VALU_DEP_1) | instskip(SKIP_1) | instid1(VALU_DEP_2)
	v_dual_cndmask_b32 v33, 0, v33, s15 :: v_dual_cndmask_b32 v32, 0, v32, s15
	v_cmp_eq_u16_e64 s15, 0, v47
	v_add_nc_u64_e32 v[32:33], v[32:33], v[40:41]
	ds_load_2addr_b64 v[38:41], v34 offset0:10 offset1:12
	ds_load_u8 v51, v34 offset:120
	v_dual_cndmask_b32 v33, 0, v33, s15 :: v_dual_cndmask_b32 v32, 0, v32, s15
	s_wait_dscnt 0x5
	v_cmp_eq_u16_e64 s15, 0, v48
	s_wait_dscnt 0x2
	s_delay_alu instid0(VALU_DEP_2) | instskip(SKIP_1) | instid1(VALU_DEP_2)
	v_add_nc_u64_e32 v[32:33], v[32:33], v[42:43]
	v_bitop3_b16 v42, v49, v50, v48 bitop3:0xfe
	v_dual_cndmask_b32 v33, 0, v33, s15 :: v_dual_cndmask_b32 v32, 0, v32, s15
	v_cmp_eq_u16_e64 s15, 0, v49
	s_wait_dscnt 0x0
	s_delay_alu instid0(VALU_DEP_3) | instskip(SKIP_3) | instid1(VALU_DEP_1)
	v_bitop3_b16 v37, v51, v37, v42 bitop3:0xfe
	ds_load_b64 v[42:43], v34 offset:112
	v_cmp_eq_u16_e64 s17, 0, v51
	v_add_nc_u64_e32 v[32:33], v[32:33], v[44:45]
	v_dual_cndmask_b32 v32, 0, v32, s15 :: v_dual_bitop2_b32 v37, 1, v37 bitop3:0x40
	s_delay_alu instid0(VALU_DEP_2) | instskip(SKIP_1) | instid1(VALU_DEP_3)
	v_cndmask_b32_e64 v33, 0, v33, s15
	v_cmp_eq_u16_e64 s15, 0, v50
	v_cmp_eq_u32_e64 s16, 1, v37
	v_and_b32_e32 v37, 0xffffff00, v36
	s_delay_alu instid0(VALU_DEP_4) | instskip(NEXT) | instid1(VALU_DEP_1)
	v_add_nc_u64_e32 v[32:33], v[32:33], v[38:39]
	v_dual_cndmask_b32 v33, 0, v33, s15 :: v_dual_bitop2_b32 v38, 1, v36 bitop3:0x40
	s_delay_alu instid0(VALU_DEP_2) | instskip(NEXT) | instid1(VALU_DEP_2)
	v_cndmask_b32_e64 v32, 0, v32, s15
	v_cmp_eq_u32_e64 s15, 1, v38
	v_mbcnt_lo_u32_b32 v38, -1, 0
	s_delay_alu instid0(VALU_DEP_3) | instskip(SKIP_1) | instid1(SALU_CYCLE_1)
	v_add_nc_u64_e32 v[32:33], v[32:33], v[40:41]
	s_or_b32 s16, s16, s15
	v_cndmask_b32_e64 v40, 0, 1, s16
	v_cndmask_b32_e64 v39, 0, 1, s16
	s_delay_alu instid0(VALU_DEP_3) | instskip(NEXT) | instid1(VALU_DEP_3)
	v_dual_cndmask_b32 v33, 0, v33, s17 :: v_dual_cndmask_b32 v32, 0, v32, s17
	v_or_b32_e32 v41, v37, v40
	v_and_b32_e32 v40, 15, v38
	s_mov_b32 s17, exec_lo
	s_wait_dscnt 0x0
	v_add_nc_u64_e32 v[32:33], v[32:33], v[42:43]
	v_mov_b32_dpp v43, v41 row_shr:1 row_mask:0xf bank_mask:0xf
	s_delay_alu instid0(VALU_DEP_2) | instskip(NEXT) | instid1(VALU_DEP_3)
	v_mov_b32_dpp v42, v32 row_shr:1 row_mask:0xf bank_mask:0xf
	v_mov_b32_dpp v44, v33 row_shr:1 row_mask:0xf bank_mask:0xf
	v_cmpx_ne_u32_e32 0, v40
; %bb.81:
	s_delay_alu instid0(VALU_DEP_4) | instskip(NEXT) | instid1(VALU_DEP_3)
	v_bitop3_b16 v39, v43, v39, 1 bitop3:0xec
	v_cndmask_b32_e64 v43, v44, 0, s16
	v_cndmask_b32_e64 v42, v42, 0, s16
	s_delay_alu instid0(VALU_DEP_3) | instskip(NEXT) | instid1(VALU_DEP_2)
	v_and_b32_e32 v41, 0xffff, v39
	v_add_nc_u64_e32 v[32:33], v[42:43], v[32:33]
	s_delay_alu instid0(VALU_DEP_2)
	v_or_b32_e32 v41, v37, v41
; %bb.82:
	s_or_b32 exec_lo, exec_lo, s17
	s_delay_alu instid0(VALU_DEP_2) | instskip(NEXT) | instid1(VALU_DEP_3)
	v_mov_b32_dpp v42, v32 row_shr:2 row_mask:0xf bank_mask:0xf
	v_mov_b32_dpp v43, v33 row_shr:2 row_mask:0xf bank_mask:0xf
	s_delay_alu instid0(VALU_DEP_3)
	v_mov_b32_dpp v44, v41 row_shr:2 row_mask:0xf bank_mask:0xf
	s_mov_b32 s20, exec_lo
	v_cmpx_lt_u32_e32 1, v40
	s_cbranch_execz .LBB127_84
; %bb.83:
	v_cmp_eq_u16_e64 s15, 0, v39
	v_and_b32_e32 v41, 1, v39
	s_delay_alu instid0(VALU_DEP_2) | instskip(SKIP_1) | instid1(VALU_DEP_3)
	v_dual_cndmask_b32 v43, 0, v43, s15 :: v_dual_bitop2_b32 v44, 1, v44 bitop3:0x40
	v_cndmask_b32_e64 v42, 0, v42, s15
	v_cmp_eq_u32_e64 s16, 1, v41
	s_delay_alu instid0(VALU_DEP_3) | instskip(NEXT) | instid1(VALU_DEP_3)
	v_cmp_eq_u32_e64 s17, 1, v44
	v_add_nc_u64_e32 v[32:33], v[42:43], v[32:33]
	s_or_b32 s15, s16, s17
	s_delay_alu instid0(SALU_CYCLE_1) | instskip(SKIP_1) | instid1(VALU_DEP_2)
	v_cndmask_b32_e64 v41, 0, 1, s15
	v_cndmask_b32_e64 v39, 0, 1, s15
	v_or_b32_e32 v41, v37, v41
.LBB127_84:
	s_or_b32 exec_lo, exec_lo, s20
	s_delay_alu instid0(VALU_DEP_4) | instskip(SKIP_1) | instid1(VALU_DEP_3)
	v_mov_b32_dpp v42, v32 row_shr:4 row_mask:0xf bank_mask:0xf
	v_mov_b32_dpp v43, v33 row_shr:4 row_mask:0xf bank_mask:0xf
	;; [unrolled: 1-line block ×3, first 2 shown]
	s_mov_b32 s20, exec_lo
	v_cmpx_lt_u32_e32 3, v40
	s_cbranch_execz .LBB127_86
; %bb.85:
	v_cmp_eq_u16_e64 s15, 0, v39
	v_and_b32_e32 v41, 1, v39
	s_delay_alu instid0(VALU_DEP_2) | instskip(SKIP_1) | instid1(VALU_DEP_3)
	v_dual_cndmask_b32 v43, 0, v43, s15 :: v_dual_bitop2_b32 v44, 1, v44 bitop3:0x40
	v_cndmask_b32_e64 v42, 0, v42, s15
	v_cmp_eq_u32_e64 s16, 1, v41
	s_delay_alu instid0(VALU_DEP_3) | instskip(NEXT) | instid1(VALU_DEP_3)
	v_cmp_eq_u32_e64 s17, 1, v44
	v_add_nc_u64_e32 v[32:33], v[42:43], v[32:33]
	s_or_b32 s15, s16, s17
	s_delay_alu instid0(SALU_CYCLE_1) | instskip(SKIP_1) | instid1(VALU_DEP_2)
	v_cndmask_b32_e64 v41, 0, 1, s15
	v_cndmask_b32_e64 v39, 0, 1, s15
	v_or_b32_e32 v41, v37, v41
.LBB127_86:
	s_or_b32 exec_lo, exec_lo, s20
	s_delay_alu instid0(VALU_DEP_4) | instskip(SKIP_1) | instid1(VALU_DEP_3)
	v_mov_b32_dpp v42, v32 row_shr:8 row_mask:0xf bank_mask:0xf
	v_mov_b32_dpp v43, v33 row_shr:8 row_mask:0xf bank_mask:0xf
	;; [unrolled: 1-line block ×3, first 2 shown]
	s_mov_b32 s20, exec_lo
	v_cmpx_lt_u32_e32 7, v40
	s_cbranch_execz .LBB127_88
; %bb.87:
	v_and_b32_e32 v40, 1, v39
	v_cmp_eq_u16_e64 s15, 0, v39
	v_and_b32_e32 v41, 1, v44
	s_delay_alu instid0(VALU_DEP_3) | instskip(NEXT) | instid1(VALU_DEP_3)
	v_cmp_eq_u32_e64 s16, 1, v40
	v_cndmask_b32_e64 v40, 0, v42, s15
	s_delay_alu instid0(VALU_DEP_3) | instskip(SKIP_2) | instid1(VALU_DEP_1)
	v_cmp_eq_u32_e64 s17, 1, v41
	v_cndmask_b32_e64 v41, 0, v43, s15
	s_or_b32 s15, s16, s17
	v_add_nc_u64_e32 v[32:33], v[40:41], v[32:33]
	v_cndmask_b32_e64 v42, 0, 1, s15
	v_cndmask_b32_e64 v39, 0, 1, s15
	s_delay_alu instid0(VALU_DEP_2)
	v_or_b32_e32 v41, v37, v42
.LBB127_88:
	s_or_b32 exec_lo, exec_lo, s20
	ds_swizzle_b32 v40, v32 offset:swizzle(BROADCAST,32,15)
	ds_swizzle_b32 v42, v33 offset:swizzle(BROADCAST,32,15)
	;; [unrolled: 1-line block ×3, first 2 shown]
	v_and_b32_e32 v43, 16, v38
	s_mov_b32 s17, exec_lo
	s_delay_alu instid0(VALU_DEP_1)
	v_cmpx_ne_u32_e32 0, v43
	s_cbranch_execz .LBB127_90
; %bb.89:
	v_cmp_eq_u16_e64 s15, 0, v39
	v_and_b32_e32 v39, 1, v39
	s_wait_dscnt 0x0
	s_delay_alu instid0(VALU_DEP_2) | instskip(SKIP_1) | instid1(VALU_DEP_3)
	v_dual_cndmask_b32 v40, 0, v40, s15 :: v_dual_bitop2_b32 v43, 1, v41 bitop3:0x40
	v_cndmask_b32_e64 v41, 0, v42, s15
	v_cmp_eq_u32_e64 s15, 1, v39
	s_delay_alu instid0(VALU_DEP_3) | instskip(NEXT) | instid1(VALU_DEP_3)
	v_cmp_eq_u32_e64 s16, 1, v43
	v_add_nc_u64_e32 v[32:33], v[40:41], v[32:33]
	s_or_b32 s15, s15, s16
	s_delay_alu instid0(SALU_CYCLE_1)
	v_cndmask_b32_e64 v39, 0, 1, s15
.LBB127_90:
	s_or_b32 exec_lo, exec_lo, s17
	s_wait_dscnt 0x2
	v_add_nc_u32_e32 v40, -1, v38
	s_delay_alu instid0(VALU_DEP_2) | instskip(NEXT) | instid1(VALU_DEP_2)
	v_and_b32_e32 v39, 0xffff, v39
	; wave barrier
	v_cmp_gt_i32_e64 s15, 0, v40
	s_delay_alu instid0(VALU_DEP_1) | instskip(NEXT) | instid1(VALU_DEP_1)
	v_dual_cndmask_b32 v38, v40, v38, s15 :: v_dual_bitop2_b32 v37, v37, v39 bitop3:0x54
	v_lshlrev_b32_e32 v38, 2, v38
	ds_bpermute_b32 v33, v38, v33
	ds_bpermute_b32 v32, v38, v32
	;; [unrolled: 1-line block ×3, first 2 shown]
	v_and_b32_e32 v38, 0xff, v36
	s_delay_alu instid0(VALU_DEP_1) | instskip(SKIP_1) | instid1(VALU_DEP_1)
	v_cmp_eq_u32_e64 s15, 0, v38
	s_wait_dscnt 0x1
	v_dual_cndmask_b32 v33, 0, v33, s15 :: v_dual_cndmask_b32 v32, 0, v32, s15
	s_wait_dscnt 0x0
	v_or_b32_e32 v36, v37, v36
	s_delay_alu instid0(VALU_DEP_2) | instskip(NEXT) | instid1(VALU_DEP_1)
	v_add_nc_u64_e32 v[20:21], v[32:33], v[20:21]
	v_dual_cndmask_b32 v21, v21, v5, s2 :: v_dual_bitop2_b32 v32, 1, v36 bitop3:0x40
	s_delay_alu instid0(VALU_DEP_2) | instskip(NEXT) | instid1(VALU_DEP_2)
	v_cndmask_b32_e64 v20, v20, v4, s2
	v_cndmask_b32_e64 v35, v32, v35, s2
	ds_store_b64 v34, v[20:21]
	ds_store_b8 v34, v35 offset:8
	; wave barrier
	ds_load_u8 v48, v34 offset:24
	ds_load_2addr_b64 v[36:39], v34 offset0:2 offset1:4
	ds_load_u8 v49, v34 offset:40
	ds_load_u8 v50, v34 offset:56
	;; [unrolled: 1-line block ×5, first 2 shown]
	ds_load_b64 v[32:33], v34 offset:112
	ds_load_u8 v54, v34 offset:120
	s_wait_dscnt 0x8
	v_and_b32_e32 v40, 0xff, v48
	v_bitop3_b16 v56, v48, 1, v35 bitop3:0xc8
	s_wait_dscnt 0x5
	v_and_b32_e32 v46, 0xff, v50
	s_delay_alu instid0(VALU_DEP_3) | instskip(SKIP_3) | instid1(VALU_DEP_3)
	v_cmp_eq_u16_e64 s15, 0, v40
	v_and_b32_e32 v40, 0xff, v49
	s_wait_dscnt 0x3
	v_and_b32_e32 v55, 0xff, v52
	v_dual_cndmask_b32 v21, 0, v21, s15 :: v_dual_cndmask_b32 v20, 0, v20, s15
	s_delay_alu instid0(VALU_DEP_3) | instskip(SKIP_2) | instid1(VALU_DEP_1)
	v_cmp_eq_u16_e64 s15, 0, v40
	ds_load_2addr_b64 v[40:43], v34 offset0:6 offset1:8
	v_add_nc_u64_e32 v[20:21], v[20:21], v[36:37]
	v_dual_cndmask_b32 v37, 0, v21, s15 :: v_dual_cndmask_b32 v36, 0, v20, s15
	v_cmp_eq_u16_e64 s15, 0, v46
	s_delay_alu instid0(VALU_DEP_2) | instskip(SKIP_1) | instid1(VALU_DEP_2)
	v_add_nc_u64_e32 v[44:45], v[36:37], v[38:39]
	v_and_b32_e32 v38, 0xff, v51
	v_dual_cndmask_b32 v37, 0, v45, s15 :: v_dual_cndmask_b32 v36, 0, v44, s15
	s_delay_alu instid0(VALU_DEP_2) | instskip(SKIP_1) | instid1(VALU_DEP_2)
	v_cmp_eq_u16_e64 s15, 0, v38
	s_wait_dscnt 0x0
	v_add_nc_u64_e32 v[40:41], v[36:37], v[40:41]
	ds_load_2addr_b64 v[36:39], v34 offset0:10 offset1:12
	v_dual_cndmask_b32 v47, 0, v41, s15 :: v_dual_cndmask_b32 v46, 0, v40, s15
	v_cmp_eq_u16_e64 s15, 0, v55
	v_and_b32_e32 v55, 0xff, v53
	s_delay_alu instid0(VALU_DEP_3) | instskip(NEXT) | instid1(VALU_DEP_1)
	v_add_nc_u64_e32 v[42:43], v[46:47], v[42:43]
	v_dual_cndmask_b32 v47, 0, v43, s15 :: v_dual_cndmask_b32 v46, 0, v42, s15
	s_delay_alu instid0(VALU_DEP_3) | instskip(SKIP_4) | instid1(VALU_DEP_3)
	v_cmp_eq_u16_e64 s15, 0, v55
	v_or_b32_e32 v55, v48, v35
	v_bitop3_b16 v35, v49, v48, v35 bitop3:0xfe
	s_wait_dscnt 0x0
	v_add_nc_u64_e32 v[36:37], v[46:47], v[36:37]
	v_bitop3_b16 v48, v50, v49, v55 bitop3:0xfe
	v_bitop3_b16 v49, v49, 1, v55 bitop3:0xc8
	;; [unrolled: 1-line block ×4, first 2 shown]
	v_dual_cndmask_b32 v47, 0, v37, s15 :: v_dual_cndmask_b32 v46, 0, v36, s15
	v_cmp_eq_u16_e64 s15, 0, v54
	s_delay_alu instid0(VALU_DEP_3) | instskip(SKIP_1) | instid1(VALU_DEP_4)
	v_bitop3_b16 v50, v53, v52, v35 bitop3:0xfe
	v_bitop3_b16 v35, v52, 1, v35 bitop3:0xc8
	v_add_nc_u64_e32 v[38:39], v[46:47], v[38:39]
	v_bitop3_b16 v46, v52, v51, v48 bitop3:0xfe
	v_bitop3_b16 v48, v51, 1, v48 bitop3:0xc8
	ds_store_2addr_b64 v34, v[20:21], v[44:45] offset0:2 offset1:4
	ds_store_2addr_b64 v34, v[40:41], v[42:43] offset0:6 offset1:8
	;; [unrolled: 1-line block ×3, first 2 shown]
	v_bitop3_b16 v51, v53, 1, v46 bitop3:0xc8
	v_dual_cndmask_b32 v47, 0, v39, s15 :: v_dual_cndmask_b32 v46, 0, v38, s15
	v_bitop3_b16 v50, v54, 1, v50 bitop3:0xc8
	s_delay_alu instid0(VALU_DEP_2)
	v_add_nc_u64_e32 v[20:21], v[46:47], v[32:33]
	ds_store_b8 v34, v56 offset:24
	ds_store_b8 v34, v49 offset:40
	;; [unrolled: 1-line block ×6, first 2 shown]
	ds_store_b64 v34, v[20:21] offset:112
	ds_store_b8 v34, v50 offset:120
.LBB127_91:
	s_or_b32 exec_lo, exec_lo, s19
	s_wait_dscnt 0x0
	s_barrier_signal -1
	s_barrier_wait -1
	s_and_saveexec_b32 s16, s3
	s_cbranch_execz .LBB127_93
; %bb.92:
	v_add_nc_u32_e32 v4, -1, v0
	s_and_not1_b32 s17, s18, exec_lo
	s_delay_alu instid0(VALU_DEP_1) | instskip(NEXT) | instid1(VALU_DEP_1)
	v_lshrrev_b32_e32 v5, 1, v4
	v_and_b32_e32 v5, 0x7ffffff0, v5
	s_delay_alu instid0(VALU_DEP_1) | instskip(SKIP_4) | instid1(VALU_DEP_1)
	v_lshl_add_u32 v4, v4, 4, v5
	ds_load_u8 v20, v4 offset:8
	ds_load_b64 v[4:5], v4
	s_wait_dscnt 0x1
	v_and_b32_e32 v20, 1, v20
	v_cmp_eq_u32_e64 s15, 1, v20
	s_and_b32 s15, s15, exec_lo
	s_delay_alu instid0(SALU_CYCLE_1)
	s_or_b32 s18, s17, s15
.LBB127_93:
	s_or_b32 exec_lo, exec_lo, s16
	s_and_saveexec_b32 s19, vcc_lo
	s_cbranch_execz .LBB127_181
; %bb.94:
	v_mov_b32_e32 v35, 0
	v_mbcnt_lo_u32_b32 v39, -1, 0
	s_mov_b32 s17, 0
	ds_load_b64 v[20:21], v35 offset:4192
	ds_load_u8 v38, v35 offset:4200
	v_cmp_eq_u32_e64 s15, 0, v39
	s_and_saveexec_b32 s20, s15
	s_cbranch_execz .LBB127_96
; %bb.95:
	s_add_co_i32 s16, s48, 32
	s_delay_alu instid0(SALU_CYCLE_1) | instskip(SKIP_1) | instid1(SALU_CYCLE_1)
	v_dual_mov_b32 v32, 1 :: v_dual_mov_b32 v33, s16
	s_lshl_b64 s[22:23], s[16:17], 4
	s_add_nc_u64 s[16:17], s[24:25], s[22:23]
	s_wait_dscnt 0x1
	global_store_b64 v35, v[20:21], s[16:17]
	s_wait_dscnt 0x0
	global_store_b8 v35, v38, s[16:17] offset:8
	global_wb scope:SCOPE_DEV
	s_wait_storecnt 0x0
	global_inv scope:SCOPE_DEV
	s_wait_xcnt 0x0
	global_store_b8 v33, v32, s[28:29] scope:SCOPE_DEV
.LBB127_96:
	s_wait_xcnt 0x0
	s_or_b32 exec_lo, exec_lo, s20
	v_xad_u32 v32, v39, -1, s48
	s_mov_b32 s16, exec_lo
	s_delay_alu instid0(VALU_DEP_1)
	v_add_nc_u32_e32 v34, 32, v32
	global_load_u8 v40, v34, s[28:29] scope:SCOPE_DEV
	s_wait_loadcnt 0x0
	v_cmpx_eq_u16_e32 0, v40
	s_cbranch_execz .LBB127_100
; %bb.97:
	v_add_nc_u64_e32 v[36:37], s[28:29], v[34:35]
	s_mov_b32 s17, 0
.LBB127_98:                             ; =>This Inner Loop Header: Depth=1
	global_load_u8 v40, v[36:37], off scope:SCOPE_DEV
	s_wait_loadcnt 0x0
	v_cmp_ne_u16_e32 vcc_lo, 0, v40
	s_or_b32 s17, vcc_lo, s17
	s_wait_xcnt 0x0
	s_and_not1_b32 exec_lo, exec_lo, s17
	s_cbranch_execnz .LBB127_98
; %bb.99:
	s_or_b32 exec_lo, exec_lo, s17
.LBB127_100:
	s_delay_alu instid0(SALU_CYCLE_1)
	s_or_b32 exec_lo, exec_lo, s16
	v_dual_mov_b32 v33, s25 :: v_dual_mov_b32 v36, s24
	v_cmp_eq_u16_e32 vcc_lo, 1, v40
	global_wb scope:SCOPE_DEV
	s_wait_storecnt_dscnt 0x0
	global_inv scope:SCOPE_DEV
	v_lshlrev_b32_e64 v42, v39, -1
	s_mov_b32 s16, exec_lo
	v_cndmask_b32_e32 v37, s27, v33, vcc_lo
	v_cndmask_b32_e32 v36, s26, v36, vcc_lo
	v_cmp_ne_u32_e32 vcc_lo, 31, v39
	v_add_co_ci_u32_e64 v33, null, 0, v39, vcc_lo
	v_cmp_eq_u16_e32 vcc_lo, 2, v40
	s_delay_alu instid0(VALU_DEP_2)
	v_lshlrev_b32_e32 v41, 2, v33
	v_lshl_add_u64 v[34:35], v[34:35], 4, v[36:37]
	s_clause 0x1
	global_load_u8 v52, v[34:35], off offset:8
	global_load_b64 v[36:37], v[34:35], off
	v_and_or_b32 v33, vcc_lo, v42, 0x80000000
	s_delay_alu instid0(VALU_DEP_1)
	v_ctz_i32_b32_e32 v33, v33
	s_wait_loadcnt 0x1
	s_wait_xcnt 0x0
	v_and_b32_e32 v34, 1, v52
	s_wait_loadcnt 0x0
	ds_bpermute_b32 v43, v41, v36
	ds_bpermute_b32 v44, v41, v37
	ds_bpermute_b32 v35, v41, v34
	v_cmpx_lt_u32_e64 v39, v33
	s_cbranch_execz .LBB127_102
; %bb.101:
	v_and_b32_e32 v34, 0xff, v52
	s_wait_dscnt 0x0
	v_bitop3_b16 v52, v35, v52, 1 bitop3:0xec
	s_delay_alu instid0(VALU_DEP_2) | instskip(NEXT) | instid1(VALU_DEP_2)
	v_cmp_eq_u16_e32 vcc_lo, 0, v34
	v_and_b32_e32 v34, 0xff, v52
	v_dual_cndmask_b32 v45, 0, v44 :: v_dual_cndmask_b32 v44, 0, v43
	s_delay_alu instid0(VALU_DEP_1)
	v_add_nc_u64_e32 v[36:37], v[44:45], v[36:37]
.LBB127_102:
	s_or_b32 exec_lo, exec_lo, s16
	v_cmp_gt_u32_e32 vcc_lo, 30, v39
	s_wait_dscnt 0x1
	v_add_nc_u32_e32 v44, 2, v39
	s_mov_b32 s17, exec_lo
	s_wait_dscnt 0x0
	v_cndmask_b32_e64 v35, 0, 2, vcc_lo
	s_delay_alu instid0(VALU_DEP_1)
	v_add_lshl_u32 v43, v35, v39, 2
	ds_bpermute_b32 v35, v43, v36
	ds_bpermute_b32 v45, v43, v37
	;; [unrolled: 1-line block ×3, first 2 shown]
	v_cmpx_le_u32_e64 v44, v33
	s_cbranch_execz .LBB127_104
; %bb.103:
	v_and_b32_e32 v34, 0xff, v52
	s_delay_alu instid0(VALU_DEP_1) | instskip(SKIP_4) | instid1(VALU_DEP_3)
	v_cmp_eq_u16_e32 vcc_lo, 0, v34
	v_and_b32_e32 v48, 1, v52
	s_wait_dscnt 0x0
	v_dual_cndmask_b32 v46, 0, v35, vcc_lo :: v_dual_bitop2_b32 v34, 1, v46 bitop3:0x40
	v_cndmask_b32_e32 v47, 0, v45, vcc_lo
	v_cmp_eq_u32_e64 s16, 1, v48
	s_delay_alu instid0(VALU_DEP_3) | instskip(NEXT) | instid1(VALU_DEP_3)
	v_cmp_eq_u32_e32 vcc_lo, 1, v34
	v_add_nc_u64_e32 v[36:37], v[46:47], v[36:37]
	s_or_b32 s16, s16, vcc_lo
	s_delay_alu instid0(SALU_CYCLE_1)
	v_cndmask_b32_e64 v52, 0, 1, s16
	v_cndmask_b32_e64 v34, 0, 1, s16
.LBB127_104:
	s_or_b32 exec_lo, exec_lo, s17
	v_cmp_gt_u32_e32 vcc_lo, 28, v39
	s_wait_dscnt 0x0
	v_add_nc_u32_e32 v46, 4, v39
	s_mov_b32 s17, exec_lo
	v_cndmask_b32_e64 v35, 0, 4, vcc_lo
	s_delay_alu instid0(VALU_DEP_1)
	v_add_lshl_u32 v45, v35, v39, 2
	ds_bpermute_b32 v35, v45, v36
	ds_bpermute_b32 v47, v45, v37
	ds_bpermute_b32 v48, v45, v34
	v_cmpx_le_u32_e64 v46, v33
	s_cbranch_execz .LBB127_106
; %bb.105:
	v_and_b32_e32 v34, 0xff, v52
	s_delay_alu instid0(VALU_DEP_1) | instskip(SKIP_4) | instid1(VALU_DEP_3)
	v_cmp_eq_u16_e32 vcc_lo, 0, v34
	v_and_b32_e32 v50, 1, v52
	s_wait_dscnt 0x0
	v_dual_cndmask_b32 v48, 0, v35, vcc_lo :: v_dual_bitop2_b32 v34, 1, v48 bitop3:0x40
	v_cndmask_b32_e32 v49, 0, v47, vcc_lo
	v_cmp_eq_u32_e64 s16, 1, v50
	s_delay_alu instid0(VALU_DEP_3) | instskip(NEXT) | instid1(VALU_DEP_3)
	v_cmp_eq_u32_e32 vcc_lo, 1, v34
	v_add_nc_u64_e32 v[36:37], v[48:49], v[36:37]
	s_or_b32 s16, s16, vcc_lo
	s_delay_alu instid0(SALU_CYCLE_1)
	v_cndmask_b32_e64 v52, 0, 1, s16
	v_cndmask_b32_e64 v34, 0, 1, s16
.LBB127_106:
	s_or_b32 exec_lo, exec_lo, s17
	v_cmp_gt_u32_e32 vcc_lo, 24, v39
	s_wait_dscnt 0x0
	v_add_nc_u32_e32 v48, 8, v39
	s_mov_b32 s17, exec_lo
	v_cndmask_b32_e64 v35, 0, 8, vcc_lo
	s_delay_alu instid0(VALU_DEP_1)
	v_add_lshl_u32 v47, v35, v39, 2
	ds_bpermute_b32 v35, v47, v36
	ds_bpermute_b32 v49, v47, v37
	ds_bpermute_b32 v50, v47, v34
	v_cmpx_le_u32_e64 v48, v33
	s_cbranch_execz .LBB127_108
; %bb.107:
	v_and_b32_e32 v34, 0xff, v52
	s_delay_alu instid0(VALU_DEP_1) | instskip(SKIP_4) | instid1(VALU_DEP_3)
	v_cmp_eq_u16_e32 vcc_lo, 0, v34
	v_and_b32_e32 v52, 1, v52
	s_wait_dscnt 0x0
	v_dual_cndmask_b32 v50, 0, v35, vcc_lo :: v_dual_bitop2_b32 v34, 1, v50 bitop3:0x40
	v_cndmask_b32_e32 v51, 0, v49, vcc_lo
	v_cmp_eq_u32_e64 s16, 1, v52
	s_delay_alu instid0(VALU_DEP_3) | instskip(NEXT) | instid1(VALU_DEP_3)
	v_cmp_eq_u32_e32 vcc_lo, 1, v34
	v_add_nc_u64_e32 v[36:37], v[50:51], v[36:37]
	s_or_b32 s16, s16, vcc_lo
	s_delay_alu instid0(SALU_CYCLE_1)
	v_cndmask_b32_e64 v52, 0, 1, s16
	v_cndmask_b32_e64 v34, 0, 1, s16
.LBB127_108:
	s_or_b32 exec_lo, exec_lo, s17
	s_wait_dscnt 0x1
	v_lshl_or_b32 v49, v39, 2, 64
	v_add_nc_u32_e32 v51, 16, v39
	s_mov_b32 s17, exec_lo
	ds_bpermute_b32 v35, v49, v36
	s_wait_dscnt 0x1
	ds_bpermute_b32 v50, v49, v37
	ds_bpermute_b32 v34, v49, v34
	v_cmpx_le_u32_e64 v51, v33
	s_cbranch_execz .LBB127_110
; %bb.109:
	v_and_b32_e32 v33, 0xff, v52
	s_delay_alu instid0(VALU_DEP_1) | instskip(SKIP_4) | instid1(VALU_DEP_3)
	v_cmp_eq_u16_e32 vcc_lo, 0, v33
	v_and_b32_e32 v33, 1, v52
	s_wait_dscnt 0x0
	v_dual_cndmask_b32 v52, 0, v35, vcc_lo :: v_dual_bitop2_b32 v34, 1, v34 bitop3:0x40
	v_cndmask_b32_e32 v53, 0, v50, vcc_lo
	v_cmp_eq_u32_e32 vcc_lo, 1, v33
	s_delay_alu instid0(VALU_DEP_3) | instskip(NEXT) | instid1(VALU_DEP_3)
	v_cmp_eq_u32_e64 s16, 1, v34
	v_add_nc_u64_e32 v[36:37], v[52:53], v[36:37]
	s_or_b32 s16, vcc_lo, s16
	s_delay_alu instid0(SALU_CYCLE_1)
	v_cndmask_b32_e64 v52, 0, 1, s16
.LBB127_110:
	s_or_b32 exec_lo, exec_lo, s17
	v_mov_b32_e32 v33, 0
	s_branch .LBB127_113
.LBB127_111:                            ;   in Loop: Header=BB127_113 Depth=1
	s_or_b32 exec_lo, exec_lo, s20
	v_and_b32_e32 v52, 0xff, v50
	v_subrev_nc_u32_e32 v32, 32, v32
	s_delay_alu instid0(VALU_DEP_2) | instskip(SKIP_2) | instid1(VALU_DEP_2)
	v_cmp_eq_u16_e32 vcc_lo, 0, v52
	v_dual_cndmask_b32 v37, 0, v37, vcc_lo :: v_dual_bitop2_b32 v52, 1, v50 bitop3:0x40
	v_cndmask_b32_e32 v36, 0, v36, vcc_lo
	v_cmp_eq_u32_e32 vcc_lo, 1, v52
	s_delay_alu instid0(VALU_DEP_2) | instskip(SKIP_1) | instid1(SALU_CYCLE_1)
	v_add_nc_u64_e32 v[36:37], v[36:37], v[34:35]
	s_or_b32 s16, vcc_lo, s17
	v_cndmask_b32_e64 v52, 0, 1, s16
	s_mov_b32 s16, 0
.LBB127_112:                            ;   in Loop: Header=BB127_113 Depth=1
	s_delay_alu instid0(SALU_CYCLE_1)
	s_and_b32 vcc_lo, exec_lo, s16
	s_cbranch_vccnz .LBB127_177
.LBB127_113:                            ; =>This Loop Header: Depth=1
                                        ;     Child Loop BB127_116 Depth 2
	s_wait_dscnt 0x0
	v_and_b32_e32 v34, 0xff, v40
	v_mov_b32_e32 v50, v52
	s_mov_b32 s16, -1
                                        ; implicit-def: $vgpr52
                                        ; implicit-def: $vgpr40
	s_delay_alu instid0(VALU_DEP_2)
	v_cmp_ne_u16_e32 vcc_lo, 2, v34
	v_mov_b64_e32 v[34:35], v[36:37]
                                        ; implicit-def: $vgpr36_vgpr37
	s_cmp_lg_u32 vcc_lo, exec_lo
	s_cbranch_scc1 .LBB127_112
; %bb.114:                              ;   in Loop: Header=BB127_113 Depth=1
	global_load_u8 v40, v32, s[28:29] scope:SCOPE_DEV
	s_mov_b32 s16, exec_lo
	s_wait_loadcnt 0x0
	v_cmpx_eq_u16_e32 0, v40
	s_cbranch_execz .LBB127_118
; %bb.115:                              ;   in Loop: Header=BB127_113 Depth=1
	v_add_nc_u64_e32 v[36:37], s[28:29], v[32:33]
	s_mov_b32 s17, 0
.LBB127_116:                            ;   Parent Loop BB127_113 Depth=1
                                        ; =>  This Inner Loop Header: Depth=2
	global_load_u8 v40, v[36:37], off scope:SCOPE_DEV
	s_wait_loadcnt 0x0
	v_cmp_ne_u16_e32 vcc_lo, 0, v40
	s_or_b32 s17, vcc_lo, s17
	s_delay_alu instid0(SALU_CYCLE_1)
	s_and_not1_b32 exec_lo, exec_lo, s17
	s_cbranch_execnz .LBB127_116
; %bb.117:                              ;   in Loop: Header=BB127_113 Depth=1
	s_or_b32 exec_lo, exec_lo, s17
.LBB127_118:                            ;   in Loop: Header=BB127_113 Depth=1
	s_delay_alu instid0(SALU_CYCLE_1)
	s_or_b32 exec_lo, exec_lo, s16
	v_dual_mov_b32 v36, s25 :: v_dual_mov_b32 v52, s24
	v_cmp_eq_u16_e32 vcc_lo, 1, v40
	global_wb scope:SCOPE_DEV
	s_wait_storecnt 0x0
	global_inv scope:SCOPE_DEV
	s_mov_b32 s16, exec_lo
	v_cndmask_b32_e32 v37, s27, v36, vcc_lo
	v_cndmask_b32_e32 v36, s26, v52, vcc_lo
	v_cmp_eq_u16_e32 vcc_lo, 2, v40
	s_delay_alu instid0(VALU_DEP_2)
	v_lshl_add_u64 v[54:55], v[32:33], 4, v[36:37]
	v_and_or_b32 v52, vcc_lo, v42, 0x80000000
	s_clause 0x1
	global_load_u8 v53, v[54:55], off offset:8
	global_load_b64 v[36:37], v[54:55], off
	v_ctz_i32_b32_e32 v52, v52
	s_wait_loadcnt 0x1
	s_wait_xcnt 0x0
	v_and_b32_e32 v54, 1, v53
	s_wait_loadcnt 0x0
	ds_bpermute_b32 v56, v41, v36
	ds_bpermute_b32 v57, v41, v37
	;; [unrolled: 1-line block ×3, first 2 shown]
	v_cmpx_lt_u32_e64 v39, v52
	s_cbranch_execz .LBB127_120
; %bb.119:                              ;   in Loop: Header=BB127_113 Depth=1
	v_and_b32_e32 v54, 0xff, v53
	s_wait_dscnt 0x0
	v_bitop3_b16 v53, v55, v53, 1 bitop3:0xec
	s_delay_alu instid0(VALU_DEP_2) | instskip(NEXT) | instid1(VALU_DEP_2)
	v_cmp_eq_u16_e32 vcc_lo, 0, v54
	v_and_b32_e32 v54, 0xff, v53
	v_dual_cndmask_b32 v57, 0, v57 :: v_dual_cndmask_b32 v56, 0, v56
	s_delay_alu instid0(VALU_DEP_1)
	v_add_nc_u64_e32 v[36:37], v[56:57], v[36:37]
.LBB127_120:                            ;   in Loop: Header=BB127_113 Depth=1
	s_or_b32 exec_lo, exec_lo, s16
	s_wait_dscnt 0x0
	ds_bpermute_b32 v55, v43, v36
	ds_bpermute_b32 v56, v43, v37
	;; [unrolled: 1-line block ×3, first 2 shown]
	v_and_b32_e32 v58, 1, v53
	s_mov_b32 s16, exec_lo
	s_delay_alu instid0(VALU_DEP_1)
	v_cmp_eq_u32_e64 s17, 1, v58
	v_cmpx_le_u32_e64 v44, v52
	s_cbranch_execz .LBB127_122
; %bb.121:                              ;   in Loop: Header=BB127_113 Depth=1
	v_and_b32_e32 v53, 0xff, v53
	s_delay_alu instid0(VALU_DEP_1) | instskip(SKIP_3) | instid1(VALU_DEP_2)
	v_cmp_eq_u16_e32 vcc_lo, 0, v53
	s_wait_dscnt 0x0
	v_dual_cndmask_b32 v57, 0, v56, vcc_lo :: v_dual_bitop2_b32 v53, 1, v57 bitop3:0x40
	v_cndmask_b32_e32 v56, 0, v55, vcc_lo
	v_cmp_eq_u32_e32 vcc_lo, 1, v53
	s_delay_alu instid0(VALU_DEP_2)
	v_add_nc_u64_e32 v[36:37], v[56:57], v[36:37]
	s_or_b32 s20, s17, vcc_lo
	s_and_not1_b32 s17, s17, exec_lo
	v_cndmask_b32_e64 v53, 0, 1, s20
	v_cndmask_b32_e64 v54, 0, 1, s20
	s_and_b32 s20, s20, exec_lo
	s_delay_alu instid0(SALU_CYCLE_1)
	s_or_b32 s17, s17, s20
.LBB127_122:                            ;   in Loop: Header=BB127_113 Depth=1
	s_or_b32 exec_lo, exec_lo, s16
	s_wait_dscnt 0x2
	ds_bpermute_b32 v55, v45, v36
	s_wait_dscnt 0x2
	ds_bpermute_b32 v56, v45, v37
	;; [unrolled: 2-line block ×3, first 2 shown]
	s_mov_b32 s20, exec_lo
	v_cmpx_le_u32_e64 v46, v52
	s_cbranch_execz .LBB127_124
; %bb.123:                              ;   in Loop: Header=BB127_113 Depth=1
	v_and_b32_e32 v54, 0xff, v53
	s_and_not1_b32 s17, s17, exec_lo
	s_delay_alu instid0(VALU_DEP_1) | instskip(SKIP_3) | instid1(VALU_DEP_2)
	v_cmp_eq_u16_e32 vcc_lo, 0, v54
	v_and_b32_e32 v53, 1, v53
	s_wait_dscnt 0x0
	v_dual_cndmask_b32 v57, 0, v56, vcc_lo :: v_dual_bitop2_b32 v54, 1, v57 bitop3:0x40
	v_cmp_eq_u32_e64 s16, 1, v53
	v_cndmask_b32_e32 v56, 0, v55, vcc_lo
	s_delay_alu instid0(VALU_DEP_3) | instskip(NEXT) | instid1(VALU_DEP_2)
	v_cmp_eq_u32_e32 vcc_lo, 1, v54
	v_add_nc_u64_e32 v[36:37], v[56:57], v[36:37]
	s_or_b32 s16, s16, vcc_lo
	s_delay_alu instid0(SALU_CYCLE_1) | instskip(SKIP_2) | instid1(SALU_CYCLE_1)
	v_cndmask_b32_e64 v53, 0, 1, s16
	v_cndmask_b32_e64 v54, 0, 1, s16
	s_and_b32 s16, s16, exec_lo
	s_or_b32 s17, s17, s16
.LBB127_124:                            ;   in Loop: Header=BB127_113 Depth=1
	s_or_b32 exec_lo, exec_lo, s20
	s_wait_dscnt 0x2
	ds_bpermute_b32 v55, v47, v36
	s_wait_dscnt 0x2
	ds_bpermute_b32 v56, v47, v37
	;; [unrolled: 2-line block ×3, first 2 shown]
	s_mov_b32 s20, exec_lo
	v_cmpx_le_u32_e64 v48, v52
	s_cbranch_execz .LBB127_126
; %bb.125:                              ;   in Loop: Header=BB127_113 Depth=1
	v_and_b32_e32 v54, 0xff, v53
	s_and_not1_b32 s17, s17, exec_lo
	s_delay_alu instid0(VALU_DEP_1) | instskip(SKIP_3) | instid1(VALU_DEP_2)
	v_cmp_eq_u16_e32 vcc_lo, 0, v54
	v_and_b32_e32 v53, 1, v53
	s_wait_dscnt 0x0
	v_dual_cndmask_b32 v57, 0, v56, vcc_lo :: v_dual_bitop2_b32 v54, 1, v57 bitop3:0x40
	v_cmp_eq_u32_e64 s16, 1, v53
	v_cndmask_b32_e32 v56, 0, v55, vcc_lo
	s_delay_alu instid0(VALU_DEP_3) | instskip(NEXT) | instid1(VALU_DEP_2)
	v_cmp_eq_u32_e32 vcc_lo, 1, v54
	v_add_nc_u64_e32 v[36:37], v[56:57], v[36:37]
	s_or_b32 s16, s16, vcc_lo
	s_delay_alu instid0(SALU_CYCLE_1) | instskip(SKIP_2) | instid1(SALU_CYCLE_1)
	v_cndmask_b32_e64 v53, 0, 1, s16
	v_cndmask_b32_e64 v54, 0, 1, s16
	s_and_b32 s16, s16, exec_lo
	s_or_b32 s17, s17, s16
.LBB127_126:                            ;   in Loop: Header=BB127_113 Depth=1
	s_or_b32 exec_lo, exec_lo, s20
	s_wait_dscnt 0x2
	ds_bpermute_b32 v55, v49, v36
	s_wait_dscnt 0x2
	ds_bpermute_b32 v56, v49, v37
	ds_bpermute_b32 v54, v49, v54
	s_mov_b32 s20, exec_lo
	v_cmpx_le_u32_e64 v51, v52
	s_cbranch_execz .LBB127_111
; %bb.127:                              ;   in Loop: Header=BB127_113 Depth=1
	v_and_b32_e32 v52, 0xff, v53
	s_and_not1_b32 s17, s17, exec_lo
	s_delay_alu instid0(VALU_DEP_1)
	v_cmp_eq_u16_e32 vcc_lo, 0, v52
	s_wait_dscnt 0x3
	v_and_b32_e32 v57, 1, v53
	s_wait_dscnt 0x0
	v_dual_cndmask_b32 v52, 0, v55, vcc_lo :: v_dual_bitop2_b32 v54, 1, v54 bitop3:0x40
	v_cndmask_b32_e32 v53, 0, v56, vcc_lo
	s_delay_alu instid0(VALU_DEP_3) | instskip(NEXT) | instid1(VALU_DEP_3)
	v_cmp_eq_u32_e32 vcc_lo, 1, v57
	v_cmp_eq_u32_e64 s16, 1, v54
	s_delay_alu instid0(VALU_DEP_3) | instskip(SKIP_1) | instid1(SALU_CYCLE_1)
	v_add_nc_u64_e32 v[36:37], v[52:53], v[36:37]
	s_or_b32 s16, vcc_lo, s16
	s_and_b32 s16, s16, exec_lo
	s_delay_alu instid0(SALU_CYCLE_1)
	s_or_b32 s17, s17, s16
	s_branch .LBB127_111
.LBB127_128:
                                        ; implicit-def: $vgpr58_vgpr59
                                        ; implicit-def: $vgpr54_vgpr55
                                        ; implicit-def: $vgpr50_vgpr51
                                        ; implicit-def: $vgpr46_vgpr47
                                        ; implicit-def: $vgpr42_vgpr43
                                        ; implicit-def: $vgpr38_vgpr39
                                        ; implicit-def: $vgpr34_vgpr35
	s_cbranch_execnz .LBB127_182
.LBB127_129:
	s_add_nc_u64 s[0:1], s[34:35], s[44:45]
	s_and_b32 vcc_lo, exec_lo, s31
	s_add_nc_u64 s[0:1], s[0:1], s[36:37]
	s_cbranch_vccz .LBB127_201
.LBB127_130:
	v_mul_u32_u24_e32 v1, 14, v0
	s_add_co_i32 s33, s33, s30
	s_mov_b32 s2, exec_lo
	s_delay_alu instid0(VALU_DEP_1)
	v_cmpx_gt_u32_e64 s33, v1
	s_cbranch_execz .LBB127_150
; %bb.131:
	v_or_b32_e32 v2, 1, v1
	s_mov_b32 s3, exec_lo
	s_delay_alu instid0(VALU_DEP_1)
	v_cmpx_gt_u32_e64 s33, v2
	s_cbranch_execz .LBB127_149
; %bb.132:
	v_add_nc_u32_e32 v2, 2, v1
	s_mov_b32 s4, exec_lo
	s_delay_alu instid0(VALU_DEP_1)
	v_cmpx_gt_u32_e64 s33, v2
	s_cbranch_execz .LBB127_148
; %bb.133:
	v_add_nc_u32_e32 v2, 3, v1
	;; [unrolled: 6-line block ×8, first 2 shown]
	s_mov_b32 s11, exec_lo
	s_delay_alu instid0(VALU_DEP_1)
	v_cmpx_gt_u32_e64 s33, v2
; %bb.140:
	v_add_nc_u32_e32 v2, 10, v1
	s_mov_b32 s12, exec_lo
	s_delay_alu instid0(VALU_DEP_1)
	v_cmpx_gt_u32_e64 s33, v2
	s_or_b32 exec_lo, exec_lo, s12
; %bb.141:
	s_delay_alu instid0(SALU_CYCLE_1)
	s_or_b32 exec_lo, exec_lo, s11
.LBB127_142:
	s_delay_alu instid0(SALU_CYCLE_1)
	s_or_b32 exec_lo, exec_lo, s10
.LBB127_143:
	s_delay_alu instid0(SALU_CYCLE_1)
	s_or_b32 exec_lo, exec_lo, s9
.LBB127_144:
	s_delay_alu instid0(SALU_CYCLE_1)
	s_or_b32 exec_lo, exec_lo, s8
.LBB127_145:
	s_delay_alu instid0(SALU_CYCLE_1)
	s_or_b32 exec_lo, exec_lo, s7
.LBB127_146:
	s_delay_alu instid0(SALU_CYCLE_1)
	s_or_b32 exec_lo, exec_lo, s6
.LBB127_147:
	s_delay_alu instid0(SALU_CYCLE_1)
	s_or_b32 exec_lo, exec_lo, s5
.LBB127_148:
	s_delay_alu instid0(SALU_CYCLE_1)
	s_or_b32 exec_lo, exec_lo, s4
.LBB127_149:
	s_delay_alu instid0(SALU_CYCLE_1)
	s_or_b32 exec_lo, exec_lo, s3
.LBB127_150:
	s_delay_alu instid0(SALU_CYCLE_1)
	s_or_b32 exec_lo, exec_lo, s2
	v_dual_lshlrev_b32 v1, 3, v1 :: v_dual_mov_b32 v61, 0
	s_wait_loadcnt 0x0
	s_wait_storecnt 0x0
	s_barrier_signal -1
	s_barrier_wait -1
	v_mad_i32_i24 v2, 0xffffff98, v0, v1
	ds_store_b128 v1, v[32:35]
	ds_store_b128 v1, v[36:39] offset:16
	ds_store_b128 v1, v[40:43] offset:32
	;; [unrolled: 1-line block ×6, first 2 shown]
	s_wait_dscnt 0x0
	s_barrier_signal -1
	s_barrier_wait -1
	ds_load_2addr_stride64_b64 v[26:29], v2 offset0:4 offset1:8
	ds_load_2addr_stride64_b64 v[22:25], v2 offset0:12 offset1:16
	;; [unrolled: 1-line block ×6, first 2 shown]
	ds_load_b64 v[4:5], v2 offset:26624
	v_add_nc_u64_e32 v[2:3], s[0:1], v[60:61]
	s_mov_b32 s2, exec_lo
	v_cmpx_gt_u32_e64 s33, v0
	s_cbranch_execz .LBB127_152
; %bb.151:
	v_mul_i32_i24_e32 v30, 0xffffff98, v0
	s_delay_alu instid0(VALU_DEP_1)
	v_add_nc_u32_e32 v1, v1, v30
	ds_load_b64 v[30:31], v1
	s_wait_dscnt 0x0
	global_store_b64 v[2:3], v[30:31], off
.LBB127_152:
	s_wait_xcnt 0x0
	s_or_b32 exec_lo, exec_lo, s2
	v_or_b32_e32 v1, 0x100, v0
	s_mov_b32 s2, exec_lo
	s_delay_alu instid0(VALU_DEP_1)
	v_cmpx_gt_u32_e64 s33, v1
	s_cbranch_execz .LBB127_154
; %bb.153:
	s_wait_dscnt 0x6
	global_store_b64 v[2:3], v[26:27], off offset:2048
.LBB127_154:
	s_wait_xcnt 0x0
	s_or_b32 exec_lo, exec_lo, s2
	v_or_b32_e32 v1, 0x200, v0
	s_mov_b32 s2, exec_lo
	s_delay_alu instid0(VALU_DEP_1)
	v_cmpx_gt_u32_e64 s33, v1
	s_cbranch_execz .LBB127_156
; %bb.155:
	s_wait_dscnt 0x6
	global_store_b64 v[2:3], v[28:29], off offset:4096
.LBB127_156:
	;; [unrolled: 11-line block ×12, first 2 shown]
	s_wait_xcnt 0x0
	s_or_b32 exec_lo, exec_lo, s2
	v_or_b32_e32 v1, 0xd00, v0
	s_delay_alu instid0(VALU_DEP_1)
	v_cmp_gt_u32_e64 s2, s33, v1
	s_branch .LBB127_203
.LBB127_177:
	s_and_saveexec_b32 s16, s15
	s_cbranch_execz .LBB127_179
; %bb.178:
	v_and_b32_e32 v32, 0xff, v38
	s_add_co_i32 s20, s48, 32
	s_mov_b32 s21, 0
	v_mov_b32_e32 v37, s20
	v_bitop3_b16 v36, v38, 1, v50 bitop3:0xc8
	v_cmp_eq_u32_e32 vcc_lo, 0, v32
	s_lshl_b64 s[22:23], s[20:21], 4
	s_delay_alu instid0(SALU_CYCLE_1) | instskip(SKIP_1) | instid1(VALU_DEP_1)
	s_add_nc_u64 s[20:21], s[26:27], s[22:23]
	v_dual_cndmask_b32 v33, 0, v35 :: v_dual_cndmask_b32 v32, 0, v34
	v_add_nc_u64_e32 v[20:21], v[32:33], v[20:21]
	v_dual_mov_b32 v32, 0 :: v_dual_mov_b32 v33, 2
	s_clause 0x1
	global_store_b64 v32, v[20:21], s[20:21]
	global_store_b8 v32, v36, s[20:21] offset:8
	global_wb scope:SCOPE_DEV
	s_wait_storecnt_dscnt 0x0
	global_inv scope:SCOPE_DEV
	s_wait_xcnt 0x0
	global_store_b8 v37, v33, s[28:29] scope:SCOPE_DEV
.LBB127_179:
	s_wait_xcnt 0x0
	s_or_b32 exec_lo, exec_lo, s16
	s_delay_alu instid0(SALU_CYCLE_1)
	s_and_b32 exec_lo, exec_lo, s2
	s_cbranch_execz .LBB127_181
; %bb.180:
	v_mov_b32_e32 v20, 0
	ds_store_b64 v20, v[34:35]
	ds_store_b8 v20, v50 offset:8
.LBB127_181:
	s_or_b32 exec_lo, exec_lo, s19
	v_dual_mov_b32 v21, 0 :: v_dual_bitop2_b32 v20, 1, v1 bitop3:0x40
	s_wait_storecnt 0x0
	s_wait_loadcnt_dscnt 0x0
	s_barrier_signal -1
	s_barrier_wait -1
	v_cmp_eq_u32_e32 vcc_lo, 1, v20
	v_and_b32_e32 v32, 0xff, v1
	ds_load_b64 v[20:21], v21
	s_or_b32 s15, vcc_lo, s18
	v_cmp_eq_u16_e32 vcc_lo, 0, v32
	v_cndmask_b32_e64 v33, 0, 1, s15
	v_cndmask_b32_e32 v5, 0, v5, vcc_lo
	s_delay_alu instid0(VALU_DEP_2) | instskip(NEXT) | instid1(VALU_DEP_1)
	v_dual_cndmask_b32 v32, v33, v1, s2 :: v_dual_cndmask_b32 v4, 0, v4, vcc_lo
	v_and_b32_e32 v32, 0xff, v32
	s_delay_alu instid0(VALU_DEP_2) | instskip(NEXT) | instid1(VALU_DEP_2)
	v_cndmask_b32_e64 v4, v4, 0, s2
	v_cmp_eq_u16_e32 vcc_lo, 0, v32
	s_wait_dscnt 0x0
	v_cndmask_b32_e32 v20, 0, v20, vcc_lo
	v_cndmask_b32_e64 v5, v5, 0, s2
	v_cndmask_b32_e32 v21, 0, v21, vcc_lo
	s_delay_alu instid0(VALU_DEP_2) | instskip(NEXT) | instid1(VALU_DEP_1)
	v_add_nc_u64_e32 v[4:5], v[4:5], v[2:3]
	v_add_nc_u64_e32 v[32:33], v[4:5], v[20:21]
	s_delay_alu instid0(VALU_DEP_1) | instskip(NEXT) | instid1(VALU_DEP_1)
	v_dual_cndmask_b32 v5, 0, v33, s1 :: v_dual_cndmask_b32 v4, 0, v32, s1
	v_add_nc_u64_e32 v[34:35], v[4:5], v[6:7]
	s_delay_alu instid0(VALU_DEP_1) | instskip(NEXT) | instid1(VALU_DEP_1)
	v_dual_cndmask_b32 v5, 0, v35, s4 :: v_dual_cndmask_b32 v4, 0, v34, s4
	;; [unrolled: 3-line block ×13, first 2 shown]
	v_add_nc_u64_e32 v[58:59], v[4:5], v[8:9]
	s_branch .LBB127_129
.LBB127_182:
	s_cmp_lg_u64 s[46:47], 0
	s_cselect_b32 s0, -1, 0
	s_cmp_lg_u64 s[38:39], 0
	s_cselect_b32 s1, -1, 0
	s_delay_alu instid0(SALU_CYCLE_1) | instskip(NEXT) | instid1(SALU_CYCLE_1)
	s_and_b32 s0, s0, s1
	s_and_b32 s1, s2, s0
	s_delay_alu instid0(SALU_CYCLE_1)
	s_and_saveexec_b32 s0, s1
	s_cbranch_execz .LBB127_184
; %bb.183:
	v_mov_b32_e32 v20, 0
	s_clause 0x1
	global_load_b64 v[4:5], v20, s[38:39]
	global_load_u8 v21, v20, s[38:39] offset:8
	s_wait_xcnt 0x0
	v_and_b32_e32 v20, 0xff, v1
	s_delay_alu instid0(VALU_DEP_1) | instskip(SKIP_4) | instid1(VALU_DEP_2)
	v_cmp_eq_u16_e32 vcc_lo, 0, v20
	s_wait_loadcnt 0x1
	v_dual_cndmask_b32 v5, 0, v5 :: v_dual_cndmask_b32 v4, 0, v4
	s_wait_loadcnt 0x0
	v_bitop3_b16 v1, v1, 1, v21 bitop3:0xc8
	v_add_nc_u64_e32 v[2:3], v[4:5], v[2:3]
.LBB127_184:
	s_or_b32 exec_lo, exec_lo, s0
	v_cmp_eq_u16_e32 vcc_lo, 0, v82
	v_cmp_eq_u16_e64 s0, 0, v81
	v_cmp_eq_u16_e64 s1, 0, v80
	;; [unrolled: 1-line block ×4, first 2 shown]
	v_dual_cndmask_b32 v5, 0, v3 :: v_dual_cndmask_b32 v4, 0, v2
	v_cmp_eq_u16_e64 s6, 0, v77
	v_cmp_eq_u16_e64 s7, 0, v76
	;; [unrolled: 1-line block ×4, first 2 shown]
	v_add_nc_u64_e32 v[34:35], v[4:5], v[6:7]
	v_cmp_eq_u16_e64 s10, 0, v73
	v_cmp_eq_u16_e64 s11, 0, v72
	;; [unrolled: 1-line block ×3, first 2 shown]
	v_cmp_ne_u16_e64 s19, 0, v70
	v_cmp_eq_u32_e64 s20, 1, v62
	v_bitop3_b16 v20, v1, 0xff, v88 bitop3:0xc8
	v_dual_cndmask_b32 v5, 0, v35, s0 :: v_dual_cndmask_b32 v4, 0, v34, s0
	v_cmp_ne_u16_e64 s17, 0, v69
	v_cmp_eq_u32_e64 s18, 1, v63
	v_cmp_ne_u16_e64 s21, 0, v67
	v_cmp_eq_u16_e64 s13, 0, v61
	v_add_nc_u64_e32 v[36:37], v[4:5], v[12:13]
	v_cmp_ne_u16_e64 s15, 0, v68
	v_cmp_eq_u32_e64 s16, 1, v64
	s_or_b32 s19, s19, s20
	v_cmp_eq_u32_e64 s14, 1, v66
	v_cmp_ne_u16_e64 s22, 0, v20
	s_or_b32 s17, s17, s18
	v_dual_cndmask_b32 v5, 0, v37, s1 :: v_dual_cndmask_b32 v4, 0, v36, s1
	s_or_b32 s18, s21, s19
	s_or_b32 s15, s15, s16
	;; [unrolled: 1-line block ×3, first 2 shown]
	v_and_b32_e32 v21, 0x70, v65
	v_add_nc_u64_e32 v[38:39], v[4:5], v[10:11]
	s_or_b32 s14, s22, s14
	s_or_b32 s15, s16, s15
	s_mov_b32 s17, exec_lo
	s_or_b32 s14, s15, s14
	s_delay_alu instid0(SALU_CYCLE_1) | instskip(NEXT) | instid1(VALU_DEP_2)
	v_cndmask_b32_e64 v33, 0, 1, s14
	v_dual_cndmask_b32 v5, 0, v39, s4 :: v_dual_cndmask_b32 v4, 0, v38, s4
	s_delay_alu instid0(VALU_DEP_1) | instskip(NEXT) | instid1(VALU_DEP_1)
	v_add_nc_u64_e32 v[40:41], v[4:5], v[16:17]
	v_dual_cndmask_b32 v5, 0, v41, s5 :: v_dual_cndmask_b32 v4, 0, v40, s5
	s_delay_alu instid0(VALU_DEP_1) | instskip(NEXT) | instid1(VALU_DEP_1)
	v_add_nc_u64_e32 v[42:43], v[4:5], v[14:15]
	;; [unrolled: 3-line block ×9, first 2 shown]
	v_dual_cndmask_b32 v5, 0, v57, s13 :: v_dual_cndmask_b32 v4, 0, v56, s13
	s_delay_alu instid0(VALU_DEP_1)
	v_add_nc_u64_e32 v[58:59], v[4:5], v[8:9]
	v_lshl_add_u32 v4, v0, 4, v21
	ds_store_b64 v4, v[58:59]
	ds_store_b8 v4, v33 offset:8
	s_wait_dscnt 0x0
	s_barrier_signal -1
	s_barrier_wait -1
	v_cmpx_gt_u32_e32 32, v0
	s_cbranch_execz .LBB127_196
; %bb.185:
	v_dual_lshlrev_b32 v4, 2, v0 :: v_dual_lshlrev_b32 v5, 7, v0
	s_delay_alu instid0(VALU_DEP_1) | instskip(NEXT) | instid1(VALU_DEP_1)
	v_and_b32_e32 v4, 0x3f0, v4
	v_add_nc_u32_e32 v32, v4, v5
	ds_load_u8 v70, v32 offset:24
	ds_load_b64 v[4:5], v32
	ds_load_2addr_b64 v[62:65], v32 offset0:2 offset1:4
	ds_load_u8 v71, v32 offset:40
	ds_load_b32 v61, v32 offset:8
	ds_load_u8 v72, v32 offset:56
	ds_load_u8 v73, v32 offset:72
	;; [unrolled: 1-line block ×4, first 2 shown]
	s_wait_dscnt 0x8
	v_cmp_eq_u16_e64 s14, 0, v70
	s_wait_dscnt 0x7
	s_delay_alu instid0(VALU_DEP_1) | instskip(SKIP_4) | instid1(VALU_DEP_1)
	v_dual_cndmask_b32 v21, 0, v5, s14 :: v_dual_cndmask_b32 v20, 0, v4, s14
	s_wait_dscnt 0x5
	v_cmp_eq_u16_e64 s14, 0, v71
	ds_load_2addr_b64 v[66:69], v32 offset0:6 offset1:8
	v_add_nc_u64_e32 v[20:21], v[20:21], v[62:63]
	v_dual_cndmask_b32 v21, 0, v21, s14 :: v_dual_cndmask_b32 v20, 0, v20, s14
	s_wait_dscnt 0x4
	v_cmp_eq_u16_e64 s14, 0, v72
	s_delay_alu instid0(VALU_DEP_2)
	v_add_nc_u64_e32 v[20:21], v[20:21], v[64:65]
	ds_load_2addr_b64 v[62:65], v32 offset0:10 offset1:12
	ds_load_u8 v76, v32 offset:120
	v_dual_cndmask_b32 v21, 0, v21, s14 :: v_dual_cndmask_b32 v20, 0, v20, s14
	s_wait_dscnt 0x5
	v_cmp_eq_u16_e64 s14, 0, v73
	s_wait_dscnt 0x2
	s_delay_alu instid0(VALU_DEP_2) | instskip(SKIP_2) | instid1(VALU_DEP_3)
	v_add_nc_u64_e32 v[20:21], v[20:21], v[66:67]
	v_bitop3_b16 v66, v71, v72, v70 bitop3:0xfe
	v_bitop3_b16 v67, v74, v75, v73 bitop3:0xfe
	v_dual_cndmask_b32 v21, 0, v21, s14 :: v_dual_cndmask_b32 v20, 0, v20, s14
	v_cmp_eq_u16_e64 s14, 0, v74
	s_wait_dscnt 0x0
	v_cmp_eq_u16_e64 s16, 0, v76
	s_delay_alu instid0(VALU_DEP_3) | instskip(NEXT) | instid1(VALU_DEP_1)
	v_add_nc_u64_e32 v[20:21], v[20:21], v[68:69]
	v_dual_cndmask_b32 v21, 0, v21, s14 :: v_dual_cndmask_b32 v20, 0, v20, s14
	v_cmp_eq_u16_e64 s14, 0, v75
	s_delay_alu instid0(VALU_DEP_2)
	v_add_nc_u64_e32 v[20:21], v[20:21], v[62:63]
	v_bitop3_b16 v62, v76, v66, v67 bitop3:0xfe
	ds_load_b64 v[66:67], v32 offset:112
	v_and_b32_e32 v63, 1, v61
	v_dual_cndmask_b32 v21, 0, v21, s14 :: v_dual_bitop2_b32 v62, 1, v62 bitop3:0x40
	v_cndmask_b32_e64 v20, 0, v20, s14
	s_delay_alu instid0(VALU_DEP_3) | instskip(SKIP_1) | instid1(VALU_DEP_4)
	v_cmp_eq_u32_e64 s14, 1, v63
	v_mbcnt_lo_u32_b32 v63, -1, 0
	v_cmp_eq_u32_e64 s15, 1, v62
	v_and_b32_e32 v62, 0xffffff00, v61
	v_add_nc_u64_e32 v[20:21], v[20:21], v[64:65]
	s_or_b32 s15, s15, s14
	s_delay_alu instid0(SALU_CYCLE_1) | instskip(SKIP_1) | instid1(VALU_DEP_3)
	v_cndmask_b32_e64 v65, 0, 1, s15
	v_cndmask_b32_e64 v64, 0, 1, s15
	v_dual_cndmask_b32 v21, 0, v21, s16 :: v_dual_cndmask_b32 v20, 0, v20, s16
	s_mov_b32 s16, exec_lo
	s_wait_dscnt 0x0
	s_delay_alu instid0(VALU_DEP_1) | instskip(SKIP_2) | instid1(VALU_DEP_2)
	v_add_nc_u64_e32 v[20:21], v[20:21], v[66:67]
	v_or_b32_e32 v66, v62, v65
	v_and_b32_e32 v65, 15, v63
	v_mov_b32_dpp v68, v66 row_shr:1 row_mask:0xf bank_mask:0xf
	s_delay_alu instid0(VALU_DEP_4) | instskip(SKIP_1) | instid1(VALU_DEP_4)
	v_mov_b32_dpp v67, v20 row_shr:1 row_mask:0xf bank_mask:0xf
	v_mov_b32_dpp v69, v21 row_shr:1 row_mask:0xf bank_mask:0xf
	v_cmpx_ne_u32_e32 0, v65
; %bb.186:
	s_delay_alu instid0(VALU_DEP_4) | instskip(NEXT) | instid1(VALU_DEP_3)
	v_bitop3_b16 v64, v68, v64, 1 bitop3:0xec
	v_cndmask_b32_e64 v69, v69, 0, s15
	v_cndmask_b32_e64 v68, v67, 0, s15
	s_delay_alu instid0(VALU_DEP_3) | instskip(NEXT) | instid1(VALU_DEP_2)
	v_and_b32_e32 v66, 0xffff, v64
	v_add_nc_u64_e32 v[20:21], v[68:69], v[20:21]
	s_delay_alu instid0(VALU_DEP_2)
	v_or_b32_e32 v66, v62, v66
; %bb.187:
	s_or_b32 exec_lo, exec_lo, s16
	s_delay_alu instid0(VALU_DEP_2) | instskip(NEXT) | instid1(VALU_DEP_3)
	v_mov_b32_dpp v67, v20 row_shr:2 row_mask:0xf bank_mask:0xf
	v_mov_b32_dpp v68, v21 row_shr:2 row_mask:0xf bank_mask:0xf
	s_delay_alu instid0(VALU_DEP_3)
	v_mov_b32_dpp v69, v66 row_shr:2 row_mask:0xf bank_mask:0xf
	s_mov_b32 s18, exec_lo
	v_cmpx_lt_u32_e32 1, v65
	s_cbranch_execz .LBB127_189
; %bb.188:
	s_delay_alu instid0(VALU_DEP_2) | instskip(SKIP_2) | instid1(VALU_DEP_3)
	v_and_b32_e32 v69, 1, v69
	v_cmp_eq_u16_e64 s14, 0, v64
	v_and_b32_e32 v66, 1, v64
	v_cmp_eq_u32_e64 s16, 1, v69
	s_delay_alu instid0(VALU_DEP_3) | instskip(NEXT) | instid1(VALU_DEP_3)
	v_dual_cndmask_b32 v69, 0, v68, s14 :: v_dual_cndmask_b32 v68, 0, v67, s14
	v_cmp_eq_u32_e64 s15, 1, v66
	s_or_b32 s14, s15, s16
	s_delay_alu instid0(SALU_CYCLE_1) | instskip(SKIP_1) | instid1(VALU_DEP_2)
	v_cndmask_b32_e64 v66, 0, 1, s14
	v_cndmask_b32_e64 v64, 0, 1, s14
	v_or_b32_e32 v66, v62, v66
	v_add_nc_u64_e32 v[20:21], v[68:69], v[20:21]
.LBB127_189:
	s_or_b32 exec_lo, exec_lo, s18
	s_delay_alu instid0(VALU_DEP_1) | instskip(NEXT) | instid1(VALU_DEP_2)
	v_mov_b32_dpp v67, v20 row_shr:4 row_mask:0xf bank_mask:0xf
	v_mov_b32_dpp v68, v21 row_shr:4 row_mask:0xf bank_mask:0xf
	;; [unrolled: 1-line block ×3, first 2 shown]
	s_mov_b32 s18, exec_lo
	v_cmpx_lt_u32_e32 3, v65
	s_cbranch_execz .LBB127_191
; %bb.190:
	s_delay_alu instid0(VALU_DEP_2) | instskip(SKIP_2) | instid1(VALU_DEP_3)
	v_and_b32_e32 v69, 1, v69
	v_cmp_eq_u16_e64 s14, 0, v64
	v_and_b32_e32 v66, 1, v64
	v_cmp_eq_u32_e64 s16, 1, v69
	s_delay_alu instid0(VALU_DEP_3) | instskip(NEXT) | instid1(VALU_DEP_3)
	v_dual_cndmask_b32 v69, 0, v68, s14 :: v_dual_cndmask_b32 v68, 0, v67, s14
	v_cmp_eq_u32_e64 s15, 1, v66
	s_or_b32 s14, s15, s16
	s_delay_alu instid0(SALU_CYCLE_1) | instskip(SKIP_1) | instid1(VALU_DEP_2)
	v_cndmask_b32_e64 v66, 0, 1, s14
	v_cndmask_b32_e64 v64, 0, 1, s14
	v_or_b32_e32 v66, v62, v66
	v_add_nc_u64_e32 v[20:21], v[68:69], v[20:21]
.LBB127_191:
	s_or_b32 exec_lo, exec_lo, s18
	s_delay_alu instid0(VALU_DEP_1) | instskip(NEXT) | instid1(VALU_DEP_2)
	v_mov_b32_dpp v67, v20 row_shr:8 row_mask:0xf bank_mask:0xf
	v_mov_b32_dpp v68, v21 row_shr:8 row_mask:0xf bank_mask:0xf
	;; [unrolled: 1-line block ×3, first 2 shown]
	s_mov_b32 s18, exec_lo
	v_cmpx_lt_u32_e32 7, v65
	s_cbranch_execz .LBB127_193
; %bb.192:
	v_cmp_eq_u16_e64 s14, 0, v64
	v_and_b32_e32 v65, 1, v64
	s_delay_alu instid0(VALU_DEP_2) | instskip(SKIP_1) | instid1(VALU_DEP_3)
	v_dual_cndmask_b32 v69, 0, v68, s14 :: v_dual_bitop2_b32 v66, 1, v69 bitop3:0x40
	v_cndmask_b32_e64 v68, 0, v67, s14
	v_cmp_eq_u32_e64 s15, 1, v65
	s_delay_alu instid0(VALU_DEP_3) | instskip(NEXT) | instid1(VALU_DEP_3)
	v_cmp_eq_u32_e64 s16, 1, v66
	v_add_nc_u64_e32 v[20:21], v[68:69], v[20:21]
	s_or_b32 s14, s15, s16
	s_delay_alu instid0(SALU_CYCLE_1) | instskip(SKIP_1) | instid1(VALU_DEP_2)
	v_cndmask_b32_e64 v65, 0, 1, s14
	v_cndmask_b32_e64 v64, 0, 1, s14
	v_or_b32_e32 v66, v62, v65
.LBB127_193:
	s_or_b32 exec_lo, exec_lo, s18
	ds_swizzle_b32 v65, v20 offset:swizzle(BROADCAST,32,15)
	ds_swizzle_b32 v67, v21 offset:swizzle(BROADCAST,32,15)
	;; [unrolled: 1-line block ×3, first 2 shown]
	v_and_b32_e32 v68, 16, v63
	s_mov_b32 s16, exec_lo
	s_delay_alu instid0(VALU_DEP_1)
	v_cmpx_ne_u32_e32 0, v68
	s_cbranch_execz .LBB127_195
; %bb.194:
	v_cmp_eq_u16_e64 s14, 0, v64
	v_and_b32_e32 v64, 1, v64
	s_wait_dscnt 0x0
	s_delay_alu instid0(VALU_DEP_2) | instskip(SKIP_1) | instid1(VALU_DEP_3)
	v_dual_cndmask_b32 v66, 0, v65, s14 :: v_dual_bitop2_b32 v68, 1, v66 bitop3:0x40
	v_cndmask_b32_e64 v67, 0, v67, s14
	v_cmp_eq_u32_e64 s14, 1, v64
	s_delay_alu instid0(VALU_DEP_3) | instskip(NEXT) | instid1(VALU_DEP_3)
	v_cmp_eq_u32_e64 s15, 1, v68
	v_add_nc_u64_e32 v[20:21], v[66:67], v[20:21]
	s_or_b32 s14, s14, s15
	s_delay_alu instid0(SALU_CYCLE_1)
	v_cndmask_b32_e64 v64, 0, 1, s14
.LBB127_195:
	s_or_b32 exec_lo, exec_lo, s16
	s_wait_dscnt 0x2
	v_add_nc_u32_e32 v65, -1, v63
	s_delay_alu instid0(VALU_DEP_2) | instskip(NEXT) | instid1(VALU_DEP_2)
	v_and_b32_e32 v64, 0xffff, v64
	; wave barrier
	v_cmp_gt_i32_e64 s14, 0, v65
	s_delay_alu instid0(VALU_DEP_1) | instskip(NEXT) | instid1(VALU_DEP_1)
	v_dual_cndmask_b32 v63, v65, v63, s14 :: v_dual_bitop2_b32 v62, v62, v64 bitop3:0x54
	v_lshlrev_b32_e32 v63, 2, v63
	ds_bpermute_b32 v21, v63, v21
	ds_bpermute_b32 v20, v63, v20
	;; [unrolled: 1-line block ×3, first 2 shown]
	v_and_b32_e32 v63, 0xff, v61
	s_delay_alu instid0(VALU_DEP_1) | instskip(SKIP_1) | instid1(VALU_DEP_1)
	v_cmp_eq_u32_e64 s14, 0, v63
	s_wait_dscnt 0x1
	v_dual_cndmask_b32 v21, 0, v21, s14 :: v_dual_cndmask_b32 v20, 0, v20, s14
	s_delay_alu instid0(VALU_DEP_1) | instskip(SKIP_1) | instid1(VALU_DEP_1)
	v_add_nc_u64_e32 v[4:5], v[20:21], v[4:5]
	s_wait_dscnt 0x0
	v_dual_cndmask_b32 v5, v5, v59, s2 :: v_dual_bitop2_b32 v61, v62, v61 bitop3:0x54
	s_delay_alu instid0(VALU_DEP_1) | instskip(NEXT) | instid1(VALU_DEP_1)
	v_dual_cndmask_b32 v4, v4, v58, s2 :: v_dual_bitop2_b32 v20, 1, v61 bitop3:0x40
	v_cndmask_b32_e64 v33, v20, v33, s2
	ds_store_b64 v32, v[4:5]
	ds_store_b8 v32, v33 offset:8
	; wave barrier
	ds_load_u8 v61, v32 offset:24
	ds_load_2addr_b64 v[62:65], v32 offset0:2 offset1:4
	ds_load_u8 v74, v32 offset:40
	ds_load_u8 v75, v32 offset:56
	;; [unrolled: 1-line block ×5, first 2 shown]
	ds_load_b64 v[20:21], v32 offset:112
	ds_load_u8 v79, v32 offset:120
	s_wait_dscnt 0x8
	v_and_b32_e32 v66, 0xff, v61
	s_wait_dscnt 0x5
	v_and_b32_e32 v72, 0xff, v75
	s_delay_alu instid0(VALU_DEP_2) | instskip(SKIP_3) | instid1(VALU_DEP_3)
	v_cmp_eq_u16_e64 s14, 0, v66
	v_and_b32_e32 v66, 0xff, v74
	s_wait_dscnt 0x3
	v_and_b32_e32 v80, 0xff, v77
	v_dual_cndmask_b32 v5, 0, v5, s14 :: v_dual_cndmask_b32 v4, 0, v4, s14
	s_delay_alu instid0(VALU_DEP_3) | instskip(SKIP_3) | instid1(VALU_DEP_1)
	v_cmp_eq_u16_e64 s14, 0, v66
	ds_load_2addr_b64 v[66:69], v32 offset0:6 offset1:8
	v_bitop3_b16 v81, v61, 1, v33 bitop3:0xc8
	v_add_nc_u64_e32 v[4:5], v[4:5], v[62:63]
	v_dual_cndmask_b32 v63, 0, v5, s14 :: v_dual_cndmask_b32 v62, 0, v4, s14
	v_cmp_eq_u16_e64 s14, 0, v72
	s_delay_alu instid0(VALU_DEP_2) | instskip(SKIP_1) | instid1(VALU_DEP_2)
	v_add_nc_u64_e32 v[70:71], v[62:63], v[64:65]
	v_and_b32_e32 v64, 0xff, v76
	v_dual_cndmask_b32 v63, 0, v71, s14 :: v_dual_cndmask_b32 v62, 0, v70, s14
	s_delay_alu instid0(VALU_DEP_2) | instskip(SKIP_1) | instid1(VALU_DEP_2)
	v_cmp_eq_u16_e64 s14, 0, v64
	s_wait_dscnt 0x0
	v_add_nc_u64_e32 v[66:67], v[62:63], v[66:67]
	ds_load_2addr_b64 v[62:65], v32 offset0:10 offset1:12
	v_dual_cndmask_b32 v73, 0, v67, s14 :: v_dual_cndmask_b32 v72, 0, v66, s14
	v_cmp_eq_u16_e64 s14, 0, v80
	v_and_b32_e32 v80, 0xff, v78
	s_delay_alu instid0(VALU_DEP_3) | instskip(NEXT) | instid1(VALU_DEP_1)
	v_add_nc_u64_e32 v[68:69], v[72:73], v[68:69]
	v_dual_cndmask_b32 v73, 0, v69, s14 :: v_dual_cndmask_b32 v72, 0, v68, s14
	s_delay_alu instid0(VALU_DEP_3) | instskip(SKIP_1) | instid1(VALU_DEP_2)
	v_cmp_eq_u16_e64 s14, 0, v80
	s_wait_dscnt 0x0
	v_add_nc_u64_e32 v[62:63], v[72:73], v[62:63]
	v_or_b32_e32 v80, v61, v33
	v_bitop3_b16 v33, v74, v61, v33 bitop3:0xfe
	s_delay_alu instid0(VALU_DEP_3) | instskip(NEXT) | instid1(VALU_DEP_3)
	v_dual_cndmask_b32 v73, 0, v63, s14 :: v_dual_cndmask_b32 v72, 0, v62, s14
	v_bitop3_b16 v61, v75, v74, v80 bitop3:0xfe
	v_cmp_eq_u16_e64 s14, 0, v79
	v_bitop3_b16 v74, v74, 1, v80 bitop3:0xc8
	v_bitop3_b16 v80, v75, 1, v33 bitop3:0xc8
	v_add_nc_u64_e32 v[64:65], v[72:73], v[64:65]
	v_bitop3_b16 v72, v77, v76, v61 bitop3:0xfe
	v_bitop3_b16 v33, v76, v75, v33 bitop3:0xfe
	;; [unrolled: 1-line block ×3, first 2 shown]
	ds_store_2addr_b64 v32, v[4:5], v[70:71] offset0:2 offset1:4
	ds_store_2addr_b64 v32, v[66:67], v[68:69] offset0:6 offset1:8
	;; [unrolled: 1-line block ×3, first 2 shown]
	v_bitop3_b16 v76, v78, 1, v72 bitop3:0xc8
	v_dual_cndmask_b32 v73, 0, v65, s14 :: v_dual_cndmask_b32 v72, 0, v64, s14
	v_bitop3_b16 v75, v78, v77, v33 bitop3:0xfe
	v_bitop3_b16 v33, v77, 1, v33 bitop3:0xc8
	s_delay_alu instid0(VALU_DEP_3) | instskip(NEXT) | instid1(VALU_DEP_3)
	v_add_nc_u64_e32 v[4:5], v[72:73], v[20:21]
	v_bitop3_b16 v75, v79, 1, v75 bitop3:0xc8
	ds_store_b8 v32, v81 offset:24
	ds_store_b8 v32, v74 offset:40
	;; [unrolled: 1-line block ×6, first 2 shown]
	ds_store_b64 v32, v[4:5] offset:112
	ds_store_b8 v32, v75 offset:120
.LBB127_196:
	s_or_b32 exec_lo, exec_lo, s17
	s_wait_dscnt 0x0
	s_barrier_signal -1
	s_barrier_wait -1
	s_and_saveexec_b32 s14, s3
	s_cbranch_execz .LBB127_198
; %bb.197:
	v_and_b32_e32 v1, 0xff, v1
	s_delay_alu instid0(VALU_DEP_1) | instskip(SKIP_1) | instid1(VALU_DEP_1)
	v_cmp_eq_u16_e64 s3, 0, v1
	v_add_nc_u32_e32 v4, -1, v0
	v_lshrrev_b32_e32 v5, 1, v4
	s_delay_alu instid0(VALU_DEP_1) | instskip(NEXT) | instid1(VALU_DEP_1)
	v_and_b32_e32 v5, 0x7ffffff0, v5
	v_lshl_add_u32 v4, v4, 4, v5
	ds_load_b64 v[4:5], v4
	;;#ASMSTART
	;;#ASMEND
	s_wait_dscnt 0x0
	v_dual_cndmask_b32 v5, 0, v5, s3 :: v_dual_cndmask_b32 v4, 0, v4, s3
	s_delay_alu instid0(VALU_DEP_1) | instskip(NEXT) | instid1(VALU_DEP_1)
	v_add_nc_u64_e32 v[2:3], v[4:5], v[2:3]
	v_dual_cndmask_b32 v5, 0, v3 :: v_dual_cndmask_b32 v4, 0, v2
	s_delay_alu instid0(VALU_DEP_1) | instskip(NEXT) | instid1(VALU_DEP_1)
	v_add_nc_u64_e32 v[34:35], v[4:5], v[6:7]
	v_dual_cndmask_b32 v5, 0, v35, s0 :: v_dual_cndmask_b32 v4, 0, v34, s0
	s_delay_alu instid0(VALU_DEP_1) | instskip(NEXT) | instid1(VALU_DEP_1)
	v_add_nc_u64_e32 v[36:37], v[4:5], v[12:13]
	v_dual_cndmask_b32 v5, 0, v37, s1 :: v_dual_cndmask_b32 v4, 0, v36, s1
	;; [unrolled: 3-line block ×12, first 2 shown]
	s_delay_alu instid0(VALU_DEP_1)
	v_add_nc_u64_e32 v[58:59], v[4:5], v[8:9]
.LBB127_198:
	s_or_b32 exec_lo, exec_lo, s14
	s_and_saveexec_b32 s0, s2
	s_cbranch_execz .LBB127_200
; %bb.199:
	v_dual_mov_b32 v1, 0 :: v_dual_mov_b32 v7, 2
	ds_load_b64 v[4:5], v1 offset:4192
	ds_load_u8 v6, v1 offset:4200
	s_wait_dscnt 0x1
	global_store_b64 v1, v[4:5], s[26:27] offset:512
	s_wait_dscnt 0x0
	global_store_b8 v1, v6, s[26:27] offset:520
	global_wb scope:SCOPE_DEV
	s_wait_storecnt 0x0
	global_inv scope:SCOPE_DEV
	s_wait_xcnt 0x0
	global_store_b8 v1, v7, s[28:29] offset:32 scope:SCOPE_DEV
.LBB127_200:
	s_wait_xcnt 0x0
	s_or_b32 exec_lo, exec_lo, s0
	v_mov_b64_e32 v[32:33], v[2:3]
	s_add_nc_u64 s[0:1], s[34:35], s[44:45]
	s_and_b32 vcc_lo, exec_lo, s31
	s_add_nc_u64 s[0:1], s[0:1], s[36:37]
	s_cbranch_vccnz .LBB127_130
.LBB127_201:
	s_mov_b32 s2, 0
                                        ; implicit-def: $vgpr4_vgpr5
	s_cbranch_execz .LBB127_203
; %bb.202:
	v_mul_u32_u24_e32 v1, 0x70, v0
	v_mul_i32_i24_e32 v2, 0xffffff98, v0
	s_wait_storecnt 0x0
	s_wait_loadcnt_dscnt 0x0
	s_barrier_signal -1
	s_barrier_wait -1
	ds_store_b128 v1, v[32:35]
	ds_store_b128 v1, v[36:39] offset:16
	ds_store_b128 v1, v[40:43] offset:32
	;; [unrolled: 1-line block ×6, first 2 shown]
	v_mad_u32_u24 v1, 0x70, v0, v2
	s_wait_dscnt 0x0
	s_barrier_signal -1
	s_barrier_wait -1
	ds_load_2addr_stride64_b64 v[6:9], v1 offset1:4
	ds_load_2addr_stride64_b64 v[10:13], v1 offset0:8 offset1:12
	ds_load_2addr_stride64_b64 v[14:17], v1 offset0:16 offset1:20
	;; [unrolled: 1-line block ×6, first 2 shown]
	s_or_b32 s2, s2, exec_lo
	s_wait_dscnt 0x6
	s_clause 0x1
	global_store_b64 v0, v[6:7], s[0:1] scale_offset
	global_store_b64 v0, v[8:9], s[0:1] offset:2048 scale_offset
	s_wait_dscnt 0x5
	s_clause 0x1
	global_store_b64 v0, v[10:11], s[0:1] offset:4096 scale_offset
	global_store_b64 v0, v[12:13], s[0:1] offset:6144 scale_offset
	s_wait_dscnt 0x4
	s_clause 0x1
	global_store_b64 v0, v[14:15], s[0:1] offset:8192 scale_offset
	;; [unrolled: 4-line block ×5, first 2 shown]
	global_store_b64 v0, v[28:29], s[0:1] offset:22528 scale_offset
	s_wait_dscnt 0x0
	global_store_b64 v0, v[2:3], s[0:1] offset:24576 scale_offset
.LBB127_203:
	s_wait_xcnt 0x0
	s_delay_alu instid0(VALU_DEP_1)
	s_and_saveexec_b32 s3, s2
	s_cbranch_execnz .LBB127_205
; %bb.204:
	s_sendmsg sendmsg(MSG_DEALLOC_VGPRS)
	s_endpgm
.LBB127_205:
	s_wait_dscnt 0x0
	global_store_b64 v0, v[4:5], s[0:1] offset:26624 scale_offset
	s_sendmsg sendmsg(MSG_DEALLOC_VGPRS)
	s_endpgm
	.section	.rodata,"a",@progbits
	.p2align	6, 0x0
	.amdhsa_kernel _ZN7rocprim17ROCPRIM_400000_NS6detail17trampoline_kernelINS0_14default_configENS1_27scan_by_key_config_selectorIllEEZZNS1_16scan_by_key_implILNS1_25lookback_scan_determinismE0ELb0ES3_PKlN6hipcub16HIPCUB_304000_NS21ConstantInputIteratorIllEEPllNSB_3SumENSB_8EqualityElEE10hipError_tPvRmT2_T3_T4_T5_mT6_T7_P12ihipStream_tbENKUlT_T0_E_clISt17integral_constantIbLb0EESW_IbLb1EEEEDaSS_ST_EUlSS_E_NS1_11comp_targetILNS1_3genE0ELNS1_11target_archE4294967295ELNS1_3gpuE0ELNS1_3repE0EEENS1_30default_config_static_selectorELNS0_4arch9wavefront6targetE0EEEvT1_
		.amdhsa_group_segment_fixed_size 32768
		.amdhsa_private_segment_fixed_size 0
		.amdhsa_kernarg_size 144
		.amdhsa_user_sgpr_count 2
		.amdhsa_user_sgpr_dispatch_ptr 0
		.amdhsa_user_sgpr_queue_ptr 0
		.amdhsa_user_sgpr_kernarg_segment_ptr 1
		.amdhsa_user_sgpr_dispatch_id 0
		.amdhsa_user_sgpr_kernarg_preload_length 0
		.amdhsa_user_sgpr_kernarg_preload_offset 0
		.amdhsa_user_sgpr_private_segment_size 0
		.amdhsa_wavefront_size32 1
		.amdhsa_uses_dynamic_stack 0
		.amdhsa_enable_private_segment 0
		.amdhsa_system_sgpr_workgroup_id_x 1
		.amdhsa_system_sgpr_workgroup_id_y 0
		.amdhsa_system_sgpr_workgroup_id_z 0
		.amdhsa_system_sgpr_workgroup_info 0
		.amdhsa_system_vgpr_workitem_id 0
		.amdhsa_next_free_vgpr 109
		.amdhsa_next_free_sgpr 50
		.amdhsa_named_barrier_count 0
		.amdhsa_reserve_vcc 1
		.amdhsa_float_round_mode_32 0
		.amdhsa_float_round_mode_16_64 0
		.amdhsa_float_denorm_mode_32 3
		.amdhsa_float_denorm_mode_16_64 3
		.amdhsa_fp16_overflow 0
		.amdhsa_memory_ordered 1
		.amdhsa_forward_progress 1
		.amdhsa_inst_pref_size 118
		.amdhsa_round_robin_scheduling 0
		.amdhsa_exception_fp_ieee_invalid_op 0
		.amdhsa_exception_fp_denorm_src 0
		.amdhsa_exception_fp_ieee_div_zero 0
		.amdhsa_exception_fp_ieee_overflow 0
		.amdhsa_exception_fp_ieee_underflow 0
		.amdhsa_exception_fp_ieee_inexact 0
		.amdhsa_exception_int_div_zero 0
	.end_amdhsa_kernel
	.section	.text._ZN7rocprim17ROCPRIM_400000_NS6detail17trampoline_kernelINS0_14default_configENS1_27scan_by_key_config_selectorIllEEZZNS1_16scan_by_key_implILNS1_25lookback_scan_determinismE0ELb0ES3_PKlN6hipcub16HIPCUB_304000_NS21ConstantInputIteratorIllEEPllNSB_3SumENSB_8EqualityElEE10hipError_tPvRmT2_T3_T4_T5_mT6_T7_P12ihipStream_tbENKUlT_T0_E_clISt17integral_constantIbLb0EESW_IbLb1EEEEDaSS_ST_EUlSS_E_NS1_11comp_targetILNS1_3genE0ELNS1_11target_archE4294967295ELNS1_3gpuE0ELNS1_3repE0EEENS1_30default_config_static_selectorELNS0_4arch9wavefront6targetE0EEEvT1_,"axG",@progbits,_ZN7rocprim17ROCPRIM_400000_NS6detail17trampoline_kernelINS0_14default_configENS1_27scan_by_key_config_selectorIllEEZZNS1_16scan_by_key_implILNS1_25lookback_scan_determinismE0ELb0ES3_PKlN6hipcub16HIPCUB_304000_NS21ConstantInputIteratorIllEEPllNSB_3SumENSB_8EqualityElEE10hipError_tPvRmT2_T3_T4_T5_mT6_T7_P12ihipStream_tbENKUlT_T0_E_clISt17integral_constantIbLb0EESW_IbLb1EEEEDaSS_ST_EUlSS_E_NS1_11comp_targetILNS1_3genE0ELNS1_11target_archE4294967295ELNS1_3gpuE0ELNS1_3repE0EEENS1_30default_config_static_selectorELNS0_4arch9wavefront6targetE0EEEvT1_,comdat
.Lfunc_end127:
	.size	_ZN7rocprim17ROCPRIM_400000_NS6detail17trampoline_kernelINS0_14default_configENS1_27scan_by_key_config_selectorIllEEZZNS1_16scan_by_key_implILNS1_25lookback_scan_determinismE0ELb0ES3_PKlN6hipcub16HIPCUB_304000_NS21ConstantInputIteratorIllEEPllNSB_3SumENSB_8EqualityElEE10hipError_tPvRmT2_T3_T4_T5_mT6_T7_P12ihipStream_tbENKUlT_T0_E_clISt17integral_constantIbLb0EESW_IbLb1EEEEDaSS_ST_EUlSS_E_NS1_11comp_targetILNS1_3genE0ELNS1_11target_archE4294967295ELNS1_3gpuE0ELNS1_3repE0EEENS1_30default_config_static_selectorELNS0_4arch9wavefront6targetE0EEEvT1_, .Lfunc_end127-_ZN7rocprim17ROCPRIM_400000_NS6detail17trampoline_kernelINS0_14default_configENS1_27scan_by_key_config_selectorIllEEZZNS1_16scan_by_key_implILNS1_25lookback_scan_determinismE0ELb0ES3_PKlN6hipcub16HIPCUB_304000_NS21ConstantInputIteratorIllEEPllNSB_3SumENSB_8EqualityElEE10hipError_tPvRmT2_T3_T4_T5_mT6_T7_P12ihipStream_tbENKUlT_T0_E_clISt17integral_constantIbLb0EESW_IbLb1EEEEDaSS_ST_EUlSS_E_NS1_11comp_targetILNS1_3genE0ELNS1_11target_archE4294967295ELNS1_3gpuE0ELNS1_3repE0EEENS1_30default_config_static_selectorELNS0_4arch9wavefront6targetE0EEEvT1_
                                        ; -- End function
	.set _ZN7rocprim17ROCPRIM_400000_NS6detail17trampoline_kernelINS0_14default_configENS1_27scan_by_key_config_selectorIllEEZZNS1_16scan_by_key_implILNS1_25lookback_scan_determinismE0ELb0ES3_PKlN6hipcub16HIPCUB_304000_NS21ConstantInputIteratorIllEEPllNSB_3SumENSB_8EqualityElEE10hipError_tPvRmT2_T3_T4_T5_mT6_T7_P12ihipStream_tbENKUlT_T0_E_clISt17integral_constantIbLb0EESW_IbLb1EEEEDaSS_ST_EUlSS_E_NS1_11comp_targetILNS1_3genE0ELNS1_11target_archE4294967295ELNS1_3gpuE0ELNS1_3repE0EEENS1_30default_config_static_selectorELNS0_4arch9wavefront6targetE0EEEvT1_.num_vgpr, 109
	.set _ZN7rocprim17ROCPRIM_400000_NS6detail17trampoline_kernelINS0_14default_configENS1_27scan_by_key_config_selectorIllEEZZNS1_16scan_by_key_implILNS1_25lookback_scan_determinismE0ELb0ES3_PKlN6hipcub16HIPCUB_304000_NS21ConstantInputIteratorIllEEPllNSB_3SumENSB_8EqualityElEE10hipError_tPvRmT2_T3_T4_T5_mT6_T7_P12ihipStream_tbENKUlT_T0_E_clISt17integral_constantIbLb0EESW_IbLb1EEEEDaSS_ST_EUlSS_E_NS1_11comp_targetILNS1_3genE0ELNS1_11target_archE4294967295ELNS1_3gpuE0ELNS1_3repE0EEENS1_30default_config_static_selectorELNS0_4arch9wavefront6targetE0EEEvT1_.num_agpr, 0
	.set _ZN7rocprim17ROCPRIM_400000_NS6detail17trampoline_kernelINS0_14default_configENS1_27scan_by_key_config_selectorIllEEZZNS1_16scan_by_key_implILNS1_25lookback_scan_determinismE0ELb0ES3_PKlN6hipcub16HIPCUB_304000_NS21ConstantInputIteratorIllEEPllNSB_3SumENSB_8EqualityElEE10hipError_tPvRmT2_T3_T4_T5_mT6_T7_P12ihipStream_tbENKUlT_T0_E_clISt17integral_constantIbLb0EESW_IbLb1EEEEDaSS_ST_EUlSS_E_NS1_11comp_targetILNS1_3genE0ELNS1_11target_archE4294967295ELNS1_3gpuE0ELNS1_3repE0EEENS1_30default_config_static_selectorELNS0_4arch9wavefront6targetE0EEEvT1_.numbered_sgpr, 50
	.set _ZN7rocprim17ROCPRIM_400000_NS6detail17trampoline_kernelINS0_14default_configENS1_27scan_by_key_config_selectorIllEEZZNS1_16scan_by_key_implILNS1_25lookback_scan_determinismE0ELb0ES3_PKlN6hipcub16HIPCUB_304000_NS21ConstantInputIteratorIllEEPllNSB_3SumENSB_8EqualityElEE10hipError_tPvRmT2_T3_T4_T5_mT6_T7_P12ihipStream_tbENKUlT_T0_E_clISt17integral_constantIbLb0EESW_IbLb1EEEEDaSS_ST_EUlSS_E_NS1_11comp_targetILNS1_3genE0ELNS1_11target_archE4294967295ELNS1_3gpuE0ELNS1_3repE0EEENS1_30default_config_static_selectorELNS0_4arch9wavefront6targetE0EEEvT1_.num_named_barrier, 0
	.set _ZN7rocprim17ROCPRIM_400000_NS6detail17trampoline_kernelINS0_14default_configENS1_27scan_by_key_config_selectorIllEEZZNS1_16scan_by_key_implILNS1_25lookback_scan_determinismE0ELb0ES3_PKlN6hipcub16HIPCUB_304000_NS21ConstantInputIteratorIllEEPllNSB_3SumENSB_8EqualityElEE10hipError_tPvRmT2_T3_T4_T5_mT6_T7_P12ihipStream_tbENKUlT_T0_E_clISt17integral_constantIbLb0EESW_IbLb1EEEEDaSS_ST_EUlSS_E_NS1_11comp_targetILNS1_3genE0ELNS1_11target_archE4294967295ELNS1_3gpuE0ELNS1_3repE0EEENS1_30default_config_static_selectorELNS0_4arch9wavefront6targetE0EEEvT1_.private_seg_size, 0
	.set _ZN7rocprim17ROCPRIM_400000_NS6detail17trampoline_kernelINS0_14default_configENS1_27scan_by_key_config_selectorIllEEZZNS1_16scan_by_key_implILNS1_25lookback_scan_determinismE0ELb0ES3_PKlN6hipcub16HIPCUB_304000_NS21ConstantInputIteratorIllEEPllNSB_3SumENSB_8EqualityElEE10hipError_tPvRmT2_T3_T4_T5_mT6_T7_P12ihipStream_tbENKUlT_T0_E_clISt17integral_constantIbLb0EESW_IbLb1EEEEDaSS_ST_EUlSS_E_NS1_11comp_targetILNS1_3genE0ELNS1_11target_archE4294967295ELNS1_3gpuE0ELNS1_3repE0EEENS1_30default_config_static_selectorELNS0_4arch9wavefront6targetE0EEEvT1_.uses_vcc, 1
	.set _ZN7rocprim17ROCPRIM_400000_NS6detail17trampoline_kernelINS0_14default_configENS1_27scan_by_key_config_selectorIllEEZZNS1_16scan_by_key_implILNS1_25lookback_scan_determinismE0ELb0ES3_PKlN6hipcub16HIPCUB_304000_NS21ConstantInputIteratorIllEEPllNSB_3SumENSB_8EqualityElEE10hipError_tPvRmT2_T3_T4_T5_mT6_T7_P12ihipStream_tbENKUlT_T0_E_clISt17integral_constantIbLb0EESW_IbLb1EEEEDaSS_ST_EUlSS_E_NS1_11comp_targetILNS1_3genE0ELNS1_11target_archE4294967295ELNS1_3gpuE0ELNS1_3repE0EEENS1_30default_config_static_selectorELNS0_4arch9wavefront6targetE0EEEvT1_.uses_flat_scratch, 0
	.set _ZN7rocprim17ROCPRIM_400000_NS6detail17trampoline_kernelINS0_14default_configENS1_27scan_by_key_config_selectorIllEEZZNS1_16scan_by_key_implILNS1_25lookback_scan_determinismE0ELb0ES3_PKlN6hipcub16HIPCUB_304000_NS21ConstantInputIteratorIllEEPllNSB_3SumENSB_8EqualityElEE10hipError_tPvRmT2_T3_T4_T5_mT6_T7_P12ihipStream_tbENKUlT_T0_E_clISt17integral_constantIbLb0EESW_IbLb1EEEEDaSS_ST_EUlSS_E_NS1_11comp_targetILNS1_3genE0ELNS1_11target_archE4294967295ELNS1_3gpuE0ELNS1_3repE0EEENS1_30default_config_static_selectorELNS0_4arch9wavefront6targetE0EEEvT1_.has_dyn_sized_stack, 0
	.set _ZN7rocprim17ROCPRIM_400000_NS6detail17trampoline_kernelINS0_14default_configENS1_27scan_by_key_config_selectorIllEEZZNS1_16scan_by_key_implILNS1_25lookback_scan_determinismE0ELb0ES3_PKlN6hipcub16HIPCUB_304000_NS21ConstantInputIteratorIllEEPllNSB_3SumENSB_8EqualityElEE10hipError_tPvRmT2_T3_T4_T5_mT6_T7_P12ihipStream_tbENKUlT_T0_E_clISt17integral_constantIbLb0EESW_IbLb1EEEEDaSS_ST_EUlSS_E_NS1_11comp_targetILNS1_3genE0ELNS1_11target_archE4294967295ELNS1_3gpuE0ELNS1_3repE0EEENS1_30default_config_static_selectorELNS0_4arch9wavefront6targetE0EEEvT1_.has_recursion, 0
	.set _ZN7rocprim17ROCPRIM_400000_NS6detail17trampoline_kernelINS0_14default_configENS1_27scan_by_key_config_selectorIllEEZZNS1_16scan_by_key_implILNS1_25lookback_scan_determinismE0ELb0ES3_PKlN6hipcub16HIPCUB_304000_NS21ConstantInputIteratorIllEEPllNSB_3SumENSB_8EqualityElEE10hipError_tPvRmT2_T3_T4_T5_mT6_T7_P12ihipStream_tbENKUlT_T0_E_clISt17integral_constantIbLb0EESW_IbLb1EEEEDaSS_ST_EUlSS_E_NS1_11comp_targetILNS1_3genE0ELNS1_11target_archE4294967295ELNS1_3gpuE0ELNS1_3repE0EEENS1_30default_config_static_selectorELNS0_4arch9wavefront6targetE0EEEvT1_.has_indirect_call, 0
	.section	.AMDGPU.csdata,"",@progbits
; Kernel info:
; codeLenInByte = 15092
; TotalNumSgprs: 52
; NumVgprs: 109
; ScratchSize: 0
; MemoryBound: 0
; FloatMode: 240
; IeeeMode: 1
; LDSByteSize: 32768 bytes/workgroup (compile time only)
; SGPRBlocks: 0
; VGPRBlocks: 6
; NumSGPRsForWavesPerEU: 52
; NumVGPRsForWavesPerEU: 109
; NamedBarCnt: 0
; Occupancy: 9
; WaveLimiterHint : 1
; COMPUTE_PGM_RSRC2:SCRATCH_EN: 0
; COMPUTE_PGM_RSRC2:USER_SGPR: 2
; COMPUTE_PGM_RSRC2:TRAP_HANDLER: 0
; COMPUTE_PGM_RSRC2:TGID_X_EN: 1
; COMPUTE_PGM_RSRC2:TGID_Y_EN: 0
; COMPUTE_PGM_RSRC2:TGID_Z_EN: 0
; COMPUTE_PGM_RSRC2:TIDIG_COMP_CNT: 0
	.section	.text._ZN7rocprim17ROCPRIM_400000_NS6detail17trampoline_kernelINS0_14default_configENS1_27scan_by_key_config_selectorIllEEZZNS1_16scan_by_key_implILNS1_25lookback_scan_determinismE0ELb0ES3_PKlN6hipcub16HIPCUB_304000_NS21ConstantInputIteratorIllEEPllNSB_3SumENSB_8EqualityElEE10hipError_tPvRmT2_T3_T4_T5_mT6_T7_P12ihipStream_tbENKUlT_T0_E_clISt17integral_constantIbLb0EESW_IbLb1EEEEDaSS_ST_EUlSS_E_NS1_11comp_targetILNS1_3genE10ELNS1_11target_archE1201ELNS1_3gpuE5ELNS1_3repE0EEENS1_30default_config_static_selectorELNS0_4arch9wavefront6targetE0EEEvT1_,"axG",@progbits,_ZN7rocprim17ROCPRIM_400000_NS6detail17trampoline_kernelINS0_14default_configENS1_27scan_by_key_config_selectorIllEEZZNS1_16scan_by_key_implILNS1_25lookback_scan_determinismE0ELb0ES3_PKlN6hipcub16HIPCUB_304000_NS21ConstantInputIteratorIllEEPllNSB_3SumENSB_8EqualityElEE10hipError_tPvRmT2_T3_T4_T5_mT6_T7_P12ihipStream_tbENKUlT_T0_E_clISt17integral_constantIbLb0EESW_IbLb1EEEEDaSS_ST_EUlSS_E_NS1_11comp_targetILNS1_3genE10ELNS1_11target_archE1201ELNS1_3gpuE5ELNS1_3repE0EEENS1_30default_config_static_selectorELNS0_4arch9wavefront6targetE0EEEvT1_,comdat
	.protected	_ZN7rocprim17ROCPRIM_400000_NS6detail17trampoline_kernelINS0_14default_configENS1_27scan_by_key_config_selectorIllEEZZNS1_16scan_by_key_implILNS1_25lookback_scan_determinismE0ELb0ES3_PKlN6hipcub16HIPCUB_304000_NS21ConstantInputIteratorIllEEPllNSB_3SumENSB_8EqualityElEE10hipError_tPvRmT2_T3_T4_T5_mT6_T7_P12ihipStream_tbENKUlT_T0_E_clISt17integral_constantIbLb0EESW_IbLb1EEEEDaSS_ST_EUlSS_E_NS1_11comp_targetILNS1_3genE10ELNS1_11target_archE1201ELNS1_3gpuE5ELNS1_3repE0EEENS1_30default_config_static_selectorELNS0_4arch9wavefront6targetE0EEEvT1_ ; -- Begin function _ZN7rocprim17ROCPRIM_400000_NS6detail17trampoline_kernelINS0_14default_configENS1_27scan_by_key_config_selectorIllEEZZNS1_16scan_by_key_implILNS1_25lookback_scan_determinismE0ELb0ES3_PKlN6hipcub16HIPCUB_304000_NS21ConstantInputIteratorIllEEPllNSB_3SumENSB_8EqualityElEE10hipError_tPvRmT2_T3_T4_T5_mT6_T7_P12ihipStream_tbENKUlT_T0_E_clISt17integral_constantIbLb0EESW_IbLb1EEEEDaSS_ST_EUlSS_E_NS1_11comp_targetILNS1_3genE10ELNS1_11target_archE1201ELNS1_3gpuE5ELNS1_3repE0EEENS1_30default_config_static_selectorELNS0_4arch9wavefront6targetE0EEEvT1_
	.globl	_ZN7rocprim17ROCPRIM_400000_NS6detail17trampoline_kernelINS0_14default_configENS1_27scan_by_key_config_selectorIllEEZZNS1_16scan_by_key_implILNS1_25lookback_scan_determinismE0ELb0ES3_PKlN6hipcub16HIPCUB_304000_NS21ConstantInputIteratorIllEEPllNSB_3SumENSB_8EqualityElEE10hipError_tPvRmT2_T3_T4_T5_mT6_T7_P12ihipStream_tbENKUlT_T0_E_clISt17integral_constantIbLb0EESW_IbLb1EEEEDaSS_ST_EUlSS_E_NS1_11comp_targetILNS1_3genE10ELNS1_11target_archE1201ELNS1_3gpuE5ELNS1_3repE0EEENS1_30default_config_static_selectorELNS0_4arch9wavefront6targetE0EEEvT1_
	.p2align	8
	.type	_ZN7rocprim17ROCPRIM_400000_NS6detail17trampoline_kernelINS0_14default_configENS1_27scan_by_key_config_selectorIllEEZZNS1_16scan_by_key_implILNS1_25lookback_scan_determinismE0ELb0ES3_PKlN6hipcub16HIPCUB_304000_NS21ConstantInputIteratorIllEEPllNSB_3SumENSB_8EqualityElEE10hipError_tPvRmT2_T3_T4_T5_mT6_T7_P12ihipStream_tbENKUlT_T0_E_clISt17integral_constantIbLb0EESW_IbLb1EEEEDaSS_ST_EUlSS_E_NS1_11comp_targetILNS1_3genE10ELNS1_11target_archE1201ELNS1_3gpuE5ELNS1_3repE0EEENS1_30default_config_static_selectorELNS0_4arch9wavefront6targetE0EEEvT1_,@function
_ZN7rocprim17ROCPRIM_400000_NS6detail17trampoline_kernelINS0_14default_configENS1_27scan_by_key_config_selectorIllEEZZNS1_16scan_by_key_implILNS1_25lookback_scan_determinismE0ELb0ES3_PKlN6hipcub16HIPCUB_304000_NS21ConstantInputIteratorIllEEPllNSB_3SumENSB_8EqualityElEE10hipError_tPvRmT2_T3_T4_T5_mT6_T7_P12ihipStream_tbENKUlT_T0_E_clISt17integral_constantIbLb0EESW_IbLb1EEEEDaSS_ST_EUlSS_E_NS1_11comp_targetILNS1_3genE10ELNS1_11target_archE1201ELNS1_3gpuE5ELNS1_3repE0EEENS1_30default_config_static_selectorELNS0_4arch9wavefront6targetE0EEEvT1_: ; @_ZN7rocprim17ROCPRIM_400000_NS6detail17trampoline_kernelINS0_14default_configENS1_27scan_by_key_config_selectorIllEEZZNS1_16scan_by_key_implILNS1_25lookback_scan_determinismE0ELb0ES3_PKlN6hipcub16HIPCUB_304000_NS21ConstantInputIteratorIllEEPllNSB_3SumENSB_8EqualityElEE10hipError_tPvRmT2_T3_T4_T5_mT6_T7_P12ihipStream_tbENKUlT_T0_E_clISt17integral_constantIbLb0EESW_IbLb1EEEEDaSS_ST_EUlSS_E_NS1_11comp_targetILNS1_3genE10ELNS1_11target_archE1201ELNS1_3gpuE5ELNS1_3repE0EEENS1_30default_config_static_selectorELNS0_4arch9wavefront6targetE0EEEvT1_
; %bb.0:
	.section	.rodata,"a",@progbits
	.p2align	6, 0x0
	.amdhsa_kernel _ZN7rocprim17ROCPRIM_400000_NS6detail17trampoline_kernelINS0_14default_configENS1_27scan_by_key_config_selectorIllEEZZNS1_16scan_by_key_implILNS1_25lookback_scan_determinismE0ELb0ES3_PKlN6hipcub16HIPCUB_304000_NS21ConstantInputIteratorIllEEPllNSB_3SumENSB_8EqualityElEE10hipError_tPvRmT2_T3_T4_T5_mT6_T7_P12ihipStream_tbENKUlT_T0_E_clISt17integral_constantIbLb0EESW_IbLb1EEEEDaSS_ST_EUlSS_E_NS1_11comp_targetILNS1_3genE10ELNS1_11target_archE1201ELNS1_3gpuE5ELNS1_3repE0EEENS1_30default_config_static_selectorELNS0_4arch9wavefront6targetE0EEEvT1_
		.amdhsa_group_segment_fixed_size 0
		.amdhsa_private_segment_fixed_size 0
		.amdhsa_kernarg_size 144
		.amdhsa_user_sgpr_count 2
		.amdhsa_user_sgpr_dispatch_ptr 0
		.amdhsa_user_sgpr_queue_ptr 0
		.amdhsa_user_sgpr_kernarg_segment_ptr 1
		.amdhsa_user_sgpr_dispatch_id 0
		.amdhsa_user_sgpr_kernarg_preload_length 0
		.amdhsa_user_sgpr_kernarg_preload_offset 0
		.amdhsa_user_sgpr_private_segment_size 0
		.amdhsa_wavefront_size32 1
		.amdhsa_uses_dynamic_stack 0
		.amdhsa_enable_private_segment 0
		.amdhsa_system_sgpr_workgroup_id_x 1
		.amdhsa_system_sgpr_workgroup_id_y 0
		.amdhsa_system_sgpr_workgroup_id_z 0
		.amdhsa_system_sgpr_workgroup_info 0
		.amdhsa_system_vgpr_workitem_id 0
		.amdhsa_next_free_vgpr 1
		.amdhsa_next_free_sgpr 1
		.amdhsa_named_barrier_count 0
		.amdhsa_reserve_vcc 0
		.amdhsa_float_round_mode_32 0
		.amdhsa_float_round_mode_16_64 0
		.amdhsa_float_denorm_mode_32 3
		.amdhsa_float_denorm_mode_16_64 3
		.amdhsa_fp16_overflow 0
		.amdhsa_memory_ordered 1
		.amdhsa_forward_progress 1
		.amdhsa_inst_pref_size 0
		.amdhsa_round_robin_scheduling 0
		.amdhsa_exception_fp_ieee_invalid_op 0
		.amdhsa_exception_fp_denorm_src 0
		.amdhsa_exception_fp_ieee_div_zero 0
		.amdhsa_exception_fp_ieee_overflow 0
		.amdhsa_exception_fp_ieee_underflow 0
		.amdhsa_exception_fp_ieee_inexact 0
		.amdhsa_exception_int_div_zero 0
	.end_amdhsa_kernel
	.section	.text._ZN7rocprim17ROCPRIM_400000_NS6detail17trampoline_kernelINS0_14default_configENS1_27scan_by_key_config_selectorIllEEZZNS1_16scan_by_key_implILNS1_25lookback_scan_determinismE0ELb0ES3_PKlN6hipcub16HIPCUB_304000_NS21ConstantInputIteratorIllEEPllNSB_3SumENSB_8EqualityElEE10hipError_tPvRmT2_T3_T4_T5_mT6_T7_P12ihipStream_tbENKUlT_T0_E_clISt17integral_constantIbLb0EESW_IbLb1EEEEDaSS_ST_EUlSS_E_NS1_11comp_targetILNS1_3genE10ELNS1_11target_archE1201ELNS1_3gpuE5ELNS1_3repE0EEENS1_30default_config_static_selectorELNS0_4arch9wavefront6targetE0EEEvT1_,"axG",@progbits,_ZN7rocprim17ROCPRIM_400000_NS6detail17trampoline_kernelINS0_14default_configENS1_27scan_by_key_config_selectorIllEEZZNS1_16scan_by_key_implILNS1_25lookback_scan_determinismE0ELb0ES3_PKlN6hipcub16HIPCUB_304000_NS21ConstantInputIteratorIllEEPllNSB_3SumENSB_8EqualityElEE10hipError_tPvRmT2_T3_T4_T5_mT6_T7_P12ihipStream_tbENKUlT_T0_E_clISt17integral_constantIbLb0EESW_IbLb1EEEEDaSS_ST_EUlSS_E_NS1_11comp_targetILNS1_3genE10ELNS1_11target_archE1201ELNS1_3gpuE5ELNS1_3repE0EEENS1_30default_config_static_selectorELNS0_4arch9wavefront6targetE0EEEvT1_,comdat
.Lfunc_end128:
	.size	_ZN7rocprim17ROCPRIM_400000_NS6detail17trampoline_kernelINS0_14default_configENS1_27scan_by_key_config_selectorIllEEZZNS1_16scan_by_key_implILNS1_25lookback_scan_determinismE0ELb0ES3_PKlN6hipcub16HIPCUB_304000_NS21ConstantInputIteratorIllEEPllNSB_3SumENSB_8EqualityElEE10hipError_tPvRmT2_T3_T4_T5_mT6_T7_P12ihipStream_tbENKUlT_T0_E_clISt17integral_constantIbLb0EESW_IbLb1EEEEDaSS_ST_EUlSS_E_NS1_11comp_targetILNS1_3genE10ELNS1_11target_archE1201ELNS1_3gpuE5ELNS1_3repE0EEENS1_30default_config_static_selectorELNS0_4arch9wavefront6targetE0EEEvT1_, .Lfunc_end128-_ZN7rocprim17ROCPRIM_400000_NS6detail17trampoline_kernelINS0_14default_configENS1_27scan_by_key_config_selectorIllEEZZNS1_16scan_by_key_implILNS1_25lookback_scan_determinismE0ELb0ES3_PKlN6hipcub16HIPCUB_304000_NS21ConstantInputIteratorIllEEPllNSB_3SumENSB_8EqualityElEE10hipError_tPvRmT2_T3_T4_T5_mT6_T7_P12ihipStream_tbENKUlT_T0_E_clISt17integral_constantIbLb0EESW_IbLb1EEEEDaSS_ST_EUlSS_E_NS1_11comp_targetILNS1_3genE10ELNS1_11target_archE1201ELNS1_3gpuE5ELNS1_3repE0EEENS1_30default_config_static_selectorELNS0_4arch9wavefront6targetE0EEEvT1_
                                        ; -- End function
	.set _ZN7rocprim17ROCPRIM_400000_NS6detail17trampoline_kernelINS0_14default_configENS1_27scan_by_key_config_selectorIllEEZZNS1_16scan_by_key_implILNS1_25lookback_scan_determinismE0ELb0ES3_PKlN6hipcub16HIPCUB_304000_NS21ConstantInputIteratorIllEEPllNSB_3SumENSB_8EqualityElEE10hipError_tPvRmT2_T3_T4_T5_mT6_T7_P12ihipStream_tbENKUlT_T0_E_clISt17integral_constantIbLb0EESW_IbLb1EEEEDaSS_ST_EUlSS_E_NS1_11comp_targetILNS1_3genE10ELNS1_11target_archE1201ELNS1_3gpuE5ELNS1_3repE0EEENS1_30default_config_static_selectorELNS0_4arch9wavefront6targetE0EEEvT1_.num_vgpr, 0
	.set _ZN7rocprim17ROCPRIM_400000_NS6detail17trampoline_kernelINS0_14default_configENS1_27scan_by_key_config_selectorIllEEZZNS1_16scan_by_key_implILNS1_25lookback_scan_determinismE0ELb0ES3_PKlN6hipcub16HIPCUB_304000_NS21ConstantInputIteratorIllEEPllNSB_3SumENSB_8EqualityElEE10hipError_tPvRmT2_T3_T4_T5_mT6_T7_P12ihipStream_tbENKUlT_T0_E_clISt17integral_constantIbLb0EESW_IbLb1EEEEDaSS_ST_EUlSS_E_NS1_11comp_targetILNS1_3genE10ELNS1_11target_archE1201ELNS1_3gpuE5ELNS1_3repE0EEENS1_30default_config_static_selectorELNS0_4arch9wavefront6targetE0EEEvT1_.num_agpr, 0
	.set _ZN7rocprim17ROCPRIM_400000_NS6detail17trampoline_kernelINS0_14default_configENS1_27scan_by_key_config_selectorIllEEZZNS1_16scan_by_key_implILNS1_25lookback_scan_determinismE0ELb0ES3_PKlN6hipcub16HIPCUB_304000_NS21ConstantInputIteratorIllEEPllNSB_3SumENSB_8EqualityElEE10hipError_tPvRmT2_T3_T4_T5_mT6_T7_P12ihipStream_tbENKUlT_T0_E_clISt17integral_constantIbLb0EESW_IbLb1EEEEDaSS_ST_EUlSS_E_NS1_11comp_targetILNS1_3genE10ELNS1_11target_archE1201ELNS1_3gpuE5ELNS1_3repE0EEENS1_30default_config_static_selectorELNS0_4arch9wavefront6targetE0EEEvT1_.numbered_sgpr, 0
	.set _ZN7rocprim17ROCPRIM_400000_NS6detail17trampoline_kernelINS0_14default_configENS1_27scan_by_key_config_selectorIllEEZZNS1_16scan_by_key_implILNS1_25lookback_scan_determinismE0ELb0ES3_PKlN6hipcub16HIPCUB_304000_NS21ConstantInputIteratorIllEEPllNSB_3SumENSB_8EqualityElEE10hipError_tPvRmT2_T3_T4_T5_mT6_T7_P12ihipStream_tbENKUlT_T0_E_clISt17integral_constantIbLb0EESW_IbLb1EEEEDaSS_ST_EUlSS_E_NS1_11comp_targetILNS1_3genE10ELNS1_11target_archE1201ELNS1_3gpuE5ELNS1_3repE0EEENS1_30default_config_static_selectorELNS0_4arch9wavefront6targetE0EEEvT1_.num_named_barrier, 0
	.set _ZN7rocprim17ROCPRIM_400000_NS6detail17trampoline_kernelINS0_14default_configENS1_27scan_by_key_config_selectorIllEEZZNS1_16scan_by_key_implILNS1_25lookback_scan_determinismE0ELb0ES3_PKlN6hipcub16HIPCUB_304000_NS21ConstantInputIteratorIllEEPllNSB_3SumENSB_8EqualityElEE10hipError_tPvRmT2_T3_T4_T5_mT6_T7_P12ihipStream_tbENKUlT_T0_E_clISt17integral_constantIbLb0EESW_IbLb1EEEEDaSS_ST_EUlSS_E_NS1_11comp_targetILNS1_3genE10ELNS1_11target_archE1201ELNS1_3gpuE5ELNS1_3repE0EEENS1_30default_config_static_selectorELNS0_4arch9wavefront6targetE0EEEvT1_.private_seg_size, 0
	.set _ZN7rocprim17ROCPRIM_400000_NS6detail17trampoline_kernelINS0_14default_configENS1_27scan_by_key_config_selectorIllEEZZNS1_16scan_by_key_implILNS1_25lookback_scan_determinismE0ELb0ES3_PKlN6hipcub16HIPCUB_304000_NS21ConstantInputIteratorIllEEPllNSB_3SumENSB_8EqualityElEE10hipError_tPvRmT2_T3_T4_T5_mT6_T7_P12ihipStream_tbENKUlT_T0_E_clISt17integral_constantIbLb0EESW_IbLb1EEEEDaSS_ST_EUlSS_E_NS1_11comp_targetILNS1_3genE10ELNS1_11target_archE1201ELNS1_3gpuE5ELNS1_3repE0EEENS1_30default_config_static_selectorELNS0_4arch9wavefront6targetE0EEEvT1_.uses_vcc, 0
	.set _ZN7rocprim17ROCPRIM_400000_NS6detail17trampoline_kernelINS0_14default_configENS1_27scan_by_key_config_selectorIllEEZZNS1_16scan_by_key_implILNS1_25lookback_scan_determinismE0ELb0ES3_PKlN6hipcub16HIPCUB_304000_NS21ConstantInputIteratorIllEEPllNSB_3SumENSB_8EqualityElEE10hipError_tPvRmT2_T3_T4_T5_mT6_T7_P12ihipStream_tbENKUlT_T0_E_clISt17integral_constantIbLb0EESW_IbLb1EEEEDaSS_ST_EUlSS_E_NS1_11comp_targetILNS1_3genE10ELNS1_11target_archE1201ELNS1_3gpuE5ELNS1_3repE0EEENS1_30default_config_static_selectorELNS0_4arch9wavefront6targetE0EEEvT1_.uses_flat_scratch, 0
	.set _ZN7rocprim17ROCPRIM_400000_NS6detail17trampoline_kernelINS0_14default_configENS1_27scan_by_key_config_selectorIllEEZZNS1_16scan_by_key_implILNS1_25lookback_scan_determinismE0ELb0ES3_PKlN6hipcub16HIPCUB_304000_NS21ConstantInputIteratorIllEEPllNSB_3SumENSB_8EqualityElEE10hipError_tPvRmT2_T3_T4_T5_mT6_T7_P12ihipStream_tbENKUlT_T0_E_clISt17integral_constantIbLb0EESW_IbLb1EEEEDaSS_ST_EUlSS_E_NS1_11comp_targetILNS1_3genE10ELNS1_11target_archE1201ELNS1_3gpuE5ELNS1_3repE0EEENS1_30default_config_static_selectorELNS0_4arch9wavefront6targetE0EEEvT1_.has_dyn_sized_stack, 0
	.set _ZN7rocprim17ROCPRIM_400000_NS6detail17trampoline_kernelINS0_14default_configENS1_27scan_by_key_config_selectorIllEEZZNS1_16scan_by_key_implILNS1_25lookback_scan_determinismE0ELb0ES3_PKlN6hipcub16HIPCUB_304000_NS21ConstantInputIteratorIllEEPllNSB_3SumENSB_8EqualityElEE10hipError_tPvRmT2_T3_T4_T5_mT6_T7_P12ihipStream_tbENKUlT_T0_E_clISt17integral_constantIbLb0EESW_IbLb1EEEEDaSS_ST_EUlSS_E_NS1_11comp_targetILNS1_3genE10ELNS1_11target_archE1201ELNS1_3gpuE5ELNS1_3repE0EEENS1_30default_config_static_selectorELNS0_4arch9wavefront6targetE0EEEvT1_.has_recursion, 0
	.set _ZN7rocprim17ROCPRIM_400000_NS6detail17trampoline_kernelINS0_14default_configENS1_27scan_by_key_config_selectorIllEEZZNS1_16scan_by_key_implILNS1_25lookback_scan_determinismE0ELb0ES3_PKlN6hipcub16HIPCUB_304000_NS21ConstantInputIteratorIllEEPllNSB_3SumENSB_8EqualityElEE10hipError_tPvRmT2_T3_T4_T5_mT6_T7_P12ihipStream_tbENKUlT_T0_E_clISt17integral_constantIbLb0EESW_IbLb1EEEEDaSS_ST_EUlSS_E_NS1_11comp_targetILNS1_3genE10ELNS1_11target_archE1201ELNS1_3gpuE5ELNS1_3repE0EEENS1_30default_config_static_selectorELNS0_4arch9wavefront6targetE0EEEvT1_.has_indirect_call, 0
	.section	.AMDGPU.csdata,"",@progbits
; Kernel info:
; codeLenInByte = 0
; TotalNumSgprs: 0
; NumVgprs: 0
; ScratchSize: 0
; MemoryBound: 0
; FloatMode: 240
; IeeeMode: 1
; LDSByteSize: 0 bytes/workgroup (compile time only)
; SGPRBlocks: 0
; VGPRBlocks: 0
; NumSGPRsForWavesPerEU: 1
; NumVGPRsForWavesPerEU: 1
; NamedBarCnt: 0
; Occupancy: 16
; WaveLimiterHint : 0
; COMPUTE_PGM_RSRC2:SCRATCH_EN: 0
; COMPUTE_PGM_RSRC2:USER_SGPR: 2
; COMPUTE_PGM_RSRC2:TRAP_HANDLER: 0
; COMPUTE_PGM_RSRC2:TGID_X_EN: 1
; COMPUTE_PGM_RSRC2:TGID_Y_EN: 0
; COMPUTE_PGM_RSRC2:TGID_Z_EN: 0
; COMPUTE_PGM_RSRC2:TIDIG_COMP_CNT: 0
	.section	.text._ZN7rocprim17ROCPRIM_400000_NS6detail17trampoline_kernelINS0_14default_configENS1_27scan_by_key_config_selectorIllEEZZNS1_16scan_by_key_implILNS1_25lookback_scan_determinismE0ELb0ES3_PKlN6hipcub16HIPCUB_304000_NS21ConstantInputIteratorIllEEPllNSB_3SumENSB_8EqualityElEE10hipError_tPvRmT2_T3_T4_T5_mT6_T7_P12ihipStream_tbENKUlT_T0_E_clISt17integral_constantIbLb0EESW_IbLb1EEEEDaSS_ST_EUlSS_E_NS1_11comp_targetILNS1_3genE5ELNS1_11target_archE942ELNS1_3gpuE9ELNS1_3repE0EEENS1_30default_config_static_selectorELNS0_4arch9wavefront6targetE0EEEvT1_,"axG",@progbits,_ZN7rocprim17ROCPRIM_400000_NS6detail17trampoline_kernelINS0_14default_configENS1_27scan_by_key_config_selectorIllEEZZNS1_16scan_by_key_implILNS1_25lookback_scan_determinismE0ELb0ES3_PKlN6hipcub16HIPCUB_304000_NS21ConstantInputIteratorIllEEPllNSB_3SumENSB_8EqualityElEE10hipError_tPvRmT2_T3_T4_T5_mT6_T7_P12ihipStream_tbENKUlT_T0_E_clISt17integral_constantIbLb0EESW_IbLb1EEEEDaSS_ST_EUlSS_E_NS1_11comp_targetILNS1_3genE5ELNS1_11target_archE942ELNS1_3gpuE9ELNS1_3repE0EEENS1_30default_config_static_selectorELNS0_4arch9wavefront6targetE0EEEvT1_,comdat
	.protected	_ZN7rocprim17ROCPRIM_400000_NS6detail17trampoline_kernelINS0_14default_configENS1_27scan_by_key_config_selectorIllEEZZNS1_16scan_by_key_implILNS1_25lookback_scan_determinismE0ELb0ES3_PKlN6hipcub16HIPCUB_304000_NS21ConstantInputIteratorIllEEPllNSB_3SumENSB_8EqualityElEE10hipError_tPvRmT2_T3_T4_T5_mT6_T7_P12ihipStream_tbENKUlT_T0_E_clISt17integral_constantIbLb0EESW_IbLb1EEEEDaSS_ST_EUlSS_E_NS1_11comp_targetILNS1_3genE5ELNS1_11target_archE942ELNS1_3gpuE9ELNS1_3repE0EEENS1_30default_config_static_selectorELNS0_4arch9wavefront6targetE0EEEvT1_ ; -- Begin function _ZN7rocprim17ROCPRIM_400000_NS6detail17trampoline_kernelINS0_14default_configENS1_27scan_by_key_config_selectorIllEEZZNS1_16scan_by_key_implILNS1_25lookback_scan_determinismE0ELb0ES3_PKlN6hipcub16HIPCUB_304000_NS21ConstantInputIteratorIllEEPllNSB_3SumENSB_8EqualityElEE10hipError_tPvRmT2_T3_T4_T5_mT6_T7_P12ihipStream_tbENKUlT_T0_E_clISt17integral_constantIbLb0EESW_IbLb1EEEEDaSS_ST_EUlSS_E_NS1_11comp_targetILNS1_3genE5ELNS1_11target_archE942ELNS1_3gpuE9ELNS1_3repE0EEENS1_30default_config_static_selectorELNS0_4arch9wavefront6targetE0EEEvT1_
	.globl	_ZN7rocprim17ROCPRIM_400000_NS6detail17trampoline_kernelINS0_14default_configENS1_27scan_by_key_config_selectorIllEEZZNS1_16scan_by_key_implILNS1_25lookback_scan_determinismE0ELb0ES3_PKlN6hipcub16HIPCUB_304000_NS21ConstantInputIteratorIllEEPllNSB_3SumENSB_8EqualityElEE10hipError_tPvRmT2_T3_T4_T5_mT6_T7_P12ihipStream_tbENKUlT_T0_E_clISt17integral_constantIbLb0EESW_IbLb1EEEEDaSS_ST_EUlSS_E_NS1_11comp_targetILNS1_3genE5ELNS1_11target_archE942ELNS1_3gpuE9ELNS1_3repE0EEENS1_30default_config_static_selectorELNS0_4arch9wavefront6targetE0EEEvT1_
	.p2align	8
	.type	_ZN7rocprim17ROCPRIM_400000_NS6detail17trampoline_kernelINS0_14default_configENS1_27scan_by_key_config_selectorIllEEZZNS1_16scan_by_key_implILNS1_25lookback_scan_determinismE0ELb0ES3_PKlN6hipcub16HIPCUB_304000_NS21ConstantInputIteratorIllEEPllNSB_3SumENSB_8EqualityElEE10hipError_tPvRmT2_T3_T4_T5_mT6_T7_P12ihipStream_tbENKUlT_T0_E_clISt17integral_constantIbLb0EESW_IbLb1EEEEDaSS_ST_EUlSS_E_NS1_11comp_targetILNS1_3genE5ELNS1_11target_archE942ELNS1_3gpuE9ELNS1_3repE0EEENS1_30default_config_static_selectorELNS0_4arch9wavefront6targetE0EEEvT1_,@function
_ZN7rocprim17ROCPRIM_400000_NS6detail17trampoline_kernelINS0_14default_configENS1_27scan_by_key_config_selectorIllEEZZNS1_16scan_by_key_implILNS1_25lookback_scan_determinismE0ELb0ES3_PKlN6hipcub16HIPCUB_304000_NS21ConstantInputIteratorIllEEPllNSB_3SumENSB_8EqualityElEE10hipError_tPvRmT2_T3_T4_T5_mT6_T7_P12ihipStream_tbENKUlT_T0_E_clISt17integral_constantIbLb0EESW_IbLb1EEEEDaSS_ST_EUlSS_E_NS1_11comp_targetILNS1_3genE5ELNS1_11target_archE942ELNS1_3gpuE9ELNS1_3repE0EEENS1_30default_config_static_selectorELNS0_4arch9wavefront6targetE0EEEvT1_: ; @_ZN7rocprim17ROCPRIM_400000_NS6detail17trampoline_kernelINS0_14default_configENS1_27scan_by_key_config_selectorIllEEZZNS1_16scan_by_key_implILNS1_25lookback_scan_determinismE0ELb0ES3_PKlN6hipcub16HIPCUB_304000_NS21ConstantInputIteratorIllEEPllNSB_3SumENSB_8EqualityElEE10hipError_tPvRmT2_T3_T4_T5_mT6_T7_P12ihipStream_tbENKUlT_T0_E_clISt17integral_constantIbLb0EESW_IbLb1EEEEDaSS_ST_EUlSS_E_NS1_11comp_targetILNS1_3genE5ELNS1_11target_archE942ELNS1_3gpuE9ELNS1_3repE0EEENS1_30default_config_static_selectorELNS0_4arch9wavefront6targetE0EEEvT1_
; %bb.0:
	.section	.rodata,"a",@progbits
	.p2align	6, 0x0
	.amdhsa_kernel _ZN7rocprim17ROCPRIM_400000_NS6detail17trampoline_kernelINS0_14default_configENS1_27scan_by_key_config_selectorIllEEZZNS1_16scan_by_key_implILNS1_25lookback_scan_determinismE0ELb0ES3_PKlN6hipcub16HIPCUB_304000_NS21ConstantInputIteratorIllEEPllNSB_3SumENSB_8EqualityElEE10hipError_tPvRmT2_T3_T4_T5_mT6_T7_P12ihipStream_tbENKUlT_T0_E_clISt17integral_constantIbLb0EESW_IbLb1EEEEDaSS_ST_EUlSS_E_NS1_11comp_targetILNS1_3genE5ELNS1_11target_archE942ELNS1_3gpuE9ELNS1_3repE0EEENS1_30default_config_static_selectorELNS0_4arch9wavefront6targetE0EEEvT1_
		.amdhsa_group_segment_fixed_size 0
		.amdhsa_private_segment_fixed_size 0
		.amdhsa_kernarg_size 144
		.amdhsa_user_sgpr_count 2
		.amdhsa_user_sgpr_dispatch_ptr 0
		.amdhsa_user_sgpr_queue_ptr 0
		.amdhsa_user_sgpr_kernarg_segment_ptr 1
		.amdhsa_user_sgpr_dispatch_id 0
		.amdhsa_user_sgpr_kernarg_preload_length 0
		.amdhsa_user_sgpr_kernarg_preload_offset 0
		.amdhsa_user_sgpr_private_segment_size 0
		.amdhsa_wavefront_size32 1
		.amdhsa_uses_dynamic_stack 0
		.amdhsa_enable_private_segment 0
		.amdhsa_system_sgpr_workgroup_id_x 1
		.amdhsa_system_sgpr_workgroup_id_y 0
		.amdhsa_system_sgpr_workgroup_id_z 0
		.amdhsa_system_sgpr_workgroup_info 0
		.amdhsa_system_vgpr_workitem_id 0
		.amdhsa_next_free_vgpr 1
		.amdhsa_next_free_sgpr 1
		.amdhsa_named_barrier_count 0
		.amdhsa_reserve_vcc 0
		.amdhsa_float_round_mode_32 0
		.amdhsa_float_round_mode_16_64 0
		.amdhsa_float_denorm_mode_32 3
		.amdhsa_float_denorm_mode_16_64 3
		.amdhsa_fp16_overflow 0
		.amdhsa_memory_ordered 1
		.amdhsa_forward_progress 1
		.amdhsa_inst_pref_size 0
		.amdhsa_round_robin_scheduling 0
		.amdhsa_exception_fp_ieee_invalid_op 0
		.amdhsa_exception_fp_denorm_src 0
		.amdhsa_exception_fp_ieee_div_zero 0
		.amdhsa_exception_fp_ieee_overflow 0
		.amdhsa_exception_fp_ieee_underflow 0
		.amdhsa_exception_fp_ieee_inexact 0
		.amdhsa_exception_int_div_zero 0
	.end_amdhsa_kernel
	.section	.text._ZN7rocprim17ROCPRIM_400000_NS6detail17trampoline_kernelINS0_14default_configENS1_27scan_by_key_config_selectorIllEEZZNS1_16scan_by_key_implILNS1_25lookback_scan_determinismE0ELb0ES3_PKlN6hipcub16HIPCUB_304000_NS21ConstantInputIteratorIllEEPllNSB_3SumENSB_8EqualityElEE10hipError_tPvRmT2_T3_T4_T5_mT6_T7_P12ihipStream_tbENKUlT_T0_E_clISt17integral_constantIbLb0EESW_IbLb1EEEEDaSS_ST_EUlSS_E_NS1_11comp_targetILNS1_3genE5ELNS1_11target_archE942ELNS1_3gpuE9ELNS1_3repE0EEENS1_30default_config_static_selectorELNS0_4arch9wavefront6targetE0EEEvT1_,"axG",@progbits,_ZN7rocprim17ROCPRIM_400000_NS6detail17trampoline_kernelINS0_14default_configENS1_27scan_by_key_config_selectorIllEEZZNS1_16scan_by_key_implILNS1_25lookback_scan_determinismE0ELb0ES3_PKlN6hipcub16HIPCUB_304000_NS21ConstantInputIteratorIllEEPllNSB_3SumENSB_8EqualityElEE10hipError_tPvRmT2_T3_T4_T5_mT6_T7_P12ihipStream_tbENKUlT_T0_E_clISt17integral_constantIbLb0EESW_IbLb1EEEEDaSS_ST_EUlSS_E_NS1_11comp_targetILNS1_3genE5ELNS1_11target_archE942ELNS1_3gpuE9ELNS1_3repE0EEENS1_30default_config_static_selectorELNS0_4arch9wavefront6targetE0EEEvT1_,comdat
.Lfunc_end129:
	.size	_ZN7rocprim17ROCPRIM_400000_NS6detail17trampoline_kernelINS0_14default_configENS1_27scan_by_key_config_selectorIllEEZZNS1_16scan_by_key_implILNS1_25lookback_scan_determinismE0ELb0ES3_PKlN6hipcub16HIPCUB_304000_NS21ConstantInputIteratorIllEEPllNSB_3SumENSB_8EqualityElEE10hipError_tPvRmT2_T3_T4_T5_mT6_T7_P12ihipStream_tbENKUlT_T0_E_clISt17integral_constantIbLb0EESW_IbLb1EEEEDaSS_ST_EUlSS_E_NS1_11comp_targetILNS1_3genE5ELNS1_11target_archE942ELNS1_3gpuE9ELNS1_3repE0EEENS1_30default_config_static_selectorELNS0_4arch9wavefront6targetE0EEEvT1_, .Lfunc_end129-_ZN7rocprim17ROCPRIM_400000_NS6detail17trampoline_kernelINS0_14default_configENS1_27scan_by_key_config_selectorIllEEZZNS1_16scan_by_key_implILNS1_25lookback_scan_determinismE0ELb0ES3_PKlN6hipcub16HIPCUB_304000_NS21ConstantInputIteratorIllEEPllNSB_3SumENSB_8EqualityElEE10hipError_tPvRmT2_T3_T4_T5_mT6_T7_P12ihipStream_tbENKUlT_T0_E_clISt17integral_constantIbLb0EESW_IbLb1EEEEDaSS_ST_EUlSS_E_NS1_11comp_targetILNS1_3genE5ELNS1_11target_archE942ELNS1_3gpuE9ELNS1_3repE0EEENS1_30default_config_static_selectorELNS0_4arch9wavefront6targetE0EEEvT1_
                                        ; -- End function
	.set _ZN7rocprim17ROCPRIM_400000_NS6detail17trampoline_kernelINS0_14default_configENS1_27scan_by_key_config_selectorIllEEZZNS1_16scan_by_key_implILNS1_25lookback_scan_determinismE0ELb0ES3_PKlN6hipcub16HIPCUB_304000_NS21ConstantInputIteratorIllEEPllNSB_3SumENSB_8EqualityElEE10hipError_tPvRmT2_T3_T4_T5_mT6_T7_P12ihipStream_tbENKUlT_T0_E_clISt17integral_constantIbLb0EESW_IbLb1EEEEDaSS_ST_EUlSS_E_NS1_11comp_targetILNS1_3genE5ELNS1_11target_archE942ELNS1_3gpuE9ELNS1_3repE0EEENS1_30default_config_static_selectorELNS0_4arch9wavefront6targetE0EEEvT1_.num_vgpr, 0
	.set _ZN7rocprim17ROCPRIM_400000_NS6detail17trampoline_kernelINS0_14default_configENS1_27scan_by_key_config_selectorIllEEZZNS1_16scan_by_key_implILNS1_25lookback_scan_determinismE0ELb0ES3_PKlN6hipcub16HIPCUB_304000_NS21ConstantInputIteratorIllEEPllNSB_3SumENSB_8EqualityElEE10hipError_tPvRmT2_T3_T4_T5_mT6_T7_P12ihipStream_tbENKUlT_T0_E_clISt17integral_constantIbLb0EESW_IbLb1EEEEDaSS_ST_EUlSS_E_NS1_11comp_targetILNS1_3genE5ELNS1_11target_archE942ELNS1_3gpuE9ELNS1_3repE0EEENS1_30default_config_static_selectorELNS0_4arch9wavefront6targetE0EEEvT1_.num_agpr, 0
	.set _ZN7rocprim17ROCPRIM_400000_NS6detail17trampoline_kernelINS0_14default_configENS1_27scan_by_key_config_selectorIllEEZZNS1_16scan_by_key_implILNS1_25lookback_scan_determinismE0ELb0ES3_PKlN6hipcub16HIPCUB_304000_NS21ConstantInputIteratorIllEEPllNSB_3SumENSB_8EqualityElEE10hipError_tPvRmT2_T3_T4_T5_mT6_T7_P12ihipStream_tbENKUlT_T0_E_clISt17integral_constantIbLb0EESW_IbLb1EEEEDaSS_ST_EUlSS_E_NS1_11comp_targetILNS1_3genE5ELNS1_11target_archE942ELNS1_3gpuE9ELNS1_3repE0EEENS1_30default_config_static_selectorELNS0_4arch9wavefront6targetE0EEEvT1_.numbered_sgpr, 0
	.set _ZN7rocprim17ROCPRIM_400000_NS6detail17trampoline_kernelINS0_14default_configENS1_27scan_by_key_config_selectorIllEEZZNS1_16scan_by_key_implILNS1_25lookback_scan_determinismE0ELb0ES3_PKlN6hipcub16HIPCUB_304000_NS21ConstantInputIteratorIllEEPllNSB_3SumENSB_8EqualityElEE10hipError_tPvRmT2_T3_T4_T5_mT6_T7_P12ihipStream_tbENKUlT_T0_E_clISt17integral_constantIbLb0EESW_IbLb1EEEEDaSS_ST_EUlSS_E_NS1_11comp_targetILNS1_3genE5ELNS1_11target_archE942ELNS1_3gpuE9ELNS1_3repE0EEENS1_30default_config_static_selectorELNS0_4arch9wavefront6targetE0EEEvT1_.num_named_barrier, 0
	.set _ZN7rocprim17ROCPRIM_400000_NS6detail17trampoline_kernelINS0_14default_configENS1_27scan_by_key_config_selectorIllEEZZNS1_16scan_by_key_implILNS1_25lookback_scan_determinismE0ELb0ES3_PKlN6hipcub16HIPCUB_304000_NS21ConstantInputIteratorIllEEPllNSB_3SumENSB_8EqualityElEE10hipError_tPvRmT2_T3_T4_T5_mT6_T7_P12ihipStream_tbENKUlT_T0_E_clISt17integral_constantIbLb0EESW_IbLb1EEEEDaSS_ST_EUlSS_E_NS1_11comp_targetILNS1_3genE5ELNS1_11target_archE942ELNS1_3gpuE9ELNS1_3repE0EEENS1_30default_config_static_selectorELNS0_4arch9wavefront6targetE0EEEvT1_.private_seg_size, 0
	.set _ZN7rocprim17ROCPRIM_400000_NS6detail17trampoline_kernelINS0_14default_configENS1_27scan_by_key_config_selectorIllEEZZNS1_16scan_by_key_implILNS1_25lookback_scan_determinismE0ELb0ES3_PKlN6hipcub16HIPCUB_304000_NS21ConstantInputIteratorIllEEPllNSB_3SumENSB_8EqualityElEE10hipError_tPvRmT2_T3_T4_T5_mT6_T7_P12ihipStream_tbENKUlT_T0_E_clISt17integral_constantIbLb0EESW_IbLb1EEEEDaSS_ST_EUlSS_E_NS1_11comp_targetILNS1_3genE5ELNS1_11target_archE942ELNS1_3gpuE9ELNS1_3repE0EEENS1_30default_config_static_selectorELNS0_4arch9wavefront6targetE0EEEvT1_.uses_vcc, 0
	.set _ZN7rocprim17ROCPRIM_400000_NS6detail17trampoline_kernelINS0_14default_configENS1_27scan_by_key_config_selectorIllEEZZNS1_16scan_by_key_implILNS1_25lookback_scan_determinismE0ELb0ES3_PKlN6hipcub16HIPCUB_304000_NS21ConstantInputIteratorIllEEPllNSB_3SumENSB_8EqualityElEE10hipError_tPvRmT2_T3_T4_T5_mT6_T7_P12ihipStream_tbENKUlT_T0_E_clISt17integral_constantIbLb0EESW_IbLb1EEEEDaSS_ST_EUlSS_E_NS1_11comp_targetILNS1_3genE5ELNS1_11target_archE942ELNS1_3gpuE9ELNS1_3repE0EEENS1_30default_config_static_selectorELNS0_4arch9wavefront6targetE0EEEvT1_.uses_flat_scratch, 0
	.set _ZN7rocprim17ROCPRIM_400000_NS6detail17trampoline_kernelINS0_14default_configENS1_27scan_by_key_config_selectorIllEEZZNS1_16scan_by_key_implILNS1_25lookback_scan_determinismE0ELb0ES3_PKlN6hipcub16HIPCUB_304000_NS21ConstantInputIteratorIllEEPllNSB_3SumENSB_8EqualityElEE10hipError_tPvRmT2_T3_T4_T5_mT6_T7_P12ihipStream_tbENKUlT_T0_E_clISt17integral_constantIbLb0EESW_IbLb1EEEEDaSS_ST_EUlSS_E_NS1_11comp_targetILNS1_3genE5ELNS1_11target_archE942ELNS1_3gpuE9ELNS1_3repE0EEENS1_30default_config_static_selectorELNS0_4arch9wavefront6targetE0EEEvT1_.has_dyn_sized_stack, 0
	.set _ZN7rocprim17ROCPRIM_400000_NS6detail17trampoline_kernelINS0_14default_configENS1_27scan_by_key_config_selectorIllEEZZNS1_16scan_by_key_implILNS1_25lookback_scan_determinismE0ELb0ES3_PKlN6hipcub16HIPCUB_304000_NS21ConstantInputIteratorIllEEPllNSB_3SumENSB_8EqualityElEE10hipError_tPvRmT2_T3_T4_T5_mT6_T7_P12ihipStream_tbENKUlT_T0_E_clISt17integral_constantIbLb0EESW_IbLb1EEEEDaSS_ST_EUlSS_E_NS1_11comp_targetILNS1_3genE5ELNS1_11target_archE942ELNS1_3gpuE9ELNS1_3repE0EEENS1_30default_config_static_selectorELNS0_4arch9wavefront6targetE0EEEvT1_.has_recursion, 0
	.set _ZN7rocprim17ROCPRIM_400000_NS6detail17trampoline_kernelINS0_14default_configENS1_27scan_by_key_config_selectorIllEEZZNS1_16scan_by_key_implILNS1_25lookback_scan_determinismE0ELb0ES3_PKlN6hipcub16HIPCUB_304000_NS21ConstantInputIteratorIllEEPllNSB_3SumENSB_8EqualityElEE10hipError_tPvRmT2_T3_T4_T5_mT6_T7_P12ihipStream_tbENKUlT_T0_E_clISt17integral_constantIbLb0EESW_IbLb1EEEEDaSS_ST_EUlSS_E_NS1_11comp_targetILNS1_3genE5ELNS1_11target_archE942ELNS1_3gpuE9ELNS1_3repE0EEENS1_30default_config_static_selectorELNS0_4arch9wavefront6targetE0EEEvT1_.has_indirect_call, 0
	.section	.AMDGPU.csdata,"",@progbits
; Kernel info:
; codeLenInByte = 0
; TotalNumSgprs: 0
; NumVgprs: 0
; ScratchSize: 0
; MemoryBound: 0
; FloatMode: 240
; IeeeMode: 1
; LDSByteSize: 0 bytes/workgroup (compile time only)
; SGPRBlocks: 0
; VGPRBlocks: 0
; NumSGPRsForWavesPerEU: 1
; NumVGPRsForWavesPerEU: 1
; NamedBarCnt: 0
; Occupancy: 16
; WaveLimiterHint : 0
; COMPUTE_PGM_RSRC2:SCRATCH_EN: 0
; COMPUTE_PGM_RSRC2:USER_SGPR: 2
; COMPUTE_PGM_RSRC2:TRAP_HANDLER: 0
; COMPUTE_PGM_RSRC2:TGID_X_EN: 1
; COMPUTE_PGM_RSRC2:TGID_Y_EN: 0
; COMPUTE_PGM_RSRC2:TGID_Z_EN: 0
; COMPUTE_PGM_RSRC2:TIDIG_COMP_CNT: 0
	.section	.text._ZN7rocprim17ROCPRIM_400000_NS6detail17trampoline_kernelINS0_14default_configENS1_27scan_by_key_config_selectorIllEEZZNS1_16scan_by_key_implILNS1_25lookback_scan_determinismE0ELb0ES3_PKlN6hipcub16HIPCUB_304000_NS21ConstantInputIteratorIllEEPllNSB_3SumENSB_8EqualityElEE10hipError_tPvRmT2_T3_T4_T5_mT6_T7_P12ihipStream_tbENKUlT_T0_E_clISt17integral_constantIbLb0EESW_IbLb1EEEEDaSS_ST_EUlSS_E_NS1_11comp_targetILNS1_3genE4ELNS1_11target_archE910ELNS1_3gpuE8ELNS1_3repE0EEENS1_30default_config_static_selectorELNS0_4arch9wavefront6targetE0EEEvT1_,"axG",@progbits,_ZN7rocprim17ROCPRIM_400000_NS6detail17trampoline_kernelINS0_14default_configENS1_27scan_by_key_config_selectorIllEEZZNS1_16scan_by_key_implILNS1_25lookback_scan_determinismE0ELb0ES3_PKlN6hipcub16HIPCUB_304000_NS21ConstantInputIteratorIllEEPllNSB_3SumENSB_8EqualityElEE10hipError_tPvRmT2_T3_T4_T5_mT6_T7_P12ihipStream_tbENKUlT_T0_E_clISt17integral_constantIbLb0EESW_IbLb1EEEEDaSS_ST_EUlSS_E_NS1_11comp_targetILNS1_3genE4ELNS1_11target_archE910ELNS1_3gpuE8ELNS1_3repE0EEENS1_30default_config_static_selectorELNS0_4arch9wavefront6targetE0EEEvT1_,comdat
	.protected	_ZN7rocprim17ROCPRIM_400000_NS6detail17trampoline_kernelINS0_14default_configENS1_27scan_by_key_config_selectorIllEEZZNS1_16scan_by_key_implILNS1_25lookback_scan_determinismE0ELb0ES3_PKlN6hipcub16HIPCUB_304000_NS21ConstantInputIteratorIllEEPllNSB_3SumENSB_8EqualityElEE10hipError_tPvRmT2_T3_T4_T5_mT6_T7_P12ihipStream_tbENKUlT_T0_E_clISt17integral_constantIbLb0EESW_IbLb1EEEEDaSS_ST_EUlSS_E_NS1_11comp_targetILNS1_3genE4ELNS1_11target_archE910ELNS1_3gpuE8ELNS1_3repE0EEENS1_30default_config_static_selectorELNS0_4arch9wavefront6targetE0EEEvT1_ ; -- Begin function _ZN7rocprim17ROCPRIM_400000_NS6detail17trampoline_kernelINS0_14default_configENS1_27scan_by_key_config_selectorIllEEZZNS1_16scan_by_key_implILNS1_25lookback_scan_determinismE0ELb0ES3_PKlN6hipcub16HIPCUB_304000_NS21ConstantInputIteratorIllEEPllNSB_3SumENSB_8EqualityElEE10hipError_tPvRmT2_T3_T4_T5_mT6_T7_P12ihipStream_tbENKUlT_T0_E_clISt17integral_constantIbLb0EESW_IbLb1EEEEDaSS_ST_EUlSS_E_NS1_11comp_targetILNS1_3genE4ELNS1_11target_archE910ELNS1_3gpuE8ELNS1_3repE0EEENS1_30default_config_static_selectorELNS0_4arch9wavefront6targetE0EEEvT1_
	.globl	_ZN7rocprim17ROCPRIM_400000_NS6detail17trampoline_kernelINS0_14default_configENS1_27scan_by_key_config_selectorIllEEZZNS1_16scan_by_key_implILNS1_25lookback_scan_determinismE0ELb0ES3_PKlN6hipcub16HIPCUB_304000_NS21ConstantInputIteratorIllEEPllNSB_3SumENSB_8EqualityElEE10hipError_tPvRmT2_T3_T4_T5_mT6_T7_P12ihipStream_tbENKUlT_T0_E_clISt17integral_constantIbLb0EESW_IbLb1EEEEDaSS_ST_EUlSS_E_NS1_11comp_targetILNS1_3genE4ELNS1_11target_archE910ELNS1_3gpuE8ELNS1_3repE0EEENS1_30default_config_static_selectorELNS0_4arch9wavefront6targetE0EEEvT1_
	.p2align	8
	.type	_ZN7rocprim17ROCPRIM_400000_NS6detail17trampoline_kernelINS0_14default_configENS1_27scan_by_key_config_selectorIllEEZZNS1_16scan_by_key_implILNS1_25lookback_scan_determinismE0ELb0ES3_PKlN6hipcub16HIPCUB_304000_NS21ConstantInputIteratorIllEEPllNSB_3SumENSB_8EqualityElEE10hipError_tPvRmT2_T3_T4_T5_mT6_T7_P12ihipStream_tbENKUlT_T0_E_clISt17integral_constantIbLb0EESW_IbLb1EEEEDaSS_ST_EUlSS_E_NS1_11comp_targetILNS1_3genE4ELNS1_11target_archE910ELNS1_3gpuE8ELNS1_3repE0EEENS1_30default_config_static_selectorELNS0_4arch9wavefront6targetE0EEEvT1_,@function
_ZN7rocprim17ROCPRIM_400000_NS6detail17trampoline_kernelINS0_14default_configENS1_27scan_by_key_config_selectorIllEEZZNS1_16scan_by_key_implILNS1_25lookback_scan_determinismE0ELb0ES3_PKlN6hipcub16HIPCUB_304000_NS21ConstantInputIteratorIllEEPllNSB_3SumENSB_8EqualityElEE10hipError_tPvRmT2_T3_T4_T5_mT6_T7_P12ihipStream_tbENKUlT_T0_E_clISt17integral_constantIbLb0EESW_IbLb1EEEEDaSS_ST_EUlSS_E_NS1_11comp_targetILNS1_3genE4ELNS1_11target_archE910ELNS1_3gpuE8ELNS1_3repE0EEENS1_30default_config_static_selectorELNS0_4arch9wavefront6targetE0EEEvT1_: ; @_ZN7rocprim17ROCPRIM_400000_NS6detail17trampoline_kernelINS0_14default_configENS1_27scan_by_key_config_selectorIllEEZZNS1_16scan_by_key_implILNS1_25lookback_scan_determinismE0ELb0ES3_PKlN6hipcub16HIPCUB_304000_NS21ConstantInputIteratorIllEEPllNSB_3SumENSB_8EqualityElEE10hipError_tPvRmT2_T3_T4_T5_mT6_T7_P12ihipStream_tbENKUlT_T0_E_clISt17integral_constantIbLb0EESW_IbLb1EEEEDaSS_ST_EUlSS_E_NS1_11comp_targetILNS1_3genE4ELNS1_11target_archE910ELNS1_3gpuE8ELNS1_3repE0EEENS1_30default_config_static_selectorELNS0_4arch9wavefront6targetE0EEEvT1_
; %bb.0:
	.section	.rodata,"a",@progbits
	.p2align	6, 0x0
	.amdhsa_kernel _ZN7rocprim17ROCPRIM_400000_NS6detail17trampoline_kernelINS0_14default_configENS1_27scan_by_key_config_selectorIllEEZZNS1_16scan_by_key_implILNS1_25lookback_scan_determinismE0ELb0ES3_PKlN6hipcub16HIPCUB_304000_NS21ConstantInputIteratorIllEEPllNSB_3SumENSB_8EqualityElEE10hipError_tPvRmT2_T3_T4_T5_mT6_T7_P12ihipStream_tbENKUlT_T0_E_clISt17integral_constantIbLb0EESW_IbLb1EEEEDaSS_ST_EUlSS_E_NS1_11comp_targetILNS1_3genE4ELNS1_11target_archE910ELNS1_3gpuE8ELNS1_3repE0EEENS1_30default_config_static_selectorELNS0_4arch9wavefront6targetE0EEEvT1_
		.amdhsa_group_segment_fixed_size 0
		.amdhsa_private_segment_fixed_size 0
		.amdhsa_kernarg_size 144
		.amdhsa_user_sgpr_count 2
		.amdhsa_user_sgpr_dispatch_ptr 0
		.amdhsa_user_sgpr_queue_ptr 0
		.amdhsa_user_sgpr_kernarg_segment_ptr 1
		.amdhsa_user_sgpr_dispatch_id 0
		.amdhsa_user_sgpr_kernarg_preload_length 0
		.amdhsa_user_sgpr_kernarg_preload_offset 0
		.amdhsa_user_sgpr_private_segment_size 0
		.amdhsa_wavefront_size32 1
		.amdhsa_uses_dynamic_stack 0
		.amdhsa_enable_private_segment 0
		.amdhsa_system_sgpr_workgroup_id_x 1
		.amdhsa_system_sgpr_workgroup_id_y 0
		.amdhsa_system_sgpr_workgroup_id_z 0
		.amdhsa_system_sgpr_workgroup_info 0
		.amdhsa_system_vgpr_workitem_id 0
		.amdhsa_next_free_vgpr 1
		.amdhsa_next_free_sgpr 1
		.amdhsa_named_barrier_count 0
		.amdhsa_reserve_vcc 0
		.amdhsa_float_round_mode_32 0
		.amdhsa_float_round_mode_16_64 0
		.amdhsa_float_denorm_mode_32 3
		.amdhsa_float_denorm_mode_16_64 3
		.amdhsa_fp16_overflow 0
		.amdhsa_memory_ordered 1
		.amdhsa_forward_progress 1
		.amdhsa_inst_pref_size 0
		.amdhsa_round_robin_scheduling 0
		.amdhsa_exception_fp_ieee_invalid_op 0
		.amdhsa_exception_fp_denorm_src 0
		.amdhsa_exception_fp_ieee_div_zero 0
		.amdhsa_exception_fp_ieee_overflow 0
		.amdhsa_exception_fp_ieee_underflow 0
		.amdhsa_exception_fp_ieee_inexact 0
		.amdhsa_exception_int_div_zero 0
	.end_amdhsa_kernel
	.section	.text._ZN7rocprim17ROCPRIM_400000_NS6detail17trampoline_kernelINS0_14default_configENS1_27scan_by_key_config_selectorIllEEZZNS1_16scan_by_key_implILNS1_25lookback_scan_determinismE0ELb0ES3_PKlN6hipcub16HIPCUB_304000_NS21ConstantInputIteratorIllEEPllNSB_3SumENSB_8EqualityElEE10hipError_tPvRmT2_T3_T4_T5_mT6_T7_P12ihipStream_tbENKUlT_T0_E_clISt17integral_constantIbLb0EESW_IbLb1EEEEDaSS_ST_EUlSS_E_NS1_11comp_targetILNS1_3genE4ELNS1_11target_archE910ELNS1_3gpuE8ELNS1_3repE0EEENS1_30default_config_static_selectorELNS0_4arch9wavefront6targetE0EEEvT1_,"axG",@progbits,_ZN7rocprim17ROCPRIM_400000_NS6detail17trampoline_kernelINS0_14default_configENS1_27scan_by_key_config_selectorIllEEZZNS1_16scan_by_key_implILNS1_25lookback_scan_determinismE0ELb0ES3_PKlN6hipcub16HIPCUB_304000_NS21ConstantInputIteratorIllEEPllNSB_3SumENSB_8EqualityElEE10hipError_tPvRmT2_T3_T4_T5_mT6_T7_P12ihipStream_tbENKUlT_T0_E_clISt17integral_constantIbLb0EESW_IbLb1EEEEDaSS_ST_EUlSS_E_NS1_11comp_targetILNS1_3genE4ELNS1_11target_archE910ELNS1_3gpuE8ELNS1_3repE0EEENS1_30default_config_static_selectorELNS0_4arch9wavefront6targetE0EEEvT1_,comdat
.Lfunc_end130:
	.size	_ZN7rocprim17ROCPRIM_400000_NS6detail17trampoline_kernelINS0_14default_configENS1_27scan_by_key_config_selectorIllEEZZNS1_16scan_by_key_implILNS1_25lookback_scan_determinismE0ELb0ES3_PKlN6hipcub16HIPCUB_304000_NS21ConstantInputIteratorIllEEPllNSB_3SumENSB_8EqualityElEE10hipError_tPvRmT2_T3_T4_T5_mT6_T7_P12ihipStream_tbENKUlT_T0_E_clISt17integral_constantIbLb0EESW_IbLb1EEEEDaSS_ST_EUlSS_E_NS1_11comp_targetILNS1_3genE4ELNS1_11target_archE910ELNS1_3gpuE8ELNS1_3repE0EEENS1_30default_config_static_selectorELNS0_4arch9wavefront6targetE0EEEvT1_, .Lfunc_end130-_ZN7rocprim17ROCPRIM_400000_NS6detail17trampoline_kernelINS0_14default_configENS1_27scan_by_key_config_selectorIllEEZZNS1_16scan_by_key_implILNS1_25lookback_scan_determinismE0ELb0ES3_PKlN6hipcub16HIPCUB_304000_NS21ConstantInputIteratorIllEEPllNSB_3SumENSB_8EqualityElEE10hipError_tPvRmT2_T3_T4_T5_mT6_T7_P12ihipStream_tbENKUlT_T0_E_clISt17integral_constantIbLb0EESW_IbLb1EEEEDaSS_ST_EUlSS_E_NS1_11comp_targetILNS1_3genE4ELNS1_11target_archE910ELNS1_3gpuE8ELNS1_3repE0EEENS1_30default_config_static_selectorELNS0_4arch9wavefront6targetE0EEEvT1_
                                        ; -- End function
	.set _ZN7rocprim17ROCPRIM_400000_NS6detail17trampoline_kernelINS0_14default_configENS1_27scan_by_key_config_selectorIllEEZZNS1_16scan_by_key_implILNS1_25lookback_scan_determinismE0ELb0ES3_PKlN6hipcub16HIPCUB_304000_NS21ConstantInputIteratorIllEEPllNSB_3SumENSB_8EqualityElEE10hipError_tPvRmT2_T3_T4_T5_mT6_T7_P12ihipStream_tbENKUlT_T0_E_clISt17integral_constantIbLb0EESW_IbLb1EEEEDaSS_ST_EUlSS_E_NS1_11comp_targetILNS1_3genE4ELNS1_11target_archE910ELNS1_3gpuE8ELNS1_3repE0EEENS1_30default_config_static_selectorELNS0_4arch9wavefront6targetE0EEEvT1_.num_vgpr, 0
	.set _ZN7rocprim17ROCPRIM_400000_NS6detail17trampoline_kernelINS0_14default_configENS1_27scan_by_key_config_selectorIllEEZZNS1_16scan_by_key_implILNS1_25lookback_scan_determinismE0ELb0ES3_PKlN6hipcub16HIPCUB_304000_NS21ConstantInputIteratorIllEEPllNSB_3SumENSB_8EqualityElEE10hipError_tPvRmT2_T3_T4_T5_mT6_T7_P12ihipStream_tbENKUlT_T0_E_clISt17integral_constantIbLb0EESW_IbLb1EEEEDaSS_ST_EUlSS_E_NS1_11comp_targetILNS1_3genE4ELNS1_11target_archE910ELNS1_3gpuE8ELNS1_3repE0EEENS1_30default_config_static_selectorELNS0_4arch9wavefront6targetE0EEEvT1_.num_agpr, 0
	.set _ZN7rocprim17ROCPRIM_400000_NS6detail17trampoline_kernelINS0_14default_configENS1_27scan_by_key_config_selectorIllEEZZNS1_16scan_by_key_implILNS1_25lookback_scan_determinismE0ELb0ES3_PKlN6hipcub16HIPCUB_304000_NS21ConstantInputIteratorIllEEPllNSB_3SumENSB_8EqualityElEE10hipError_tPvRmT2_T3_T4_T5_mT6_T7_P12ihipStream_tbENKUlT_T0_E_clISt17integral_constantIbLb0EESW_IbLb1EEEEDaSS_ST_EUlSS_E_NS1_11comp_targetILNS1_3genE4ELNS1_11target_archE910ELNS1_3gpuE8ELNS1_3repE0EEENS1_30default_config_static_selectorELNS0_4arch9wavefront6targetE0EEEvT1_.numbered_sgpr, 0
	.set _ZN7rocprim17ROCPRIM_400000_NS6detail17trampoline_kernelINS0_14default_configENS1_27scan_by_key_config_selectorIllEEZZNS1_16scan_by_key_implILNS1_25lookback_scan_determinismE0ELb0ES3_PKlN6hipcub16HIPCUB_304000_NS21ConstantInputIteratorIllEEPllNSB_3SumENSB_8EqualityElEE10hipError_tPvRmT2_T3_T4_T5_mT6_T7_P12ihipStream_tbENKUlT_T0_E_clISt17integral_constantIbLb0EESW_IbLb1EEEEDaSS_ST_EUlSS_E_NS1_11comp_targetILNS1_3genE4ELNS1_11target_archE910ELNS1_3gpuE8ELNS1_3repE0EEENS1_30default_config_static_selectorELNS0_4arch9wavefront6targetE0EEEvT1_.num_named_barrier, 0
	.set _ZN7rocprim17ROCPRIM_400000_NS6detail17trampoline_kernelINS0_14default_configENS1_27scan_by_key_config_selectorIllEEZZNS1_16scan_by_key_implILNS1_25lookback_scan_determinismE0ELb0ES3_PKlN6hipcub16HIPCUB_304000_NS21ConstantInputIteratorIllEEPllNSB_3SumENSB_8EqualityElEE10hipError_tPvRmT2_T3_T4_T5_mT6_T7_P12ihipStream_tbENKUlT_T0_E_clISt17integral_constantIbLb0EESW_IbLb1EEEEDaSS_ST_EUlSS_E_NS1_11comp_targetILNS1_3genE4ELNS1_11target_archE910ELNS1_3gpuE8ELNS1_3repE0EEENS1_30default_config_static_selectorELNS0_4arch9wavefront6targetE0EEEvT1_.private_seg_size, 0
	.set _ZN7rocprim17ROCPRIM_400000_NS6detail17trampoline_kernelINS0_14default_configENS1_27scan_by_key_config_selectorIllEEZZNS1_16scan_by_key_implILNS1_25lookback_scan_determinismE0ELb0ES3_PKlN6hipcub16HIPCUB_304000_NS21ConstantInputIteratorIllEEPllNSB_3SumENSB_8EqualityElEE10hipError_tPvRmT2_T3_T4_T5_mT6_T7_P12ihipStream_tbENKUlT_T0_E_clISt17integral_constantIbLb0EESW_IbLb1EEEEDaSS_ST_EUlSS_E_NS1_11comp_targetILNS1_3genE4ELNS1_11target_archE910ELNS1_3gpuE8ELNS1_3repE0EEENS1_30default_config_static_selectorELNS0_4arch9wavefront6targetE0EEEvT1_.uses_vcc, 0
	.set _ZN7rocprim17ROCPRIM_400000_NS6detail17trampoline_kernelINS0_14default_configENS1_27scan_by_key_config_selectorIllEEZZNS1_16scan_by_key_implILNS1_25lookback_scan_determinismE0ELb0ES3_PKlN6hipcub16HIPCUB_304000_NS21ConstantInputIteratorIllEEPllNSB_3SumENSB_8EqualityElEE10hipError_tPvRmT2_T3_T4_T5_mT6_T7_P12ihipStream_tbENKUlT_T0_E_clISt17integral_constantIbLb0EESW_IbLb1EEEEDaSS_ST_EUlSS_E_NS1_11comp_targetILNS1_3genE4ELNS1_11target_archE910ELNS1_3gpuE8ELNS1_3repE0EEENS1_30default_config_static_selectorELNS0_4arch9wavefront6targetE0EEEvT1_.uses_flat_scratch, 0
	.set _ZN7rocprim17ROCPRIM_400000_NS6detail17trampoline_kernelINS0_14default_configENS1_27scan_by_key_config_selectorIllEEZZNS1_16scan_by_key_implILNS1_25lookback_scan_determinismE0ELb0ES3_PKlN6hipcub16HIPCUB_304000_NS21ConstantInputIteratorIllEEPllNSB_3SumENSB_8EqualityElEE10hipError_tPvRmT2_T3_T4_T5_mT6_T7_P12ihipStream_tbENKUlT_T0_E_clISt17integral_constantIbLb0EESW_IbLb1EEEEDaSS_ST_EUlSS_E_NS1_11comp_targetILNS1_3genE4ELNS1_11target_archE910ELNS1_3gpuE8ELNS1_3repE0EEENS1_30default_config_static_selectorELNS0_4arch9wavefront6targetE0EEEvT1_.has_dyn_sized_stack, 0
	.set _ZN7rocprim17ROCPRIM_400000_NS6detail17trampoline_kernelINS0_14default_configENS1_27scan_by_key_config_selectorIllEEZZNS1_16scan_by_key_implILNS1_25lookback_scan_determinismE0ELb0ES3_PKlN6hipcub16HIPCUB_304000_NS21ConstantInputIteratorIllEEPllNSB_3SumENSB_8EqualityElEE10hipError_tPvRmT2_T3_T4_T5_mT6_T7_P12ihipStream_tbENKUlT_T0_E_clISt17integral_constantIbLb0EESW_IbLb1EEEEDaSS_ST_EUlSS_E_NS1_11comp_targetILNS1_3genE4ELNS1_11target_archE910ELNS1_3gpuE8ELNS1_3repE0EEENS1_30default_config_static_selectorELNS0_4arch9wavefront6targetE0EEEvT1_.has_recursion, 0
	.set _ZN7rocprim17ROCPRIM_400000_NS6detail17trampoline_kernelINS0_14default_configENS1_27scan_by_key_config_selectorIllEEZZNS1_16scan_by_key_implILNS1_25lookback_scan_determinismE0ELb0ES3_PKlN6hipcub16HIPCUB_304000_NS21ConstantInputIteratorIllEEPllNSB_3SumENSB_8EqualityElEE10hipError_tPvRmT2_T3_T4_T5_mT6_T7_P12ihipStream_tbENKUlT_T0_E_clISt17integral_constantIbLb0EESW_IbLb1EEEEDaSS_ST_EUlSS_E_NS1_11comp_targetILNS1_3genE4ELNS1_11target_archE910ELNS1_3gpuE8ELNS1_3repE0EEENS1_30default_config_static_selectorELNS0_4arch9wavefront6targetE0EEEvT1_.has_indirect_call, 0
	.section	.AMDGPU.csdata,"",@progbits
; Kernel info:
; codeLenInByte = 0
; TotalNumSgprs: 0
; NumVgprs: 0
; ScratchSize: 0
; MemoryBound: 0
; FloatMode: 240
; IeeeMode: 1
; LDSByteSize: 0 bytes/workgroup (compile time only)
; SGPRBlocks: 0
; VGPRBlocks: 0
; NumSGPRsForWavesPerEU: 1
; NumVGPRsForWavesPerEU: 1
; NamedBarCnt: 0
; Occupancy: 16
; WaveLimiterHint : 0
; COMPUTE_PGM_RSRC2:SCRATCH_EN: 0
; COMPUTE_PGM_RSRC2:USER_SGPR: 2
; COMPUTE_PGM_RSRC2:TRAP_HANDLER: 0
; COMPUTE_PGM_RSRC2:TGID_X_EN: 1
; COMPUTE_PGM_RSRC2:TGID_Y_EN: 0
; COMPUTE_PGM_RSRC2:TGID_Z_EN: 0
; COMPUTE_PGM_RSRC2:TIDIG_COMP_CNT: 0
	.section	.text._ZN7rocprim17ROCPRIM_400000_NS6detail17trampoline_kernelINS0_14default_configENS1_27scan_by_key_config_selectorIllEEZZNS1_16scan_by_key_implILNS1_25lookback_scan_determinismE0ELb0ES3_PKlN6hipcub16HIPCUB_304000_NS21ConstantInputIteratorIllEEPllNSB_3SumENSB_8EqualityElEE10hipError_tPvRmT2_T3_T4_T5_mT6_T7_P12ihipStream_tbENKUlT_T0_E_clISt17integral_constantIbLb0EESW_IbLb1EEEEDaSS_ST_EUlSS_E_NS1_11comp_targetILNS1_3genE3ELNS1_11target_archE908ELNS1_3gpuE7ELNS1_3repE0EEENS1_30default_config_static_selectorELNS0_4arch9wavefront6targetE0EEEvT1_,"axG",@progbits,_ZN7rocprim17ROCPRIM_400000_NS6detail17trampoline_kernelINS0_14default_configENS1_27scan_by_key_config_selectorIllEEZZNS1_16scan_by_key_implILNS1_25lookback_scan_determinismE0ELb0ES3_PKlN6hipcub16HIPCUB_304000_NS21ConstantInputIteratorIllEEPllNSB_3SumENSB_8EqualityElEE10hipError_tPvRmT2_T3_T4_T5_mT6_T7_P12ihipStream_tbENKUlT_T0_E_clISt17integral_constantIbLb0EESW_IbLb1EEEEDaSS_ST_EUlSS_E_NS1_11comp_targetILNS1_3genE3ELNS1_11target_archE908ELNS1_3gpuE7ELNS1_3repE0EEENS1_30default_config_static_selectorELNS0_4arch9wavefront6targetE0EEEvT1_,comdat
	.protected	_ZN7rocprim17ROCPRIM_400000_NS6detail17trampoline_kernelINS0_14default_configENS1_27scan_by_key_config_selectorIllEEZZNS1_16scan_by_key_implILNS1_25lookback_scan_determinismE0ELb0ES3_PKlN6hipcub16HIPCUB_304000_NS21ConstantInputIteratorIllEEPllNSB_3SumENSB_8EqualityElEE10hipError_tPvRmT2_T3_T4_T5_mT6_T7_P12ihipStream_tbENKUlT_T0_E_clISt17integral_constantIbLb0EESW_IbLb1EEEEDaSS_ST_EUlSS_E_NS1_11comp_targetILNS1_3genE3ELNS1_11target_archE908ELNS1_3gpuE7ELNS1_3repE0EEENS1_30default_config_static_selectorELNS0_4arch9wavefront6targetE0EEEvT1_ ; -- Begin function _ZN7rocprim17ROCPRIM_400000_NS6detail17trampoline_kernelINS0_14default_configENS1_27scan_by_key_config_selectorIllEEZZNS1_16scan_by_key_implILNS1_25lookback_scan_determinismE0ELb0ES3_PKlN6hipcub16HIPCUB_304000_NS21ConstantInputIteratorIllEEPllNSB_3SumENSB_8EqualityElEE10hipError_tPvRmT2_T3_T4_T5_mT6_T7_P12ihipStream_tbENKUlT_T0_E_clISt17integral_constantIbLb0EESW_IbLb1EEEEDaSS_ST_EUlSS_E_NS1_11comp_targetILNS1_3genE3ELNS1_11target_archE908ELNS1_3gpuE7ELNS1_3repE0EEENS1_30default_config_static_selectorELNS0_4arch9wavefront6targetE0EEEvT1_
	.globl	_ZN7rocprim17ROCPRIM_400000_NS6detail17trampoline_kernelINS0_14default_configENS1_27scan_by_key_config_selectorIllEEZZNS1_16scan_by_key_implILNS1_25lookback_scan_determinismE0ELb0ES3_PKlN6hipcub16HIPCUB_304000_NS21ConstantInputIteratorIllEEPllNSB_3SumENSB_8EqualityElEE10hipError_tPvRmT2_T3_T4_T5_mT6_T7_P12ihipStream_tbENKUlT_T0_E_clISt17integral_constantIbLb0EESW_IbLb1EEEEDaSS_ST_EUlSS_E_NS1_11comp_targetILNS1_3genE3ELNS1_11target_archE908ELNS1_3gpuE7ELNS1_3repE0EEENS1_30default_config_static_selectorELNS0_4arch9wavefront6targetE0EEEvT1_
	.p2align	8
	.type	_ZN7rocprim17ROCPRIM_400000_NS6detail17trampoline_kernelINS0_14default_configENS1_27scan_by_key_config_selectorIllEEZZNS1_16scan_by_key_implILNS1_25lookback_scan_determinismE0ELb0ES3_PKlN6hipcub16HIPCUB_304000_NS21ConstantInputIteratorIllEEPllNSB_3SumENSB_8EqualityElEE10hipError_tPvRmT2_T3_T4_T5_mT6_T7_P12ihipStream_tbENKUlT_T0_E_clISt17integral_constantIbLb0EESW_IbLb1EEEEDaSS_ST_EUlSS_E_NS1_11comp_targetILNS1_3genE3ELNS1_11target_archE908ELNS1_3gpuE7ELNS1_3repE0EEENS1_30default_config_static_selectorELNS0_4arch9wavefront6targetE0EEEvT1_,@function
_ZN7rocprim17ROCPRIM_400000_NS6detail17trampoline_kernelINS0_14default_configENS1_27scan_by_key_config_selectorIllEEZZNS1_16scan_by_key_implILNS1_25lookback_scan_determinismE0ELb0ES3_PKlN6hipcub16HIPCUB_304000_NS21ConstantInputIteratorIllEEPllNSB_3SumENSB_8EqualityElEE10hipError_tPvRmT2_T3_T4_T5_mT6_T7_P12ihipStream_tbENKUlT_T0_E_clISt17integral_constantIbLb0EESW_IbLb1EEEEDaSS_ST_EUlSS_E_NS1_11comp_targetILNS1_3genE3ELNS1_11target_archE908ELNS1_3gpuE7ELNS1_3repE0EEENS1_30default_config_static_selectorELNS0_4arch9wavefront6targetE0EEEvT1_: ; @_ZN7rocprim17ROCPRIM_400000_NS6detail17trampoline_kernelINS0_14default_configENS1_27scan_by_key_config_selectorIllEEZZNS1_16scan_by_key_implILNS1_25lookback_scan_determinismE0ELb0ES3_PKlN6hipcub16HIPCUB_304000_NS21ConstantInputIteratorIllEEPllNSB_3SumENSB_8EqualityElEE10hipError_tPvRmT2_T3_T4_T5_mT6_T7_P12ihipStream_tbENKUlT_T0_E_clISt17integral_constantIbLb0EESW_IbLb1EEEEDaSS_ST_EUlSS_E_NS1_11comp_targetILNS1_3genE3ELNS1_11target_archE908ELNS1_3gpuE7ELNS1_3repE0EEENS1_30default_config_static_selectorELNS0_4arch9wavefront6targetE0EEEvT1_
; %bb.0:
	.section	.rodata,"a",@progbits
	.p2align	6, 0x0
	.amdhsa_kernel _ZN7rocprim17ROCPRIM_400000_NS6detail17trampoline_kernelINS0_14default_configENS1_27scan_by_key_config_selectorIllEEZZNS1_16scan_by_key_implILNS1_25lookback_scan_determinismE0ELb0ES3_PKlN6hipcub16HIPCUB_304000_NS21ConstantInputIteratorIllEEPllNSB_3SumENSB_8EqualityElEE10hipError_tPvRmT2_T3_T4_T5_mT6_T7_P12ihipStream_tbENKUlT_T0_E_clISt17integral_constantIbLb0EESW_IbLb1EEEEDaSS_ST_EUlSS_E_NS1_11comp_targetILNS1_3genE3ELNS1_11target_archE908ELNS1_3gpuE7ELNS1_3repE0EEENS1_30default_config_static_selectorELNS0_4arch9wavefront6targetE0EEEvT1_
		.amdhsa_group_segment_fixed_size 0
		.amdhsa_private_segment_fixed_size 0
		.amdhsa_kernarg_size 144
		.amdhsa_user_sgpr_count 2
		.amdhsa_user_sgpr_dispatch_ptr 0
		.amdhsa_user_sgpr_queue_ptr 0
		.amdhsa_user_sgpr_kernarg_segment_ptr 1
		.amdhsa_user_sgpr_dispatch_id 0
		.amdhsa_user_sgpr_kernarg_preload_length 0
		.amdhsa_user_sgpr_kernarg_preload_offset 0
		.amdhsa_user_sgpr_private_segment_size 0
		.amdhsa_wavefront_size32 1
		.amdhsa_uses_dynamic_stack 0
		.amdhsa_enable_private_segment 0
		.amdhsa_system_sgpr_workgroup_id_x 1
		.amdhsa_system_sgpr_workgroup_id_y 0
		.amdhsa_system_sgpr_workgroup_id_z 0
		.amdhsa_system_sgpr_workgroup_info 0
		.amdhsa_system_vgpr_workitem_id 0
		.amdhsa_next_free_vgpr 1
		.amdhsa_next_free_sgpr 1
		.amdhsa_named_barrier_count 0
		.amdhsa_reserve_vcc 0
		.amdhsa_float_round_mode_32 0
		.amdhsa_float_round_mode_16_64 0
		.amdhsa_float_denorm_mode_32 3
		.amdhsa_float_denorm_mode_16_64 3
		.amdhsa_fp16_overflow 0
		.amdhsa_memory_ordered 1
		.amdhsa_forward_progress 1
		.amdhsa_inst_pref_size 0
		.amdhsa_round_robin_scheduling 0
		.amdhsa_exception_fp_ieee_invalid_op 0
		.amdhsa_exception_fp_denorm_src 0
		.amdhsa_exception_fp_ieee_div_zero 0
		.amdhsa_exception_fp_ieee_overflow 0
		.amdhsa_exception_fp_ieee_underflow 0
		.amdhsa_exception_fp_ieee_inexact 0
		.amdhsa_exception_int_div_zero 0
	.end_amdhsa_kernel
	.section	.text._ZN7rocprim17ROCPRIM_400000_NS6detail17trampoline_kernelINS0_14default_configENS1_27scan_by_key_config_selectorIllEEZZNS1_16scan_by_key_implILNS1_25lookback_scan_determinismE0ELb0ES3_PKlN6hipcub16HIPCUB_304000_NS21ConstantInputIteratorIllEEPllNSB_3SumENSB_8EqualityElEE10hipError_tPvRmT2_T3_T4_T5_mT6_T7_P12ihipStream_tbENKUlT_T0_E_clISt17integral_constantIbLb0EESW_IbLb1EEEEDaSS_ST_EUlSS_E_NS1_11comp_targetILNS1_3genE3ELNS1_11target_archE908ELNS1_3gpuE7ELNS1_3repE0EEENS1_30default_config_static_selectorELNS0_4arch9wavefront6targetE0EEEvT1_,"axG",@progbits,_ZN7rocprim17ROCPRIM_400000_NS6detail17trampoline_kernelINS0_14default_configENS1_27scan_by_key_config_selectorIllEEZZNS1_16scan_by_key_implILNS1_25lookback_scan_determinismE0ELb0ES3_PKlN6hipcub16HIPCUB_304000_NS21ConstantInputIteratorIllEEPllNSB_3SumENSB_8EqualityElEE10hipError_tPvRmT2_T3_T4_T5_mT6_T7_P12ihipStream_tbENKUlT_T0_E_clISt17integral_constantIbLb0EESW_IbLb1EEEEDaSS_ST_EUlSS_E_NS1_11comp_targetILNS1_3genE3ELNS1_11target_archE908ELNS1_3gpuE7ELNS1_3repE0EEENS1_30default_config_static_selectorELNS0_4arch9wavefront6targetE0EEEvT1_,comdat
.Lfunc_end131:
	.size	_ZN7rocprim17ROCPRIM_400000_NS6detail17trampoline_kernelINS0_14default_configENS1_27scan_by_key_config_selectorIllEEZZNS1_16scan_by_key_implILNS1_25lookback_scan_determinismE0ELb0ES3_PKlN6hipcub16HIPCUB_304000_NS21ConstantInputIteratorIllEEPllNSB_3SumENSB_8EqualityElEE10hipError_tPvRmT2_T3_T4_T5_mT6_T7_P12ihipStream_tbENKUlT_T0_E_clISt17integral_constantIbLb0EESW_IbLb1EEEEDaSS_ST_EUlSS_E_NS1_11comp_targetILNS1_3genE3ELNS1_11target_archE908ELNS1_3gpuE7ELNS1_3repE0EEENS1_30default_config_static_selectorELNS0_4arch9wavefront6targetE0EEEvT1_, .Lfunc_end131-_ZN7rocprim17ROCPRIM_400000_NS6detail17trampoline_kernelINS0_14default_configENS1_27scan_by_key_config_selectorIllEEZZNS1_16scan_by_key_implILNS1_25lookback_scan_determinismE0ELb0ES3_PKlN6hipcub16HIPCUB_304000_NS21ConstantInputIteratorIllEEPllNSB_3SumENSB_8EqualityElEE10hipError_tPvRmT2_T3_T4_T5_mT6_T7_P12ihipStream_tbENKUlT_T0_E_clISt17integral_constantIbLb0EESW_IbLb1EEEEDaSS_ST_EUlSS_E_NS1_11comp_targetILNS1_3genE3ELNS1_11target_archE908ELNS1_3gpuE7ELNS1_3repE0EEENS1_30default_config_static_selectorELNS0_4arch9wavefront6targetE0EEEvT1_
                                        ; -- End function
	.set _ZN7rocprim17ROCPRIM_400000_NS6detail17trampoline_kernelINS0_14default_configENS1_27scan_by_key_config_selectorIllEEZZNS1_16scan_by_key_implILNS1_25lookback_scan_determinismE0ELb0ES3_PKlN6hipcub16HIPCUB_304000_NS21ConstantInputIteratorIllEEPllNSB_3SumENSB_8EqualityElEE10hipError_tPvRmT2_T3_T4_T5_mT6_T7_P12ihipStream_tbENKUlT_T0_E_clISt17integral_constantIbLb0EESW_IbLb1EEEEDaSS_ST_EUlSS_E_NS1_11comp_targetILNS1_3genE3ELNS1_11target_archE908ELNS1_3gpuE7ELNS1_3repE0EEENS1_30default_config_static_selectorELNS0_4arch9wavefront6targetE0EEEvT1_.num_vgpr, 0
	.set _ZN7rocprim17ROCPRIM_400000_NS6detail17trampoline_kernelINS0_14default_configENS1_27scan_by_key_config_selectorIllEEZZNS1_16scan_by_key_implILNS1_25lookback_scan_determinismE0ELb0ES3_PKlN6hipcub16HIPCUB_304000_NS21ConstantInputIteratorIllEEPllNSB_3SumENSB_8EqualityElEE10hipError_tPvRmT2_T3_T4_T5_mT6_T7_P12ihipStream_tbENKUlT_T0_E_clISt17integral_constantIbLb0EESW_IbLb1EEEEDaSS_ST_EUlSS_E_NS1_11comp_targetILNS1_3genE3ELNS1_11target_archE908ELNS1_3gpuE7ELNS1_3repE0EEENS1_30default_config_static_selectorELNS0_4arch9wavefront6targetE0EEEvT1_.num_agpr, 0
	.set _ZN7rocprim17ROCPRIM_400000_NS6detail17trampoline_kernelINS0_14default_configENS1_27scan_by_key_config_selectorIllEEZZNS1_16scan_by_key_implILNS1_25lookback_scan_determinismE0ELb0ES3_PKlN6hipcub16HIPCUB_304000_NS21ConstantInputIteratorIllEEPllNSB_3SumENSB_8EqualityElEE10hipError_tPvRmT2_T3_T4_T5_mT6_T7_P12ihipStream_tbENKUlT_T0_E_clISt17integral_constantIbLb0EESW_IbLb1EEEEDaSS_ST_EUlSS_E_NS1_11comp_targetILNS1_3genE3ELNS1_11target_archE908ELNS1_3gpuE7ELNS1_3repE0EEENS1_30default_config_static_selectorELNS0_4arch9wavefront6targetE0EEEvT1_.numbered_sgpr, 0
	.set _ZN7rocprim17ROCPRIM_400000_NS6detail17trampoline_kernelINS0_14default_configENS1_27scan_by_key_config_selectorIllEEZZNS1_16scan_by_key_implILNS1_25lookback_scan_determinismE0ELb0ES3_PKlN6hipcub16HIPCUB_304000_NS21ConstantInputIteratorIllEEPllNSB_3SumENSB_8EqualityElEE10hipError_tPvRmT2_T3_T4_T5_mT6_T7_P12ihipStream_tbENKUlT_T0_E_clISt17integral_constantIbLb0EESW_IbLb1EEEEDaSS_ST_EUlSS_E_NS1_11comp_targetILNS1_3genE3ELNS1_11target_archE908ELNS1_3gpuE7ELNS1_3repE0EEENS1_30default_config_static_selectorELNS0_4arch9wavefront6targetE0EEEvT1_.num_named_barrier, 0
	.set _ZN7rocprim17ROCPRIM_400000_NS6detail17trampoline_kernelINS0_14default_configENS1_27scan_by_key_config_selectorIllEEZZNS1_16scan_by_key_implILNS1_25lookback_scan_determinismE0ELb0ES3_PKlN6hipcub16HIPCUB_304000_NS21ConstantInputIteratorIllEEPllNSB_3SumENSB_8EqualityElEE10hipError_tPvRmT2_T3_T4_T5_mT6_T7_P12ihipStream_tbENKUlT_T0_E_clISt17integral_constantIbLb0EESW_IbLb1EEEEDaSS_ST_EUlSS_E_NS1_11comp_targetILNS1_3genE3ELNS1_11target_archE908ELNS1_3gpuE7ELNS1_3repE0EEENS1_30default_config_static_selectorELNS0_4arch9wavefront6targetE0EEEvT1_.private_seg_size, 0
	.set _ZN7rocprim17ROCPRIM_400000_NS6detail17trampoline_kernelINS0_14default_configENS1_27scan_by_key_config_selectorIllEEZZNS1_16scan_by_key_implILNS1_25lookback_scan_determinismE0ELb0ES3_PKlN6hipcub16HIPCUB_304000_NS21ConstantInputIteratorIllEEPllNSB_3SumENSB_8EqualityElEE10hipError_tPvRmT2_T3_T4_T5_mT6_T7_P12ihipStream_tbENKUlT_T0_E_clISt17integral_constantIbLb0EESW_IbLb1EEEEDaSS_ST_EUlSS_E_NS1_11comp_targetILNS1_3genE3ELNS1_11target_archE908ELNS1_3gpuE7ELNS1_3repE0EEENS1_30default_config_static_selectorELNS0_4arch9wavefront6targetE0EEEvT1_.uses_vcc, 0
	.set _ZN7rocprim17ROCPRIM_400000_NS6detail17trampoline_kernelINS0_14default_configENS1_27scan_by_key_config_selectorIllEEZZNS1_16scan_by_key_implILNS1_25lookback_scan_determinismE0ELb0ES3_PKlN6hipcub16HIPCUB_304000_NS21ConstantInputIteratorIllEEPllNSB_3SumENSB_8EqualityElEE10hipError_tPvRmT2_T3_T4_T5_mT6_T7_P12ihipStream_tbENKUlT_T0_E_clISt17integral_constantIbLb0EESW_IbLb1EEEEDaSS_ST_EUlSS_E_NS1_11comp_targetILNS1_3genE3ELNS1_11target_archE908ELNS1_3gpuE7ELNS1_3repE0EEENS1_30default_config_static_selectorELNS0_4arch9wavefront6targetE0EEEvT1_.uses_flat_scratch, 0
	.set _ZN7rocprim17ROCPRIM_400000_NS6detail17trampoline_kernelINS0_14default_configENS1_27scan_by_key_config_selectorIllEEZZNS1_16scan_by_key_implILNS1_25lookback_scan_determinismE0ELb0ES3_PKlN6hipcub16HIPCUB_304000_NS21ConstantInputIteratorIllEEPllNSB_3SumENSB_8EqualityElEE10hipError_tPvRmT2_T3_T4_T5_mT6_T7_P12ihipStream_tbENKUlT_T0_E_clISt17integral_constantIbLb0EESW_IbLb1EEEEDaSS_ST_EUlSS_E_NS1_11comp_targetILNS1_3genE3ELNS1_11target_archE908ELNS1_3gpuE7ELNS1_3repE0EEENS1_30default_config_static_selectorELNS0_4arch9wavefront6targetE0EEEvT1_.has_dyn_sized_stack, 0
	.set _ZN7rocprim17ROCPRIM_400000_NS6detail17trampoline_kernelINS0_14default_configENS1_27scan_by_key_config_selectorIllEEZZNS1_16scan_by_key_implILNS1_25lookback_scan_determinismE0ELb0ES3_PKlN6hipcub16HIPCUB_304000_NS21ConstantInputIteratorIllEEPllNSB_3SumENSB_8EqualityElEE10hipError_tPvRmT2_T3_T4_T5_mT6_T7_P12ihipStream_tbENKUlT_T0_E_clISt17integral_constantIbLb0EESW_IbLb1EEEEDaSS_ST_EUlSS_E_NS1_11comp_targetILNS1_3genE3ELNS1_11target_archE908ELNS1_3gpuE7ELNS1_3repE0EEENS1_30default_config_static_selectorELNS0_4arch9wavefront6targetE0EEEvT1_.has_recursion, 0
	.set _ZN7rocprim17ROCPRIM_400000_NS6detail17trampoline_kernelINS0_14default_configENS1_27scan_by_key_config_selectorIllEEZZNS1_16scan_by_key_implILNS1_25lookback_scan_determinismE0ELb0ES3_PKlN6hipcub16HIPCUB_304000_NS21ConstantInputIteratorIllEEPllNSB_3SumENSB_8EqualityElEE10hipError_tPvRmT2_T3_T4_T5_mT6_T7_P12ihipStream_tbENKUlT_T0_E_clISt17integral_constantIbLb0EESW_IbLb1EEEEDaSS_ST_EUlSS_E_NS1_11comp_targetILNS1_3genE3ELNS1_11target_archE908ELNS1_3gpuE7ELNS1_3repE0EEENS1_30default_config_static_selectorELNS0_4arch9wavefront6targetE0EEEvT1_.has_indirect_call, 0
	.section	.AMDGPU.csdata,"",@progbits
; Kernel info:
; codeLenInByte = 0
; TotalNumSgprs: 0
; NumVgprs: 0
; ScratchSize: 0
; MemoryBound: 0
; FloatMode: 240
; IeeeMode: 1
; LDSByteSize: 0 bytes/workgroup (compile time only)
; SGPRBlocks: 0
; VGPRBlocks: 0
; NumSGPRsForWavesPerEU: 1
; NumVGPRsForWavesPerEU: 1
; NamedBarCnt: 0
; Occupancy: 16
; WaveLimiterHint : 0
; COMPUTE_PGM_RSRC2:SCRATCH_EN: 0
; COMPUTE_PGM_RSRC2:USER_SGPR: 2
; COMPUTE_PGM_RSRC2:TRAP_HANDLER: 0
; COMPUTE_PGM_RSRC2:TGID_X_EN: 1
; COMPUTE_PGM_RSRC2:TGID_Y_EN: 0
; COMPUTE_PGM_RSRC2:TGID_Z_EN: 0
; COMPUTE_PGM_RSRC2:TIDIG_COMP_CNT: 0
	.section	.text._ZN7rocprim17ROCPRIM_400000_NS6detail17trampoline_kernelINS0_14default_configENS1_27scan_by_key_config_selectorIllEEZZNS1_16scan_by_key_implILNS1_25lookback_scan_determinismE0ELb0ES3_PKlN6hipcub16HIPCUB_304000_NS21ConstantInputIteratorIllEEPllNSB_3SumENSB_8EqualityElEE10hipError_tPvRmT2_T3_T4_T5_mT6_T7_P12ihipStream_tbENKUlT_T0_E_clISt17integral_constantIbLb0EESW_IbLb1EEEEDaSS_ST_EUlSS_E_NS1_11comp_targetILNS1_3genE2ELNS1_11target_archE906ELNS1_3gpuE6ELNS1_3repE0EEENS1_30default_config_static_selectorELNS0_4arch9wavefront6targetE0EEEvT1_,"axG",@progbits,_ZN7rocprim17ROCPRIM_400000_NS6detail17trampoline_kernelINS0_14default_configENS1_27scan_by_key_config_selectorIllEEZZNS1_16scan_by_key_implILNS1_25lookback_scan_determinismE0ELb0ES3_PKlN6hipcub16HIPCUB_304000_NS21ConstantInputIteratorIllEEPllNSB_3SumENSB_8EqualityElEE10hipError_tPvRmT2_T3_T4_T5_mT6_T7_P12ihipStream_tbENKUlT_T0_E_clISt17integral_constantIbLb0EESW_IbLb1EEEEDaSS_ST_EUlSS_E_NS1_11comp_targetILNS1_3genE2ELNS1_11target_archE906ELNS1_3gpuE6ELNS1_3repE0EEENS1_30default_config_static_selectorELNS0_4arch9wavefront6targetE0EEEvT1_,comdat
	.protected	_ZN7rocprim17ROCPRIM_400000_NS6detail17trampoline_kernelINS0_14default_configENS1_27scan_by_key_config_selectorIllEEZZNS1_16scan_by_key_implILNS1_25lookback_scan_determinismE0ELb0ES3_PKlN6hipcub16HIPCUB_304000_NS21ConstantInputIteratorIllEEPllNSB_3SumENSB_8EqualityElEE10hipError_tPvRmT2_T3_T4_T5_mT6_T7_P12ihipStream_tbENKUlT_T0_E_clISt17integral_constantIbLb0EESW_IbLb1EEEEDaSS_ST_EUlSS_E_NS1_11comp_targetILNS1_3genE2ELNS1_11target_archE906ELNS1_3gpuE6ELNS1_3repE0EEENS1_30default_config_static_selectorELNS0_4arch9wavefront6targetE0EEEvT1_ ; -- Begin function _ZN7rocprim17ROCPRIM_400000_NS6detail17trampoline_kernelINS0_14default_configENS1_27scan_by_key_config_selectorIllEEZZNS1_16scan_by_key_implILNS1_25lookback_scan_determinismE0ELb0ES3_PKlN6hipcub16HIPCUB_304000_NS21ConstantInputIteratorIllEEPllNSB_3SumENSB_8EqualityElEE10hipError_tPvRmT2_T3_T4_T5_mT6_T7_P12ihipStream_tbENKUlT_T0_E_clISt17integral_constantIbLb0EESW_IbLb1EEEEDaSS_ST_EUlSS_E_NS1_11comp_targetILNS1_3genE2ELNS1_11target_archE906ELNS1_3gpuE6ELNS1_3repE0EEENS1_30default_config_static_selectorELNS0_4arch9wavefront6targetE0EEEvT1_
	.globl	_ZN7rocprim17ROCPRIM_400000_NS6detail17trampoline_kernelINS0_14default_configENS1_27scan_by_key_config_selectorIllEEZZNS1_16scan_by_key_implILNS1_25lookback_scan_determinismE0ELb0ES3_PKlN6hipcub16HIPCUB_304000_NS21ConstantInputIteratorIllEEPllNSB_3SumENSB_8EqualityElEE10hipError_tPvRmT2_T3_T4_T5_mT6_T7_P12ihipStream_tbENKUlT_T0_E_clISt17integral_constantIbLb0EESW_IbLb1EEEEDaSS_ST_EUlSS_E_NS1_11comp_targetILNS1_3genE2ELNS1_11target_archE906ELNS1_3gpuE6ELNS1_3repE0EEENS1_30default_config_static_selectorELNS0_4arch9wavefront6targetE0EEEvT1_
	.p2align	8
	.type	_ZN7rocprim17ROCPRIM_400000_NS6detail17trampoline_kernelINS0_14default_configENS1_27scan_by_key_config_selectorIllEEZZNS1_16scan_by_key_implILNS1_25lookback_scan_determinismE0ELb0ES3_PKlN6hipcub16HIPCUB_304000_NS21ConstantInputIteratorIllEEPllNSB_3SumENSB_8EqualityElEE10hipError_tPvRmT2_T3_T4_T5_mT6_T7_P12ihipStream_tbENKUlT_T0_E_clISt17integral_constantIbLb0EESW_IbLb1EEEEDaSS_ST_EUlSS_E_NS1_11comp_targetILNS1_3genE2ELNS1_11target_archE906ELNS1_3gpuE6ELNS1_3repE0EEENS1_30default_config_static_selectorELNS0_4arch9wavefront6targetE0EEEvT1_,@function
_ZN7rocprim17ROCPRIM_400000_NS6detail17trampoline_kernelINS0_14default_configENS1_27scan_by_key_config_selectorIllEEZZNS1_16scan_by_key_implILNS1_25lookback_scan_determinismE0ELb0ES3_PKlN6hipcub16HIPCUB_304000_NS21ConstantInputIteratorIllEEPllNSB_3SumENSB_8EqualityElEE10hipError_tPvRmT2_T3_T4_T5_mT6_T7_P12ihipStream_tbENKUlT_T0_E_clISt17integral_constantIbLb0EESW_IbLb1EEEEDaSS_ST_EUlSS_E_NS1_11comp_targetILNS1_3genE2ELNS1_11target_archE906ELNS1_3gpuE6ELNS1_3repE0EEENS1_30default_config_static_selectorELNS0_4arch9wavefront6targetE0EEEvT1_: ; @_ZN7rocprim17ROCPRIM_400000_NS6detail17trampoline_kernelINS0_14default_configENS1_27scan_by_key_config_selectorIllEEZZNS1_16scan_by_key_implILNS1_25lookback_scan_determinismE0ELb0ES3_PKlN6hipcub16HIPCUB_304000_NS21ConstantInputIteratorIllEEPllNSB_3SumENSB_8EqualityElEE10hipError_tPvRmT2_T3_T4_T5_mT6_T7_P12ihipStream_tbENKUlT_T0_E_clISt17integral_constantIbLb0EESW_IbLb1EEEEDaSS_ST_EUlSS_E_NS1_11comp_targetILNS1_3genE2ELNS1_11target_archE906ELNS1_3gpuE6ELNS1_3repE0EEENS1_30default_config_static_selectorELNS0_4arch9wavefront6targetE0EEEvT1_
; %bb.0:
	.section	.rodata,"a",@progbits
	.p2align	6, 0x0
	.amdhsa_kernel _ZN7rocprim17ROCPRIM_400000_NS6detail17trampoline_kernelINS0_14default_configENS1_27scan_by_key_config_selectorIllEEZZNS1_16scan_by_key_implILNS1_25lookback_scan_determinismE0ELb0ES3_PKlN6hipcub16HIPCUB_304000_NS21ConstantInputIteratorIllEEPllNSB_3SumENSB_8EqualityElEE10hipError_tPvRmT2_T3_T4_T5_mT6_T7_P12ihipStream_tbENKUlT_T0_E_clISt17integral_constantIbLb0EESW_IbLb1EEEEDaSS_ST_EUlSS_E_NS1_11comp_targetILNS1_3genE2ELNS1_11target_archE906ELNS1_3gpuE6ELNS1_3repE0EEENS1_30default_config_static_selectorELNS0_4arch9wavefront6targetE0EEEvT1_
		.amdhsa_group_segment_fixed_size 0
		.amdhsa_private_segment_fixed_size 0
		.amdhsa_kernarg_size 144
		.amdhsa_user_sgpr_count 2
		.amdhsa_user_sgpr_dispatch_ptr 0
		.amdhsa_user_sgpr_queue_ptr 0
		.amdhsa_user_sgpr_kernarg_segment_ptr 1
		.amdhsa_user_sgpr_dispatch_id 0
		.amdhsa_user_sgpr_kernarg_preload_length 0
		.amdhsa_user_sgpr_kernarg_preload_offset 0
		.amdhsa_user_sgpr_private_segment_size 0
		.amdhsa_wavefront_size32 1
		.amdhsa_uses_dynamic_stack 0
		.amdhsa_enable_private_segment 0
		.amdhsa_system_sgpr_workgroup_id_x 1
		.amdhsa_system_sgpr_workgroup_id_y 0
		.amdhsa_system_sgpr_workgroup_id_z 0
		.amdhsa_system_sgpr_workgroup_info 0
		.amdhsa_system_vgpr_workitem_id 0
		.amdhsa_next_free_vgpr 1
		.amdhsa_next_free_sgpr 1
		.amdhsa_named_barrier_count 0
		.amdhsa_reserve_vcc 0
		.amdhsa_float_round_mode_32 0
		.amdhsa_float_round_mode_16_64 0
		.amdhsa_float_denorm_mode_32 3
		.amdhsa_float_denorm_mode_16_64 3
		.amdhsa_fp16_overflow 0
		.amdhsa_memory_ordered 1
		.amdhsa_forward_progress 1
		.amdhsa_inst_pref_size 0
		.amdhsa_round_robin_scheduling 0
		.amdhsa_exception_fp_ieee_invalid_op 0
		.amdhsa_exception_fp_denorm_src 0
		.amdhsa_exception_fp_ieee_div_zero 0
		.amdhsa_exception_fp_ieee_overflow 0
		.amdhsa_exception_fp_ieee_underflow 0
		.amdhsa_exception_fp_ieee_inexact 0
		.amdhsa_exception_int_div_zero 0
	.end_amdhsa_kernel
	.section	.text._ZN7rocprim17ROCPRIM_400000_NS6detail17trampoline_kernelINS0_14default_configENS1_27scan_by_key_config_selectorIllEEZZNS1_16scan_by_key_implILNS1_25lookback_scan_determinismE0ELb0ES3_PKlN6hipcub16HIPCUB_304000_NS21ConstantInputIteratorIllEEPllNSB_3SumENSB_8EqualityElEE10hipError_tPvRmT2_T3_T4_T5_mT6_T7_P12ihipStream_tbENKUlT_T0_E_clISt17integral_constantIbLb0EESW_IbLb1EEEEDaSS_ST_EUlSS_E_NS1_11comp_targetILNS1_3genE2ELNS1_11target_archE906ELNS1_3gpuE6ELNS1_3repE0EEENS1_30default_config_static_selectorELNS0_4arch9wavefront6targetE0EEEvT1_,"axG",@progbits,_ZN7rocprim17ROCPRIM_400000_NS6detail17trampoline_kernelINS0_14default_configENS1_27scan_by_key_config_selectorIllEEZZNS1_16scan_by_key_implILNS1_25lookback_scan_determinismE0ELb0ES3_PKlN6hipcub16HIPCUB_304000_NS21ConstantInputIteratorIllEEPllNSB_3SumENSB_8EqualityElEE10hipError_tPvRmT2_T3_T4_T5_mT6_T7_P12ihipStream_tbENKUlT_T0_E_clISt17integral_constantIbLb0EESW_IbLb1EEEEDaSS_ST_EUlSS_E_NS1_11comp_targetILNS1_3genE2ELNS1_11target_archE906ELNS1_3gpuE6ELNS1_3repE0EEENS1_30default_config_static_selectorELNS0_4arch9wavefront6targetE0EEEvT1_,comdat
.Lfunc_end132:
	.size	_ZN7rocprim17ROCPRIM_400000_NS6detail17trampoline_kernelINS0_14default_configENS1_27scan_by_key_config_selectorIllEEZZNS1_16scan_by_key_implILNS1_25lookback_scan_determinismE0ELb0ES3_PKlN6hipcub16HIPCUB_304000_NS21ConstantInputIteratorIllEEPllNSB_3SumENSB_8EqualityElEE10hipError_tPvRmT2_T3_T4_T5_mT6_T7_P12ihipStream_tbENKUlT_T0_E_clISt17integral_constantIbLb0EESW_IbLb1EEEEDaSS_ST_EUlSS_E_NS1_11comp_targetILNS1_3genE2ELNS1_11target_archE906ELNS1_3gpuE6ELNS1_3repE0EEENS1_30default_config_static_selectorELNS0_4arch9wavefront6targetE0EEEvT1_, .Lfunc_end132-_ZN7rocprim17ROCPRIM_400000_NS6detail17trampoline_kernelINS0_14default_configENS1_27scan_by_key_config_selectorIllEEZZNS1_16scan_by_key_implILNS1_25lookback_scan_determinismE0ELb0ES3_PKlN6hipcub16HIPCUB_304000_NS21ConstantInputIteratorIllEEPllNSB_3SumENSB_8EqualityElEE10hipError_tPvRmT2_T3_T4_T5_mT6_T7_P12ihipStream_tbENKUlT_T0_E_clISt17integral_constantIbLb0EESW_IbLb1EEEEDaSS_ST_EUlSS_E_NS1_11comp_targetILNS1_3genE2ELNS1_11target_archE906ELNS1_3gpuE6ELNS1_3repE0EEENS1_30default_config_static_selectorELNS0_4arch9wavefront6targetE0EEEvT1_
                                        ; -- End function
	.set _ZN7rocprim17ROCPRIM_400000_NS6detail17trampoline_kernelINS0_14default_configENS1_27scan_by_key_config_selectorIllEEZZNS1_16scan_by_key_implILNS1_25lookback_scan_determinismE0ELb0ES3_PKlN6hipcub16HIPCUB_304000_NS21ConstantInputIteratorIllEEPllNSB_3SumENSB_8EqualityElEE10hipError_tPvRmT2_T3_T4_T5_mT6_T7_P12ihipStream_tbENKUlT_T0_E_clISt17integral_constantIbLb0EESW_IbLb1EEEEDaSS_ST_EUlSS_E_NS1_11comp_targetILNS1_3genE2ELNS1_11target_archE906ELNS1_3gpuE6ELNS1_3repE0EEENS1_30default_config_static_selectorELNS0_4arch9wavefront6targetE0EEEvT1_.num_vgpr, 0
	.set _ZN7rocprim17ROCPRIM_400000_NS6detail17trampoline_kernelINS0_14default_configENS1_27scan_by_key_config_selectorIllEEZZNS1_16scan_by_key_implILNS1_25lookback_scan_determinismE0ELb0ES3_PKlN6hipcub16HIPCUB_304000_NS21ConstantInputIteratorIllEEPllNSB_3SumENSB_8EqualityElEE10hipError_tPvRmT2_T3_T4_T5_mT6_T7_P12ihipStream_tbENKUlT_T0_E_clISt17integral_constantIbLb0EESW_IbLb1EEEEDaSS_ST_EUlSS_E_NS1_11comp_targetILNS1_3genE2ELNS1_11target_archE906ELNS1_3gpuE6ELNS1_3repE0EEENS1_30default_config_static_selectorELNS0_4arch9wavefront6targetE0EEEvT1_.num_agpr, 0
	.set _ZN7rocprim17ROCPRIM_400000_NS6detail17trampoline_kernelINS0_14default_configENS1_27scan_by_key_config_selectorIllEEZZNS1_16scan_by_key_implILNS1_25lookback_scan_determinismE0ELb0ES3_PKlN6hipcub16HIPCUB_304000_NS21ConstantInputIteratorIllEEPllNSB_3SumENSB_8EqualityElEE10hipError_tPvRmT2_T3_T4_T5_mT6_T7_P12ihipStream_tbENKUlT_T0_E_clISt17integral_constantIbLb0EESW_IbLb1EEEEDaSS_ST_EUlSS_E_NS1_11comp_targetILNS1_3genE2ELNS1_11target_archE906ELNS1_3gpuE6ELNS1_3repE0EEENS1_30default_config_static_selectorELNS0_4arch9wavefront6targetE0EEEvT1_.numbered_sgpr, 0
	.set _ZN7rocprim17ROCPRIM_400000_NS6detail17trampoline_kernelINS0_14default_configENS1_27scan_by_key_config_selectorIllEEZZNS1_16scan_by_key_implILNS1_25lookback_scan_determinismE0ELb0ES3_PKlN6hipcub16HIPCUB_304000_NS21ConstantInputIteratorIllEEPllNSB_3SumENSB_8EqualityElEE10hipError_tPvRmT2_T3_T4_T5_mT6_T7_P12ihipStream_tbENKUlT_T0_E_clISt17integral_constantIbLb0EESW_IbLb1EEEEDaSS_ST_EUlSS_E_NS1_11comp_targetILNS1_3genE2ELNS1_11target_archE906ELNS1_3gpuE6ELNS1_3repE0EEENS1_30default_config_static_selectorELNS0_4arch9wavefront6targetE0EEEvT1_.num_named_barrier, 0
	.set _ZN7rocprim17ROCPRIM_400000_NS6detail17trampoline_kernelINS0_14default_configENS1_27scan_by_key_config_selectorIllEEZZNS1_16scan_by_key_implILNS1_25lookback_scan_determinismE0ELb0ES3_PKlN6hipcub16HIPCUB_304000_NS21ConstantInputIteratorIllEEPllNSB_3SumENSB_8EqualityElEE10hipError_tPvRmT2_T3_T4_T5_mT6_T7_P12ihipStream_tbENKUlT_T0_E_clISt17integral_constantIbLb0EESW_IbLb1EEEEDaSS_ST_EUlSS_E_NS1_11comp_targetILNS1_3genE2ELNS1_11target_archE906ELNS1_3gpuE6ELNS1_3repE0EEENS1_30default_config_static_selectorELNS0_4arch9wavefront6targetE0EEEvT1_.private_seg_size, 0
	.set _ZN7rocprim17ROCPRIM_400000_NS6detail17trampoline_kernelINS0_14default_configENS1_27scan_by_key_config_selectorIllEEZZNS1_16scan_by_key_implILNS1_25lookback_scan_determinismE0ELb0ES3_PKlN6hipcub16HIPCUB_304000_NS21ConstantInputIteratorIllEEPllNSB_3SumENSB_8EqualityElEE10hipError_tPvRmT2_T3_T4_T5_mT6_T7_P12ihipStream_tbENKUlT_T0_E_clISt17integral_constantIbLb0EESW_IbLb1EEEEDaSS_ST_EUlSS_E_NS1_11comp_targetILNS1_3genE2ELNS1_11target_archE906ELNS1_3gpuE6ELNS1_3repE0EEENS1_30default_config_static_selectorELNS0_4arch9wavefront6targetE0EEEvT1_.uses_vcc, 0
	.set _ZN7rocprim17ROCPRIM_400000_NS6detail17trampoline_kernelINS0_14default_configENS1_27scan_by_key_config_selectorIllEEZZNS1_16scan_by_key_implILNS1_25lookback_scan_determinismE0ELb0ES3_PKlN6hipcub16HIPCUB_304000_NS21ConstantInputIteratorIllEEPllNSB_3SumENSB_8EqualityElEE10hipError_tPvRmT2_T3_T4_T5_mT6_T7_P12ihipStream_tbENKUlT_T0_E_clISt17integral_constantIbLb0EESW_IbLb1EEEEDaSS_ST_EUlSS_E_NS1_11comp_targetILNS1_3genE2ELNS1_11target_archE906ELNS1_3gpuE6ELNS1_3repE0EEENS1_30default_config_static_selectorELNS0_4arch9wavefront6targetE0EEEvT1_.uses_flat_scratch, 0
	.set _ZN7rocprim17ROCPRIM_400000_NS6detail17trampoline_kernelINS0_14default_configENS1_27scan_by_key_config_selectorIllEEZZNS1_16scan_by_key_implILNS1_25lookback_scan_determinismE0ELb0ES3_PKlN6hipcub16HIPCUB_304000_NS21ConstantInputIteratorIllEEPllNSB_3SumENSB_8EqualityElEE10hipError_tPvRmT2_T3_T4_T5_mT6_T7_P12ihipStream_tbENKUlT_T0_E_clISt17integral_constantIbLb0EESW_IbLb1EEEEDaSS_ST_EUlSS_E_NS1_11comp_targetILNS1_3genE2ELNS1_11target_archE906ELNS1_3gpuE6ELNS1_3repE0EEENS1_30default_config_static_selectorELNS0_4arch9wavefront6targetE0EEEvT1_.has_dyn_sized_stack, 0
	.set _ZN7rocprim17ROCPRIM_400000_NS6detail17trampoline_kernelINS0_14default_configENS1_27scan_by_key_config_selectorIllEEZZNS1_16scan_by_key_implILNS1_25lookback_scan_determinismE0ELb0ES3_PKlN6hipcub16HIPCUB_304000_NS21ConstantInputIteratorIllEEPllNSB_3SumENSB_8EqualityElEE10hipError_tPvRmT2_T3_T4_T5_mT6_T7_P12ihipStream_tbENKUlT_T0_E_clISt17integral_constantIbLb0EESW_IbLb1EEEEDaSS_ST_EUlSS_E_NS1_11comp_targetILNS1_3genE2ELNS1_11target_archE906ELNS1_3gpuE6ELNS1_3repE0EEENS1_30default_config_static_selectorELNS0_4arch9wavefront6targetE0EEEvT1_.has_recursion, 0
	.set _ZN7rocprim17ROCPRIM_400000_NS6detail17trampoline_kernelINS0_14default_configENS1_27scan_by_key_config_selectorIllEEZZNS1_16scan_by_key_implILNS1_25lookback_scan_determinismE0ELb0ES3_PKlN6hipcub16HIPCUB_304000_NS21ConstantInputIteratorIllEEPllNSB_3SumENSB_8EqualityElEE10hipError_tPvRmT2_T3_T4_T5_mT6_T7_P12ihipStream_tbENKUlT_T0_E_clISt17integral_constantIbLb0EESW_IbLb1EEEEDaSS_ST_EUlSS_E_NS1_11comp_targetILNS1_3genE2ELNS1_11target_archE906ELNS1_3gpuE6ELNS1_3repE0EEENS1_30default_config_static_selectorELNS0_4arch9wavefront6targetE0EEEvT1_.has_indirect_call, 0
	.section	.AMDGPU.csdata,"",@progbits
; Kernel info:
; codeLenInByte = 0
; TotalNumSgprs: 0
; NumVgprs: 0
; ScratchSize: 0
; MemoryBound: 0
; FloatMode: 240
; IeeeMode: 1
; LDSByteSize: 0 bytes/workgroup (compile time only)
; SGPRBlocks: 0
; VGPRBlocks: 0
; NumSGPRsForWavesPerEU: 1
; NumVGPRsForWavesPerEU: 1
; NamedBarCnt: 0
; Occupancy: 16
; WaveLimiterHint : 0
; COMPUTE_PGM_RSRC2:SCRATCH_EN: 0
; COMPUTE_PGM_RSRC2:USER_SGPR: 2
; COMPUTE_PGM_RSRC2:TRAP_HANDLER: 0
; COMPUTE_PGM_RSRC2:TGID_X_EN: 1
; COMPUTE_PGM_RSRC2:TGID_Y_EN: 0
; COMPUTE_PGM_RSRC2:TGID_Z_EN: 0
; COMPUTE_PGM_RSRC2:TIDIG_COMP_CNT: 0
	.section	.text._ZN7rocprim17ROCPRIM_400000_NS6detail17trampoline_kernelINS0_14default_configENS1_27scan_by_key_config_selectorIllEEZZNS1_16scan_by_key_implILNS1_25lookback_scan_determinismE0ELb0ES3_PKlN6hipcub16HIPCUB_304000_NS21ConstantInputIteratorIllEEPllNSB_3SumENSB_8EqualityElEE10hipError_tPvRmT2_T3_T4_T5_mT6_T7_P12ihipStream_tbENKUlT_T0_E_clISt17integral_constantIbLb0EESW_IbLb1EEEEDaSS_ST_EUlSS_E_NS1_11comp_targetILNS1_3genE10ELNS1_11target_archE1200ELNS1_3gpuE4ELNS1_3repE0EEENS1_30default_config_static_selectorELNS0_4arch9wavefront6targetE0EEEvT1_,"axG",@progbits,_ZN7rocprim17ROCPRIM_400000_NS6detail17trampoline_kernelINS0_14default_configENS1_27scan_by_key_config_selectorIllEEZZNS1_16scan_by_key_implILNS1_25lookback_scan_determinismE0ELb0ES3_PKlN6hipcub16HIPCUB_304000_NS21ConstantInputIteratorIllEEPllNSB_3SumENSB_8EqualityElEE10hipError_tPvRmT2_T3_T4_T5_mT6_T7_P12ihipStream_tbENKUlT_T0_E_clISt17integral_constantIbLb0EESW_IbLb1EEEEDaSS_ST_EUlSS_E_NS1_11comp_targetILNS1_3genE10ELNS1_11target_archE1200ELNS1_3gpuE4ELNS1_3repE0EEENS1_30default_config_static_selectorELNS0_4arch9wavefront6targetE0EEEvT1_,comdat
	.protected	_ZN7rocprim17ROCPRIM_400000_NS6detail17trampoline_kernelINS0_14default_configENS1_27scan_by_key_config_selectorIllEEZZNS1_16scan_by_key_implILNS1_25lookback_scan_determinismE0ELb0ES3_PKlN6hipcub16HIPCUB_304000_NS21ConstantInputIteratorIllEEPllNSB_3SumENSB_8EqualityElEE10hipError_tPvRmT2_T3_T4_T5_mT6_T7_P12ihipStream_tbENKUlT_T0_E_clISt17integral_constantIbLb0EESW_IbLb1EEEEDaSS_ST_EUlSS_E_NS1_11comp_targetILNS1_3genE10ELNS1_11target_archE1200ELNS1_3gpuE4ELNS1_3repE0EEENS1_30default_config_static_selectorELNS0_4arch9wavefront6targetE0EEEvT1_ ; -- Begin function _ZN7rocprim17ROCPRIM_400000_NS6detail17trampoline_kernelINS0_14default_configENS1_27scan_by_key_config_selectorIllEEZZNS1_16scan_by_key_implILNS1_25lookback_scan_determinismE0ELb0ES3_PKlN6hipcub16HIPCUB_304000_NS21ConstantInputIteratorIllEEPllNSB_3SumENSB_8EqualityElEE10hipError_tPvRmT2_T3_T4_T5_mT6_T7_P12ihipStream_tbENKUlT_T0_E_clISt17integral_constantIbLb0EESW_IbLb1EEEEDaSS_ST_EUlSS_E_NS1_11comp_targetILNS1_3genE10ELNS1_11target_archE1200ELNS1_3gpuE4ELNS1_3repE0EEENS1_30default_config_static_selectorELNS0_4arch9wavefront6targetE0EEEvT1_
	.globl	_ZN7rocprim17ROCPRIM_400000_NS6detail17trampoline_kernelINS0_14default_configENS1_27scan_by_key_config_selectorIllEEZZNS1_16scan_by_key_implILNS1_25lookback_scan_determinismE0ELb0ES3_PKlN6hipcub16HIPCUB_304000_NS21ConstantInputIteratorIllEEPllNSB_3SumENSB_8EqualityElEE10hipError_tPvRmT2_T3_T4_T5_mT6_T7_P12ihipStream_tbENKUlT_T0_E_clISt17integral_constantIbLb0EESW_IbLb1EEEEDaSS_ST_EUlSS_E_NS1_11comp_targetILNS1_3genE10ELNS1_11target_archE1200ELNS1_3gpuE4ELNS1_3repE0EEENS1_30default_config_static_selectorELNS0_4arch9wavefront6targetE0EEEvT1_
	.p2align	8
	.type	_ZN7rocprim17ROCPRIM_400000_NS6detail17trampoline_kernelINS0_14default_configENS1_27scan_by_key_config_selectorIllEEZZNS1_16scan_by_key_implILNS1_25lookback_scan_determinismE0ELb0ES3_PKlN6hipcub16HIPCUB_304000_NS21ConstantInputIteratorIllEEPllNSB_3SumENSB_8EqualityElEE10hipError_tPvRmT2_T3_T4_T5_mT6_T7_P12ihipStream_tbENKUlT_T0_E_clISt17integral_constantIbLb0EESW_IbLb1EEEEDaSS_ST_EUlSS_E_NS1_11comp_targetILNS1_3genE10ELNS1_11target_archE1200ELNS1_3gpuE4ELNS1_3repE0EEENS1_30default_config_static_selectorELNS0_4arch9wavefront6targetE0EEEvT1_,@function
_ZN7rocprim17ROCPRIM_400000_NS6detail17trampoline_kernelINS0_14default_configENS1_27scan_by_key_config_selectorIllEEZZNS1_16scan_by_key_implILNS1_25lookback_scan_determinismE0ELb0ES3_PKlN6hipcub16HIPCUB_304000_NS21ConstantInputIteratorIllEEPllNSB_3SumENSB_8EqualityElEE10hipError_tPvRmT2_T3_T4_T5_mT6_T7_P12ihipStream_tbENKUlT_T0_E_clISt17integral_constantIbLb0EESW_IbLb1EEEEDaSS_ST_EUlSS_E_NS1_11comp_targetILNS1_3genE10ELNS1_11target_archE1200ELNS1_3gpuE4ELNS1_3repE0EEENS1_30default_config_static_selectorELNS0_4arch9wavefront6targetE0EEEvT1_: ; @_ZN7rocprim17ROCPRIM_400000_NS6detail17trampoline_kernelINS0_14default_configENS1_27scan_by_key_config_selectorIllEEZZNS1_16scan_by_key_implILNS1_25lookback_scan_determinismE0ELb0ES3_PKlN6hipcub16HIPCUB_304000_NS21ConstantInputIteratorIllEEPllNSB_3SumENSB_8EqualityElEE10hipError_tPvRmT2_T3_T4_T5_mT6_T7_P12ihipStream_tbENKUlT_T0_E_clISt17integral_constantIbLb0EESW_IbLb1EEEEDaSS_ST_EUlSS_E_NS1_11comp_targetILNS1_3genE10ELNS1_11target_archE1200ELNS1_3gpuE4ELNS1_3repE0EEENS1_30default_config_static_selectorELNS0_4arch9wavefront6targetE0EEEvT1_
; %bb.0:
	.section	.rodata,"a",@progbits
	.p2align	6, 0x0
	.amdhsa_kernel _ZN7rocprim17ROCPRIM_400000_NS6detail17trampoline_kernelINS0_14default_configENS1_27scan_by_key_config_selectorIllEEZZNS1_16scan_by_key_implILNS1_25lookback_scan_determinismE0ELb0ES3_PKlN6hipcub16HIPCUB_304000_NS21ConstantInputIteratorIllEEPllNSB_3SumENSB_8EqualityElEE10hipError_tPvRmT2_T3_T4_T5_mT6_T7_P12ihipStream_tbENKUlT_T0_E_clISt17integral_constantIbLb0EESW_IbLb1EEEEDaSS_ST_EUlSS_E_NS1_11comp_targetILNS1_3genE10ELNS1_11target_archE1200ELNS1_3gpuE4ELNS1_3repE0EEENS1_30default_config_static_selectorELNS0_4arch9wavefront6targetE0EEEvT1_
		.amdhsa_group_segment_fixed_size 0
		.amdhsa_private_segment_fixed_size 0
		.amdhsa_kernarg_size 144
		.amdhsa_user_sgpr_count 2
		.amdhsa_user_sgpr_dispatch_ptr 0
		.amdhsa_user_sgpr_queue_ptr 0
		.amdhsa_user_sgpr_kernarg_segment_ptr 1
		.amdhsa_user_sgpr_dispatch_id 0
		.amdhsa_user_sgpr_kernarg_preload_length 0
		.amdhsa_user_sgpr_kernarg_preload_offset 0
		.amdhsa_user_sgpr_private_segment_size 0
		.amdhsa_wavefront_size32 1
		.amdhsa_uses_dynamic_stack 0
		.amdhsa_enable_private_segment 0
		.amdhsa_system_sgpr_workgroup_id_x 1
		.amdhsa_system_sgpr_workgroup_id_y 0
		.amdhsa_system_sgpr_workgroup_id_z 0
		.amdhsa_system_sgpr_workgroup_info 0
		.amdhsa_system_vgpr_workitem_id 0
		.amdhsa_next_free_vgpr 1
		.amdhsa_next_free_sgpr 1
		.amdhsa_named_barrier_count 0
		.amdhsa_reserve_vcc 0
		.amdhsa_float_round_mode_32 0
		.amdhsa_float_round_mode_16_64 0
		.amdhsa_float_denorm_mode_32 3
		.amdhsa_float_denorm_mode_16_64 3
		.amdhsa_fp16_overflow 0
		.amdhsa_memory_ordered 1
		.amdhsa_forward_progress 1
		.amdhsa_inst_pref_size 0
		.amdhsa_round_robin_scheduling 0
		.amdhsa_exception_fp_ieee_invalid_op 0
		.amdhsa_exception_fp_denorm_src 0
		.amdhsa_exception_fp_ieee_div_zero 0
		.amdhsa_exception_fp_ieee_overflow 0
		.amdhsa_exception_fp_ieee_underflow 0
		.amdhsa_exception_fp_ieee_inexact 0
		.amdhsa_exception_int_div_zero 0
	.end_amdhsa_kernel
	.section	.text._ZN7rocprim17ROCPRIM_400000_NS6detail17trampoline_kernelINS0_14default_configENS1_27scan_by_key_config_selectorIllEEZZNS1_16scan_by_key_implILNS1_25lookback_scan_determinismE0ELb0ES3_PKlN6hipcub16HIPCUB_304000_NS21ConstantInputIteratorIllEEPllNSB_3SumENSB_8EqualityElEE10hipError_tPvRmT2_T3_T4_T5_mT6_T7_P12ihipStream_tbENKUlT_T0_E_clISt17integral_constantIbLb0EESW_IbLb1EEEEDaSS_ST_EUlSS_E_NS1_11comp_targetILNS1_3genE10ELNS1_11target_archE1200ELNS1_3gpuE4ELNS1_3repE0EEENS1_30default_config_static_selectorELNS0_4arch9wavefront6targetE0EEEvT1_,"axG",@progbits,_ZN7rocprim17ROCPRIM_400000_NS6detail17trampoline_kernelINS0_14default_configENS1_27scan_by_key_config_selectorIllEEZZNS1_16scan_by_key_implILNS1_25lookback_scan_determinismE0ELb0ES3_PKlN6hipcub16HIPCUB_304000_NS21ConstantInputIteratorIllEEPllNSB_3SumENSB_8EqualityElEE10hipError_tPvRmT2_T3_T4_T5_mT6_T7_P12ihipStream_tbENKUlT_T0_E_clISt17integral_constantIbLb0EESW_IbLb1EEEEDaSS_ST_EUlSS_E_NS1_11comp_targetILNS1_3genE10ELNS1_11target_archE1200ELNS1_3gpuE4ELNS1_3repE0EEENS1_30default_config_static_selectorELNS0_4arch9wavefront6targetE0EEEvT1_,comdat
.Lfunc_end133:
	.size	_ZN7rocprim17ROCPRIM_400000_NS6detail17trampoline_kernelINS0_14default_configENS1_27scan_by_key_config_selectorIllEEZZNS1_16scan_by_key_implILNS1_25lookback_scan_determinismE0ELb0ES3_PKlN6hipcub16HIPCUB_304000_NS21ConstantInputIteratorIllEEPllNSB_3SumENSB_8EqualityElEE10hipError_tPvRmT2_T3_T4_T5_mT6_T7_P12ihipStream_tbENKUlT_T0_E_clISt17integral_constantIbLb0EESW_IbLb1EEEEDaSS_ST_EUlSS_E_NS1_11comp_targetILNS1_3genE10ELNS1_11target_archE1200ELNS1_3gpuE4ELNS1_3repE0EEENS1_30default_config_static_selectorELNS0_4arch9wavefront6targetE0EEEvT1_, .Lfunc_end133-_ZN7rocprim17ROCPRIM_400000_NS6detail17trampoline_kernelINS0_14default_configENS1_27scan_by_key_config_selectorIllEEZZNS1_16scan_by_key_implILNS1_25lookback_scan_determinismE0ELb0ES3_PKlN6hipcub16HIPCUB_304000_NS21ConstantInputIteratorIllEEPllNSB_3SumENSB_8EqualityElEE10hipError_tPvRmT2_T3_T4_T5_mT6_T7_P12ihipStream_tbENKUlT_T0_E_clISt17integral_constantIbLb0EESW_IbLb1EEEEDaSS_ST_EUlSS_E_NS1_11comp_targetILNS1_3genE10ELNS1_11target_archE1200ELNS1_3gpuE4ELNS1_3repE0EEENS1_30default_config_static_selectorELNS0_4arch9wavefront6targetE0EEEvT1_
                                        ; -- End function
	.set _ZN7rocprim17ROCPRIM_400000_NS6detail17trampoline_kernelINS0_14default_configENS1_27scan_by_key_config_selectorIllEEZZNS1_16scan_by_key_implILNS1_25lookback_scan_determinismE0ELb0ES3_PKlN6hipcub16HIPCUB_304000_NS21ConstantInputIteratorIllEEPllNSB_3SumENSB_8EqualityElEE10hipError_tPvRmT2_T3_T4_T5_mT6_T7_P12ihipStream_tbENKUlT_T0_E_clISt17integral_constantIbLb0EESW_IbLb1EEEEDaSS_ST_EUlSS_E_NS1_11comp_targetILNS1_3genE10ELNS1_11target_archE1200ELNS1_3gpuE4ELNS1_3repE0EEENS1_30default_config_static_selectorELNS0_4arch9wavefront6targetE0EEEvT1_.num_vgpr, 0
	.set _ZN7rocprim17ROCPRIM_400000_NS6detail17trampoline_kernelINS0_14default_configENS1_27scan_by_key_config_selectorIllEEZZNS1_16scan_by_key_implILNS1_25lookback_scan_determinismE0ELb0ES3_PKlN6hipcub16HIPCUB_304000_NS21ConstantInputIteratorIllEEPllNSB_3SumENSB_8EqualityElEE10hipError_tPvRmT2_T3_T4_T5_mT6_T7_P12ihipStream_tbENKUlT_T0_E_clISt17integral_constantIbLb0EESW_IbLb1EEEEDaSS_ST_EUlSS_E_NS1_11comp_targetILNS1_3genE10ELNS1_11target_archE1200ELNS1_3gpuE4ELNS1_3repE0EEENS1_30default_config_static_selectorELNS0_4arch9wavefront6targetE0EEEvT1_.num_agpr, 0
	.set _ZN7rocprim17ROCPRIM_400000_NS6detail17trampoline_kernelINS0_14default_configENS1_27scan_by_key_config_selectorIllEEZZNS1_16scan_by_key_implILNS1_25lookback_scan_determinismE0ELb0ES3_PKlN6hipcub16HIPCUB_304000_NS21ConstantInputIteratorIllEEPllNSB_3SumENSB_8EqualityElEE10hipError_tPvRmT2_T3_T4_T5_mT6_T7_P12ihipStream_tbENKUlT_T0_E_clISt17integral_constantIbLb0EESW_IbLb1EEEEDaSS_ST_EUlSS_E_NS1_11comp_targetILNS1_3genE10ELNS1_11target_archE1200ELNS1_3gpuE4ELNS1_3repE0EEENS1_30default_config_static_selectorELNS0_4arch9wavefront6targetE0EEEvT1_.numbered_sgpr, 0
	.set _ZN7rocprim17ROCPRIM_400000_NS6detail17trampoline_kernelINS0_14default_configENS1_27scan_by_key_config_selectorIllEEZZNS1_16scan_by_key_implILNS1_25lookback_scan_determinismE0ELb0ES3_PKlN6hipcub16HIPCUB_304000_NS21ConstantInputIteratorIllEEPllNSB_3SumENSB_8EqualityElEE10hipError_tPvRmT2_T3_T4_T5_mT6_T7_P12ihipStream_tbENKUlT_T0_E_clISt17integral_constantIbLb0EESW_IbLb1EEEEDaSS_ST_EUlSS_E_NS1_11comp_targetILNS1_3genE10ELNS1_11target_archE1200ELNS1_3gpuE4ELNS1_3repE0EEENS1_30default_config_static_selectorELNS0_4arch9wavefront6targetE0EEEvT1_.num_named_barrier, 0
	.set _ZN7rocprim17ROCPRIM_400000_NS6detail17trampoline_kernelINS0_14default_configENS1_27scan_by_key_config_selectorIllEEZZNS1_16scan_by_key_implILNS1_25lookback_scan_determinismE0ELb0ES3_PKlN6hipcub16HIPCUB_304000_NS21ConstantInputIteratorIllEEPllNSB_3SumENSB_8EqualityElEE10hipError_tPvRmT2_T3_T4_T5_mT6_T7_P12ihipStream_tbENKUlT_T0_E_clISt17integral_constantIbLb0EESW_IbLb1EEEEDaSS_ST_EUlSS_E_NS1_11comp_targetILNS1_3genE10ELNS1_11target_archE1200ELNS1_3gpuE4ELNS1_3repE0EEENS1_30default_config_static_selectorELNS0_4arch9wavefront6targetE0EEEvT1_.private_seg_size, 0
	.set _ZN7rocprim17ROCPRIM_400000_NS6detail17trampoline_kernelINS0_14default_configENS1_27scan_by_key_config_selectorIllEEZZNS1_16scan_by_key_implILNS1_25lookback_scan_determinismE0ELb0ES3_PKlN6hipcub16HIPCUB_304000_NS21ConstantInputIteratorIllEEPllNSB_3SumENSB_8EqualityElEE10hipError_tPvRmT2_T3_T4_T5_mT6_T7_P12ihipStream_tbENKUlT_T0_E_clISt17integral_constantIbLb0EESW_IbLb1EEEEDaSS_ST_EUlSS_E_NS1_11comp_targetILNS1_3genE10ELNS1_11target_archE1200ELNS1_3gpuE4ELNS1_3repE0EEENS1_30default_config_static_selectorELNS0_4arch9wavefront6targetE0EEEvT1_.uses_vcc, 0
	.set _ZN7rocprim17ROCPRIM_400000_NS6detail17trampoline_kernelINS0_14default_configENS1_27scan_by_key_config_selectorIllEEZZNS1_16scan_by_key_implILNS1_25lookback_scan_determinismE0ELb0ES3_PKlN6hipcub16HIPCUB_304000_NS21ConstantInputIteratorIllEEPllNSB_3SumENSB_8EqualityElEE10hipError_tPvRmT2_T3_T4_T5_mT6_T7_P12ihipStream_tbENKUlT_T0_E_clISt17integral_constantIbLb0EESW_IbLb1EEEEDaSS_ST_EUlSS_E_NS1_11comp_targetILNS1_3genE10ELNS1_11target_archE1200ELNS1_3gpuE4ELNS1_3repE0EEENS1_30default_config_static_selectorELNS0_4arch9wavefront6targetE0EEEvT1_.uses_flat_scratch, 0
	.set _ZN7rocprim17ROCPRIM_400000_NS6detail17trampoline_kernelINS0_14default_configENS1_27scan_by_key_config_selectorIllEEZZNS1_16scan_by_key_implILNS1_25lookback_scan_determinismE0ELb0ES3_PKlN6hipcub16HIPCUB_304000_NS21ConstantInputIteratorIllEEPllNSB_3SumENSB_8EqualityElEE10hipError_tPvRmT2_T3_T4_T5_mT6_T7_P12ihipStream_tbENKUlT_T0_E_clISt17integral_constantIbLb0EESW_IbLb1EEEEDaSS_ST_EUlSS_E_NS1_11comp_targetILNS1_3genE10ELNS1_11target_archE1200ELNS1_3gpuE4ELNS1_3repE0EEENS1_30default_config_static_selectorELNS0_4arch9wavefront6targetE0EEEvT1_.has_dyn_sized_stack, 0
	.set _ZN7rocprim17ROCPRIM_400000_NS6detail17trampoline_kernelINS0_14default_configENS1_27scan_by_key_config_selectorIllEEZZNS1_16scan_by_key_implILNS1_25lookback_scan_determinismE0ELb0ES3_PKlN6hipcub16HIPCUB_304000_NS21ConstantInputIteratorIllEEPllNSB_3SumENSB_8EqualityElEE10hipError_tPvRmT2_T3_T4_T5_mT6_T7_P12ihipStream_tbENKUlT_T0_E_clISt17integral_constantIbLb0EESW_IbLb1EEEEDaSS_ST_EUlSS_E_NS1_11comp_targetILNS1_3genE10ELNS1_11target_archE1200ELNS1_3gpuE4ELNS1_3repE0EEENS1_30default_config_static_selectorELNS0_4arch9wavefront6targetE0EEEvT1_.has_recursion, 0
	.set _ZN7rocprim17ROCPRIM_400000_NS6detail17trampoline_kernelINS0_14default_configENS1_27scan_by_key_config_selectorIllEEZZNS1_16scan_by_key_implILNS1_25lookback_scan_determinismE0ELb0ES3_PKlN6hipcub16HIPCUB_304000_NS21ConstantInputIteratorIllEEPllNSB_3SumENSB_8EqualityElEE10hipError_tPvRmT2_T3_T4_T5_mT6_T7_P12ihipStream_tbENKUlT_T0_E_clISt17integral_constantIbLb0EESW_IbLb1EEEEDaSS_ST_EUlSS_E_NS1_11comp_targetILNS1_3genE10ELNS1_11target_archE1200ELNS1_3gpuE4ELNS1_3repE0EEENS1_30default_config_static_selectorELNS0_4arch9wavefront6targetE0EEEvT1_.has_indirect_call, 0
	.section	.AMDGPU.csdata,"",@progbits
; Kernel info:
; codeLenInByte = 0
; TotalNumSgprs: 0
; NumVgprs: 0
; ScratchSize: 0
; MemoryBound: 0
; FloatMode: 240
; IeeeMode: 1
; LDSByteSize: 0 bytes/workgroup (compile time only)
; SGPRBlocks: 0
; VGPRBlocks: 0
; NumSGPRsForWavesPerEU: 1
; NumVGPRsForWavesPerEU: 1
; NamedBarCnt: 0
; Occupancy: 16
; WaveLimiterHint : 0
; COMPUTE_PGM_RSRC2:SCRATCH_EN: 0
; COMPUTE_PGM_RSRC2:USER_SGPR: 2
; COMPUTE_PGM_RSRC2:TRAP_HANDLER: 0
; COMPUTE_PGM_RSRC2:TGID_X_EN: 1
; COMPUTE_PGM_RSRC2:TGID_Y_EN: 0
; COMPUTE_PGM_RSRC2:TGID_Z_EN: 0
; COMPUTE_PGM_RSRC2:TIDIG_COMP_CNT: 0
	.section	.text._ZN7rocprim17ROCPRIM_400000_NS6detail17trampoline_kernelINS0_14default_configENS1_27scan_by_key_config_selectorIllEEZZNS1_16scan_by_key_implILNS1_25lookback_scan_determinismE0ELb0ES3_PKlN6hipcub16HIPCUB_304000_NS21ConstantInputIteratorIllEEPllNSB_3SumENSB_8EqualityElEE10hipError_tPvRmT2_T3_T4_T5_mT6_T7_P12ihipStream_tbENKUlT_T0_E_clISt17integral_constantIbLb0EESW_IbLb1EEEEDaSS_ST_EUlSS_E_NS1_11comp_targetILNS1_3genE9ELNS1_11target_archE1100ELNS1_3gpuE3ELNS1_3repE0EEENS1_30default_config_static_selectorELNS0_4arch9wavefront6targetE0EEEvT1_,"axG",@progbits,_ZN7rocprim17ROCPRIM_400000_NS6detail17trampoline_kernelINS0_14default_configENS1_27scan_by_key_config_selectorIllEEZZNS1_16scan_by_key_implILNS1_25lookback_scan_determinismE0ELb0ES3_PKlN6hipcub16HIPCUB_304000_NS21ConstantInputIteratorIllEEPllNSB_3SumENSB_8EqualityElEE10hipError_tPvRmT2_T3_T4_T5_mT6_T7_P12ihipStream_tbENKUlT_T0_E_clISt17integral_constantIbLb0EESW_IbLb1EEEEDaSS_ST_EUlSS_E_NS1_11comp_targetILNS1_3genE9ELNS1_11target_archE1100ELNS1_3gpuE3ELNS1_3repE0EEENS1_30default_config_static_selectorELNS0_4arch9wavefront6targetE0EEEvT1_,comdat
	.protected	_ZN7rocprim17ROCPRIM_400000_NS6detail17trampoline_kernelINS0_14default_configENS1_27scan_by_key_config_selectorIllEEZZNS1_16scan_by_key_implILNS1_25lookback_scan_determinismE0ELb0ES3_PKlN6hipcub16HIPCUB_304000_NS21ConstantInputIteratorIllEEPllNSB_3SumENSB_8EqualityElEE10hipError_tPvRmT2_T3_T4_T5_mT6_T7_P12ihipStream_tbENKUlT_T0_E_clISt17integral_constantIbLb0EESW_IbLb1EEEEDaSS_ST_EUlSS_E_NS1_11comp_targetILNS1_3genE9ELNS1_11target_archE1100ELNS1_3gpuE3ELNS1_3repE0EEENS1_30default_config_static_selectorELNS0_4arch9wavefront6targetE0EEEvT1_ ; -- Begin function _ZN7rocprim17ROCPRIM_400000_NS6detail17trampoline_kernelINS0_14default_configENS1_27scan_by_key_config_selectorIllEEZZNS1_16scan_by_key_implILNS1_25lookback_scan_determinismE0ELb0ES3_PKlN6hipcub16HIPCUB_304000_NS21ConstantInputIteratorIllEEPllNSB_3SumENSB_8EqualityElEE10hipError_tPvRmT2_T3_T4_T5_mT6_T7_P12ihipStream_tbENKUlT_T0_E_clISt17integral_constantIbLb0EESW_IbLb1EEEEDaSS_ST_EUlSS_E_NS1_11comp_targetILNS1_3genE9ELNS1_11target_archE1100ELNS1_3gpuE3ELNS1_3repE0EEENS1_30default_config_static_selectorELNS0_4arch9wavefront6targetE0EEEvT1_
	.globl	_ZN7rocprim17ROCPRIM_400000_NS6detail17trampoline_kernelINS0_14default_configENS1_27scan_by_key_config_selectorIllEEZZNS1_16scan_by_key_implILNS1_25lookback_scan_determinismE0ELb0ES3_PKlN6hipcub16HIPCUB_304000_NS21ConstantInputIteratorIllEEPllNSB_3SumENSB_8EqualityElEE10hipError_tPvRmT2_T3_T4_T5_mT6_T7_P12ihipStream_tbENKUlT_T0_E_clISt17integral_constantIbLb0EESW_IbLb1EEEEDaSS_ST_EUlSS_E_NS1_11comp_targetILNS1_3genE9ELNS1_11target_archE1100ELNS1_3gpuE3ELNS1_3repE0EEENS1_30default_config_static_selectorELNS0_4arch9wavefront6targetE0EEEvT1_
	.p2align	8
	.type	_ZN7rocprim17ROCPRIM_400000_NS6detail17trampoline_kernelINS0_14default_configENS1_27scan_by_key_config_selectorIllEEZZNS1_16scan_by_key_implILNS1_25lookback_scan_determinismE0ELb0ES3_PKlN6hipcub16HIPCUB_304000_NS21ConstantInputIteratorIllEEPllNSB_3SumENSB_8EqualityElEE10hipError_tPvRmT2_T3_T4_T5_mT6_T7_P12ihipStream_tbENKUlT_T0_E_clISt17integral_constantIbLb0EESW_IbLb1EEEEDaSS_ST_EUlSS_E_NS1_11comp_targetILNS1_3genE9ELNS1_11target_archE1100ELNS1_3gpuE3ELNS1_3repE0EEENS1_30default_config_static_selectorELNS0_4arch9wavefront6targetE0EEEvT1_,@function
_ZN7rocprim17ROCPRIM_400000_NS6detail17trampoline_kernelINS0_14default_configENS1_27scan_by_key_config_selectorIllEEZZNS1_16scan_by_key_implILNS1_25lookback_scan_determinismE0ELb0ES3_PKlN6hipcub16HIPCUB_304000_NS21ConstantInputIteratorIllEEPllNSB_3SumENSB_8EqualityElEE10hipError_tPvRmT2_T3_T4_T5_mT6_T7_P12ihipStream_tbENKUlT_T0_E_clISt17integral_constantIbLb0EESW_IbLb1EEEEDaSS_ST_EUlSS_E_NS1_11comp_targetILNS1_3genE9ELNS1_11target_archE1100ELNS1_3gpuE3ELNS1_3repE0EEENS1_30default_config_static_selectorELNS0_4arch9wavefront6targetE0EEEvT1_: ; @_ZN7rocprim17ROCPRIM_400000_NS6detail17trampoline_kernelINS0_14default_configENS1_27scan_by_key_config_selectorIllEEZZNS1_16scan_by_key_implILNS1_25lookback_scan_determinismE0ELb0ES3_PKlN6hipcub16HIPCUB_304000_NS21ConstantInputIteratorIllEEPllNSB_3SumENSB_8EqualityElEE10hipError_tPvRmT2_T3_T4_T5_mT6_T7_P12ihipStream_tbENKUlT_T0_E_clISt17integral_constantIbLb0EESW_IbLb1EEEEDaSS_ST_EUlSS_E_NS1_11comp_targetILNS1_3genE9ELNS1_11target_archE1100ELNS1_3gpuE3ELNS1_3repE0EEENS1_30default_config_static_selectorELNS0_4arch9wavefront6targetE0EEEvT1_
; %bb.0:
	.section	.rodata,"a",@progbits
	.p2align	6, 0x0
	.amdhsa_kernel _ZN7rocprim17ROCPRIM_400000_NS6detail17trampoline_kernelINS0_14default_configENS1_27scan_by_key_config_selectorIllEEZZNS1_16scan_by_key_implILNS1_25lookback_scan_determinismE0ELb0ES3_PKlN6hipcub16HIPCUB_304000_NS21ConstantInputIteratorIllEEPllNSB_3SumENSB_8EqualityElEE10hipError_tPvRmT2_T3_T4_T5_mT6_T7_P12ihipStream_tbENKUlT_T0_E_clISt17integral_constantIbLb0EESW_IbLb1EEEEDaSS_ST_EUlSS_E_NS1_11comp_targetILNS1_3genE9ELNS1_11target_archE1100ELNS1_3gpuE3ELNS1_3repE0EEENS1_30default_config_static_selectorELNS0_4arch9wavefront6targetE0EEEvT1_
		.amdhsa_group_segment_fixed_size 0
		.amdhsa_private_segment_fixed_size 0
		.amdhsa_kernarg_size 144
		.amdhsa_user_sgpr_count 2
		.amdhsa_user_sgpr_dispatch_ptr 0
		.amdhsa_user_sgpr_queue_ptr 0
		.amdhsa_user_sgpr_kernarg_segment_ptr 1
		.amdhsa_user_sgpr_dispatch_id 0
		.amdhsa_user_sgpr_kernarg_preload_length 0
		.amdhsa_user_sgpr_kernarg_preload_offset 0
		.amdhsa_user_sgpr_private_segment_size 0
		.amdhsa_wavefront_size32 1
		.amdhsa_uses_dynamic_stack 0
		.amdhsa_enable_private_segment 0
		.amdhsa_system_sgpr_workgroup_id_x 1
		.amdhsa_system_sgpr_workgroup_id_y 0
		.amdhsa_system_sgpr_workgroup_id_z 0
		.amdhsa_system_sgpr_workgroup_info 0
		.amdhsa_system_vgpr_workitem_id 0
		.amdhsa_next_free_vgpr 1
		.amdhsa_next_free_sgpr 1
		.amdhsa_named_barrier_count 0
		.amdhsa_reserve_vcc 0
		.amdhsa_float_round_mode_32 0
		.amdhsa_float_round_mode_16_64 0
		.amdhsa_float_denorm_mode_32 3
		.amdhsa_float_denorm_mode_16_64 3
		.amdhsa_fp16_overflow 0
		.amdhsa_memory_ordered 1
		.amdhsa_forward_progress 1
		.amdhsa_inst_pref_size 0
		.amdhsa_round_robin_scheduling 0
		.amdhsa_exception_fp_ieee_invalid_op 0
		.amdhsa_exception_fp_denorm_src 0
		.amdhsa_exception_fp_ieee_div_zero 0
		.amdhsa_exception_fp_ieee_overflow 0
		.amdhsa_exception_fp_ieee_underflow 0
		.amdhsa_exception_fp_ieee_inexact 0
		.amdhsa_exception_int_div_zero 0
	.end_amdhsa_kernel
	.section	.text._ZN7rocprim17ROCPRIM_400000_NS6detail17trampoline_kernelINS0_14default_configENS1_27scan_by_key_config_selectorIllEEZZNS1_16scan_by_key_implILNS1_25lookback_scan_determinismE0ELb0ES3_PKlN6hipcub16HIPCUB_304000_NS21ConstantInputIteratorIllEEPllNSB_3SumENSB_8EqualityElEE10hipError_tPvRmT2_T3_T4_T5_mT6_T7_P12ihipStream_tbENKUlT_T0_E_clISt17integral_constantIbLb0EESW_IbLb1EEEEDaSS_ST_EUlSS_E_NS1_11comp_targetILNS1_3genE9ELNS1_11target_archE1100ELNS1_3gpuE3ELNS1_3repE0EEENS1_30default_config_static_selectorELNS0_4arch9wavefront6targetE0EEEvT1_,"axG",@progbits,_ZN7rocprim17ROCPRIM_400000_NS6detail17trampoline_kernelINS0_14default_configENS1_27scan_by_key_config_selectorIllEEZZNS1_16scan_by_key_implILNS1_25lookback_scan_determinismE0ELb0ES3_PKlN6hipcub16HIPCUB_304000_NS21ConstantInputIteratorIllEEPllNSB_3SumENSB_8EqualityElEE10hipError_tPvRmT2_T3_T4_T5_mT6_T7_P12ihipStream_tbENKUlT_T0_E_clISt17integral_constantIbLb0EESW_IbLb1EEEEDaSS_ST_EUlSS_E_NS1_11comp_targetILNS1_3genE9ELNS1_11target_archE1100ELNS1_3gpuE3ELNS1_3repE0EEENS1_30default_config_static_selectorELNS0_4arch9wavefront6targetE0EEEvT1_,comdat
.Lfunc_end134:
	.size	_ZN7rocprim17ROCPRIM_400000_NS6detail17trampoline_kernelINS0_14default_configENS1_27scan_by_key_config_selectorIllEEZZNS1_16scan_by_key_implILNS1_25lookback_scan_determinismE0ELb0ES3_PKlN6hipcub16HIPCUB_304000_NS21ConstantInputIteratorIllEEPllNSB_3SumENSB_8EqualityElEE10hipError_tPvRmT2_T3_T4_T5_mT6_T7_P12ihipStream_tbENKUlT_T0_E_clISt17integral_constantIbLb0EESW_IbLb1EEEEDaSS_ST_EUlSS_E_NS1_11comp_targetILNS1_3genE9ELNS1_11target_archE1100ELNS1_3gpuE3ELNS1_3repE0EEENS1_30default_config_static_selectorELNS0_4arch9wavefront6targetE0EEEvT1_, .Lfunc_end134-_ZN7rocprim17ROCPRIM_400000_NS6detail17trampoline_kernelINS0_14default_configENS1_27scan_by_key_config_selectorIllEEZZNS1_16scan_by_key_implILNS1_25lookback_scan_determinismE0ELb0ES3_PKlN6hipcub16HIPCUB_304000_NS21ConstantInputIteratorIllEEPllNSB_3SumENSB_8EqualityElEE10hipError_tPvRmT2_T3_T4_T5_mT6_T7_P12ihipStream_tbENKUlT_T0_E_clISt17integral_constantIbLb0EESW_IbLb1EEEEDaSS_ST_EUlSS_E_NS1_11comp_targetILNS1_3genE9ELNS1_11target_archE1100ELNS1_3gpuE3ELNS1_3repE0EEENS1_30default_config_static_selectorELNS0_4arch9wavefront6targetE0EEEvT1_
                                        ; -- End function
	.set _ZN7rocprim17ROCPRIM_400000_NS6detail17trampoline_kernelINS0_14default_configENS1_27scan_by_key_config_selectorIllEEZZNS1_16scan_by_key_implILNS1_25lookback_scan_determinismE0ELb0ES3_PKlN6hipcub16HIPCUB_304000_NS21ConstantInputIteratorIllEEPllNSB_3SumENSB_8EqualityElEE10hipError_tPvRmT2_T3_T4_T5_mT6_T7_P12ihipStream_tbENKUlT_T0_E_clISt17integral_constantIbLb0EESW_IbLb1EEEEDaSS_ST_EUlSS_E_NS1_11comp_targetILNS1_3genE9ELNS1_11target_archE1100ELNS1_3gpuE3ELNS1_3repE0EEENS1_30default_config_static_selectorELNS0_4arch9wavefront6targetE0EEEvT1_.num_vgpr, 0
	.set _ZN7rocprim17ROCPRIM_400000_NS6detail17trampoline_kernelINS0_14default_configENS1_27scan_by_key_config_selectorIllEEZZNS1_16scan_by_key_implILNS1_25lookback_scan_determinismE0ELb0ES3_PKlN6hipcub16HIPCUB_304000_NS21ConstantInputIteratorIllEEPllNSB_3SumENSB_8EqualityElEE10hipError_tPvRmT2_T3_T4_T5_mT6_T7_P12ihipStream_tbENKUlT_T0_E_clISt17integral_constantIbLb0EESW_IbLb1EEEEDaSS_ST_EUlSS_E_NS1_11comp_targetILNS1_3genE9ELNS1_11target_archE1100ELNS1_3gpuE3ELNS1_3repE0EEENS1_30default_config_static_selectorELNS0_4arch9wavefront6targetE0EEEvT1_.num_agpr, 0
	.set _ZN7rocprim17ROCPRIM_400000_NS6detail17trampoline_kernelINS0_14default_configENS1_27scan_by_key_config_selectorIllEEZZNS1_16scan_by_key_implILNS1_25lookback_scan_determinismE0ELb0ES3_PKlN6hipcub16HIPCUB_304000_NS21ConstantInputIteratorIllEEPllNSB_3SumENSB_8EqualityElEE10hipError_tPvRmT2_T3_T4_T5_mT6_T7_P12ihipStream_tbENKUlT_T0_E_clISt17integral_constantIbLb0EESW_IbLb1EEEEDaSS_ST_EUlSS_E_NS1_11comp_targetILNS1_3genE9ELNS1_11target_archE1100ELNS1_3gpuE3ELNS1_3repE0EEENS1_30default_config_static_selectorELNS0_4arch9wavefront6targetE0EEEvT1_.numbered_sgpr, 0
	.set _ZN7rocprim17ROCPRIM_400000_NS6detail17trampoline_kernelINS0_14default_configENS1_27scan_by_key_config_selectorIllEEZZNS1_16scan_by_key_implILNS1_25lookback_scan_determinismE0ELb0ES3_PKlN6hipcub16HIPCUB_304000_NS21ConstantInputIteratorIllEEPllNSB_3SumENSB_8EqualityElEE10hipError_tPvRmT2_T3_T4_T5_mT6_T7_P12ihipStream_tbENKUlT_T0_E_clISt17integral_constantIbLb0EESW_IbLb1EEEEDaSS_ST_EUlSS_E_NS1_11comp_targetILNS1_3genE9ELNS1_11target_archE1100ELNS1_3gpuE3ELNS1_3repE0EEENS1_30default_config_static_selectorELNS0_4arch9wavefront6targetE0EEEvT1_.num_named_barrier, 0
	.set _ZN7rocprim17ROCPRIM_400000_NS6detail17trampoline_kernelINS0_14default_configENS1_27scan_by_key_config_selectorIllEEZZNS1_16scan_by_key_implILNS1_25lookback_scan_determinismE0ELb0ES3_PKlN6hipcub16HIPCUB_304000_NS21ConstantInputIteratorIllEEPllNSB_3SumENSB_8EqualityElEE10hipError_tPvRmT2_T3_T4_T5_mT6_T7_P12ihipStream_tbENKUlT_T0_E_clISt17integral_constantIbLb0EESW_IbLb1EEEEDaSS_ST_EUlSS_E_NS1_11comp_targetILNS1_3genE9ELNS1_11target_archE1100ELNS1_3gpuE3ELNS1_3repE0EEENS1_30default_config_static_selectorELNS0_4arch9wavefront6targetE0EEEvT1_.private_seg_size, 0
	.set _ZN7rocprim17ROCPRIM_400000_NS6detail17trampoline_kernelINS0_14default_configENS1_27scan_by_key_config_selectorIllEEZZNS1_16scan_by_key_implILNS1_25lookback_scan_determinismE0ELb0ES3_PKlN6hipcub16HIPCUB_304000_NS21ConstantInputIteratorIllEEPllNSB_3SumENSB_8EqualityElEE10hipError_tPvRmT2_T3_T4_T5_mT6_T7_P12ihipStream_tbENKUlT_T0_E_clISt17integral_constantIbLb0EESW_IbLb1EEEEDaSS_ST_EUlSS_E_NS1_11comp_targetILNS1_3genE9ELNS1_11target_archE1100ELNS1_3gpuE3ELNS1_3repE0EEENS1_30default_config_static_selectorELNS0_4arch9wavefront6targetE0EEEvT1_.uses_vcc, 0
	.set _ZN7rocprim17ROCPRIM_400000_NS6detail17trampoline_kernelINS0_14default_configENS1_27scan_by_key_config_selectorIllEEZZNS1_16scan_by_key_implILNS1_25lookback_scan_determinismE0ELb0ES3_PKlN6hipcub16HIPCUB_304000_NS21ConstantInputIteratorIllEEPllNSB_3SumENSB_8EqualityElEE10hipError_tPvRmT2_T3_T4_T5_mT6_T7_P12ihipStream_tbENKUlT_T0_E_clISt17integral_constantIbLb0EESW_IbLb1EEEEDaSS_ST_EUlSS_E_NS1_11comp_targetILNS1_3genE9ELNS1_11target_archE1100ELNS1_3gpuE3ELNS1_3repE0EEENS1_30default_config_static_selectorELNS0_4arch9wavefront6targetE0EEEvT1_.uses_flat_scratch, 0
	.set _ZN7rocprim17ROCPRIM_400000_NS6detail17trampoline_kernelINS0_14default_configENS1_27scan_by_key_config_selectorIllEEZZNS1_16scan_by_key_implILNS1_25lookback_scan_determinismE0ELb0ES3_PKlN6hipcub16HIPCUB_304000_NS21ConstantInputIteratorIllEEPllNSB_3SumENSB_8EqualityElEE10hipError_tPvRmT2_T3_T4_T5_mT6_T7_P12ihipStream_tbENKUlT_T0_E_clISt17integral_constantIbLb0EESW_IbLb1EEEEDaSS_ST_EUlSS_E_NS1_11comp_targetILNS1_3genE9ELNS1_11target_archE1100ELNS1_3gpuE3ELNS1_3repE0EEENS1_30default_config_static_selectorELNS0_4arch9wavefront6targetE0EEEvT1_.has_dyn_sized_stack, 0
	.set _ZN7rocprim17ROCPRIM_400000_NS6detail17trampoline_kernelINS0_14default_configENS1_27scan_by_key_config_selectorIllEEZZNS1_16scan_by_key_implILNS1_25lookback_scan_determinismE0ELb0ES3_PKlN6hipcub16HIPCUB_304000_NS21ConstantInputIteratorIllEEPllNSB_3SumENSB_8EqualityElEE10hipError_tPvRmT2_T3_T4_T5_mT6_T7_P12ihipStream_tbENKUlT_T0_E_clISt17integral_constantIbLb0EESW_IbLb1EEEEDaSS_ST_EUlSS_E_NS1_11comp_targetILNS1_3genE9ELNS1_11target_archE1100ELNS1_3gpuE3ELNS1_3repE0EEENS1_30default_config_static_selectorELNS0_4arch9wavefront6targetE0EEEvT1_.has_recursion, 0
	.set _ZN7rocprim17ROCPRIM_400000_NS6detail17trampoline_kernelINS0_14default_configENS1_27scan_by_key_config_selectorIllEEZZNS1_16scan_by_key_implILNS1_25lookback_scan_determinismE0ELb0ES3_PKlN6hipcub16HIPCUB_304000_NS21ConstantInputIteratorIllEEPllNSB_3SumENSB_8EqualityElEE10hipError_tPvRmT2_T3_T4_T5_mT6_T7_P12ihipStream_tbENKUlT_T0_E_clISt17integral_constantIbLb0EESW_IbLb1EEEEDaSS_ST_EUlSS_E_NS1_11comp_targetILNS1_3genE9ELNS1_11target_archE1100ELNS1_3gpuE3ELNS1_3repE0EEENS1_30default_config_static_selectorELNS0_4arch9wavefront6targetE0EEEvT1_.has_indirect_call, 0
	.section	.AMDGPU.csdata,"",@progbits
; Kernel info:
; codeLenInByte = 0
; TotalNumSgprs: 0
; NumVgprs: 0
; ScratchSize: 0
; MemoryBound: 0
; FloatMode: 240
; IeeeMode: 1
; LDSByteSize: 0 bytes/workgroup (compile time only)
; SGPRBlocks: 0
; VGPRBlocks: 0
; NumSGPRsForWavesPerEU: 1
; NumVGPRsForWavesPerEU: 1
; NamedBarCnt: 0
; Occupancy: 16
; WaveLimiterHint : 0
; COMPUTE_PGM_RSRC2:SCRATCH_EN: 0
; COMPUTE_PGM_RSRC2:USER_SGPR: 2
; COMPUTE_PGM_RSRC2:TRAP_HANDLER: 0
; COMPUTE_PGM_RSRC2:TGID_X_EN: 1
; COMPUTE_PGM_RSRC2:TGID_Y_EN: 0
; COMPUTE_PGM_RSRC2:TGID_Z_EN: 0
; COMPUTE_PGM_RSRC2:TIDIG_COMP_CNT: 0
	.section	.text._ZN7rocprim17ROCPRIM_400000_NS6detail17trampoline_kernelINS0_14default_configENS1_27scan_by_key_config_selectorIllEEZZNS1_16scan_by_key_implILNS1_25lookback_scan_determinismE0ELb0ES3_PKlN6hipcub16HIPCUB_304000_NS21ConstantInputIteratorIllEEPllNSB_3SumENSB_8EqualityElEE10hipError_tPvRmT2_T3_T4_T5_mT6_T7_P12ihipStream_tbENKUlT_T0_E_clISt17integral_constantIbLb0EESW_IbLb1EEEEDaSS_ST_EUlSS_E_NS1_11comp_targetILNS1_3genE8ELNS1_11target_archE1030ELNS1_3gpuE2ELNS1_3repE0EEENS1_30default_config_static_selectorELNS0_4arch9wavefront6targetE0EEEvT1_,"axG",@progbits,_ZN7rocprim17ROCPRIM_400000_NS6detail17trampoline_kernelINS0_14default_configENS1_27scan_by_key_config_selectorIllEEZZNS1_16scan_by_key_implILNS1_25lookback_scan_determinismE0ELb0ES3_PKlN6hipcub16HIPCUB_304000_NS21ConstantInputIteratorIllEEPllNSB_3SumENSB_8EqualityElEE10hipError_tPvRmT2_T3_T4_T5_mT6_T7_P12ihipStream_tbENKUlT_T0_E_clISt17integral_constantIbLb0EESW_IbLb1EEEEDaSS_ST_EUlSS_E_NS1_11comp_targetILNS1_3genE8ELNS1_11target_archE1030ELNS1_3gpuE2ELNS1_3repE0EEENS1_30default_config_static_selectorELNS0_4arch9wavefront6targetE0EEEvT1_,comdat
	.protected	_ZN7rocprim17ROCPRIM_400000_NS6detail17trampoline_kernelINS0_14default_configENS1_27scan_by_key_config_selectorIllEEZZNS1_16scan_by_key_implILNS1_25lookback_scan_determinismE0ELb0ES3_PKlN6hipcub16HIPCUB_304000_NS21ConstantInputIteratorIllEEPllNSB_3SumENSB_8EqualityElEE10hipError_tPvRmT2_T3_T4_T5_mT6_T7_P12ihipStream_tbENKUlT_T0_E_clISt17integral_constantIbLb0EESW_IbLb1EEEEDaSS_ST_EUlSS_E_NS1_11comp_targetILNS1_3genE8ELNS1_11target_archE1030ELNS1_3gpuE2ELNS1_3repE0EEENS1_30default_config_static_selectorELNS0_4arch9wavefront6targetE0EEEvT1_ ; -- Begin function _ZN7rocprim17ROCPRIM_400000_NS6detail17trampoline_kernelINS0_14default_configENS1_27scan_by_key_config_selectorIllEEZZNS1_16scan_by_key_implILNS1_25lookback_scan_determinismE0ELb0ES3_PKlN6hipcub16HIPCUB_304000_NS21ConstantInputIteratorIllEEPllNSB_3SumENSB_8EqualityElEE10hipError_tPvRmT2_T3_T4_T5_mT6_T7_P12ihipStream_tbENKUlT_T0_E_clISt17integral_constantIbLb0EESW_IbLb1EEEEDaSS_ST_EUlSS_E_NS1_11comp_targetILNS1_3genE8ELNS1_11target_archE1030ELNS1_3gpuE2ELNS1_3repE0EEENS1_30default_config_static_selectorELNS0_4arch9wavefront6targetE0EEEvT1_
	.globl	_ZN7rocprim17ROCPRIM_400000_NS6detail17trampoline_kernelINS0_14default_configENS1_27scan_by_key_config_selectorIllEEZZNS1_16scan_by_key_implILNS1_25lookback_scan_determinismE0ELb0ES3_PKlN6hipcub16HIPCUB_304000_NS21ConstantInputIteratorIllEEPllNSB_3SumENSB_8EqualityElEE10hipError_tPvRmT2_T3_T4_T5_mT6_T7_P12ihipStream_tbENKUlT_T0_E_clISt17integral_constantIbLb0EESW_IbLb1EEEEDaSS_ST_EUlSS_E_NS1_11comp_targetILNS1_3genE8ELNS1_11target_archE1030ELNS1_3gpuE2ELNS1_3repE0EEENS1_30default_config_static_selectorELNS0_4arch9wavefront6targetE0EEEvT1_
	.p2align	8
	.type	_ZN7rocprim17ROCPRIM_400000_NS6detail17trampoline_kernelINS0_14default_configENS1_27scan_by_key_config_selectorIllEEZZNS1_16scan_by_key_implILNS1_25lookback_scan_determinismE0ELb0ES3_PKlN6hipcub16HIPCUB_304000_NS21ConstantInputIteratorIllEEPllNSB_3SumENSB_8EqualityElEE10hipError_tPvRmT2_T3_T4_T5_mT6_T7_P12ihipStream_tbENKUlT_T0_E_clISt17integral_constantIbLb0EESW_IbLb1EEEEDaSS_ST_EUlSS_E_NS1_11comp_targetILNS1_3genE8ELNS1_11target_archE1030ELNS1_3gpuE2ELNS1_3repE0EEENS1_30default_config_static_selectorELNS0_4arch9wavefront6targetE0EEEvT1_,@function
_ZN7rocprim17ROCPRIM_400000_NS6detail17trampoline_kernelINS0_14default_configENS1_27scan_by_key_config_selectorIllEEZZNS1_16scan_by_key_implILNS1_25lookback_scan_determinismE0ELb0ES3_PKlN6hipcub16HIPCUB_304000_NS21ConstantInputIteratorIllEEPllNSB_3SumENSB_8EqualityElEE10hipError_tPvRmT2_T3_T4_T5_mT6_T7_P12ihipStream_tbENKUlT_T0_E_clISt17integral_constantIbLb0EESW_IbLb1EEEEDaSS_ST_EUlSS_E_NS1_11comp_targetILNS1_3genE8ELNS1_11target_archE1030ELNS1_3gpuE2ELNS1_3repE0EEENS1_30default_config_static_selectorELNS0_4arch9wavefront6targetE0EEEvT1_: ; @_ZN7rocprim17ROCPRIM_400000_NS6detail17trampoline_kernelINS0_14default_configENS1_27scan_by_key_config_selectorIllEEZZNS1_16scan_by_key_implILNS1_25lookback_scan_determinismE0ELb0ES3_PKlN6hipcub16HIPCUB_304000_NS21ConstantInputIteratorIllEEPllNSB_3SumENSB_8EqualityElEE10hipError_tPvRmT2_T3_T4_T5_mT6_T7_P12ihipStream_tbENKUlT_T0_E_clISt17integral_constantIbLb0EESW_IbLb1EEEEDaSS_ST_EUlSS_E_NS1_11comp_targetILNS1_3genE8ELNS1_11target_archE1030ELNS1_3gpuE2ELNS1_3repE0EEENS1_30default_config_static_selectorELNS0_4arch9wavefront6targetE0EEEvT1_
; %bb.0:
	.section	.rodata,"a",@progbits
	.p2align	6, 0x0
	.amdhsa_kernel _ZN7rocprim17ROCPRIM_400000_NS6detail17trampoline_kernelINS0_14default_configENS1_27scan_by_key_config_selectorIllEEZZNS1_16scan_by_key_implILNS1_25lookback_scan_determinismE0ELb0ES3_PKlN6hipcub16HIPCUB_304000_NS21ConstantInputIteratorIllEEPllNSB_3SumENSB_8EqualityElEE10hipError_tPvRmT2_T3_T4_T5_mT6_T7_P12ihipStream_tbENKUlT_T0_E_clISt17integral_constantIbLb0EESW_IbLb1EEEEDaSS_ST_EUlSS_E_NS1_11comp_targetILNS1_3genE8ELNS1_11target_archE1030ELNS1_3gpuE2ELNS1_3repE0EEENS1_30default_config_static_selectorELNS0_4arch9wavefront6targetE0EEEvT1_
		.amdhsa_group_segment_fixed_size 0
		.amdhsa_private_segment_fixed_size 0
		.amdhsa_kernarg_size 144
		.amdhsa_user_sgpr_count 2
		.amdhsa_user_sgpr_dispatch_ptr 0
		.amdhsa_user_sgpr_queue_ptr 0
		.amdhsa_user_sgpr_kernarg_segment_ptr 1
		.amdhsa_user_sgpr_dispatch_id 0
		.amdhsa_user_sgpr_kernarg_preload_length 0
		.amdhsa_user_sgpr_kernarg_preload_offset 0
		.amdhsa_user_sgpr_private_segment_size 0
		.amdhsa_wavefront_size32 1
		.amdhsa_uses_dynamic_stack 0
		.amdhsa_enable_private_segment 0
		.amdhsa_system_sgpr_workgroup_id_x 1
		.amdhsa_system_sgpr_workgroup_id_y 0
		.amdhsa_system_sgpr_workgroup_id_z 0
		.amdhsa_system_sgpr_workgroup_info 0
		.amdhsa_system_vgpr_workitem_id 0
		.amdhsa_next_free_vgpr 1
		.amdhsa_next_free_sgpr 1
		.amdhsa_named_barrier_count 0
		.amdhsa_reserve_vcc 0
		.amdhsa_float_round_mode_32 0
		.amdhsa_float_round_mode_16_64 0
		.amdhsa_float_denorm_mode_32 3
		.amdhsa_float_denorm_mode_16_64 3
		.amdhsa_fp16_overflow 0
		.amdhsa_memory_ordered 1
		.amdhsa_forward_progress 1
		.amdhsa_inst_pref_size 0
		.amdhsa_round_robin_scheduling 0
		.amdhsa_exception_fp_ieee_invalid_op 0
		.amdhsa_exception_fp_denorm_src 0
		.amdhsa_exception_fp_ieee_div_zero 0
		.amdhsa_exception_fp_ieee_overflow 0
		.amdhsa_exception_fp_ieee_underflow 0
		.amdhsa_exception_fp_ieee_inexact 0
		.amdhsa_exception_int_div_zero 0
	.end_amdhsa_kernel
	.section	.text._ZN7rocprim17ROCPRIM_400000_NS6detail17trampoline_kernelINS0_14default_configENS1_27scan_by_key_config_selectorIllEEZZNS1_16scan_by_key_implILNS1_25lookback_scan_determinismE0ELb0ES3_PKlN6hipcub16HIPCUB_304000_NS21ConstantInputIteratorIllEEPllNSB_3SumENSB_8EqualityElEE10hipError_tPvRmT2_T3_T4_T5_mT6_T7_P12ihipStream_tbENKUlT_T0_E_clISt17integral_constantIbLb0EESW_IbLb1EEEEDaSS_ST_EUlSS_E_NS1_11comp_targetILNS1_3genE8ELNS1_11target_archE1030ELNS1_3gpuE2ELNS1_3repE0EEENS1_30default_config_static_selectorELNS0_4arch9wavefront6targetE0EEEvT1_,"axG",@progbits,_ZN7rocprim17ROCPRIM_400000_NS6detail17trampoline_kernelINS0_14default_configENS1_27scan_by_key_config_selectorIllEEZZNS1_16scan_by_key_implILNS1_25lookback_scan_determinismE0ELb0ES3_PKlN6hipcub16HIPCUB_304000_NS21ConstantInputIteratorIllEEPllNSB_3SumENSB_8EqualityElEE10hipError_tPvRmT2_T3_T4_T5_mT6_T7_P12ihipStream_tbENKUlT_T0_E_clISt17integral_constantIbLb0EESW_IbLb1EEEEDaSS_ST_EUlSS_E_NS1_11comp_targetILNS1_3genE8ELNS1_11target_archE1030ELNS1_3gpuE2ELNS1_3repE0EEENS1_30default_config_static_selectorELNS0_4arch9wavefront6targetE0EEEvT1_,comdat
.Lfunc_end135:
	.size	_ZN7rocprim17ROCPRIM_400000_NS6detail17trampoline_kernelINS0_14default_configENS1_27scan_by_key_config_selectorIllEEZZNS1_16scan_by_key_implILNS1_25lookback_scan_determinismE0ELb0ES3_PKlN6hipcub16HIPCUB_304000_NS21ConstantInputIteratorIllEEPllNSB_3SumENSB_8EqualityElEE10hipError_tPvRmT2_T3_T4_T5_mT6_T7_P12ihipStream_tbENKUlT_T0_E_clISt17integral_constantIbLb0EESW_IbLb1EEEEDaSS_ST_EUlSS_E_NS1_11comp_targetILNS1_3genE8ELNS1_11target_archE1030ELNS1_3gpuE2ELNS1_3repE0EEENS1_30default_config_static_selectorELNS0_4arch9wavefront6targetE0EEEvT1_, .Lfunc_end135-_ZN7rocprim17ROCPRIM_400000_NS6detail17trampoline_kernelINS0_14default_configENS1_27scan_by_key_config_selectorIllEEZZNS1_16scan_by_key_implILNS1_25lookback_scan_determinismE0ELb0ES3_PKlN6hipcub16HIPCUB_304000_NS21ConstantInputIteratorIllEEPllNSB_3SumENSB_8EqualityElEE10hipError_tPvRmT2_T3_T4_T5_mT6_T7_P12ihipStream_tbENKUlT_T0_E_clISt17integral_constantIbLb0EESW_IbLb1EEEEDaSS_ST_EUlSS_E_NS1_11comp_targetILNS1_3genE8ELNS1_11target_archE1030ELNS1_3gpuE2ELNS1_3repE0EEENS1_30default_config_static_selectorELNS0_4arch9wavefront6targetE0EEEvT1_
                                        ; -- End function
	.set _ZN7rocprim17ROCPRIM_400000_NS6detail17trampoline_kernelINS0_14default_configENS1_27scan_by_key_config_selectorIllEEZZNS1_16scan_by_key_implILNS1_25lookback_scan_determinismE0ELb0ES3_PKlN6hipcub16HIPCUB_304000_NS21ConstantInputIteratorIllEEPllNSB_3SumENSB_8EqualityElEE10hipError_tPvRmT2_T3_T4_T5_mT6_T7_P12ihipStream_tbENKUlT_T0_E_clISt17integral_constantIbLb0EESW_IbLb1EEEEDaSS_ST_EUlSS_E_NS1_11comp_targetILNS1_3genE8ELNS1_11target_archE1030ELNS1_3gpuE2ELNS1_3repE0EEENS1_30default_config_static_selectorELNS0_4arch9wavefront6targetE0EEEvT1_.num_vgpr, 0
	.set _ZN7rocprim17ROCPRIM_400000_NS6detail17trampoline_kernelINS0_14default_configENS1_27scan_by_key_config_selectorIllEEZZNS1_16scan_by_key_implILNS1_25lookback_scan_determinismE0ELb0ES3_PKlN6hipcub16HIPCUB_304000_NS21ConstantInputIteratorIllEEPllNSB_3SumENSB_8EqualityElEE10hipError_tPvRmT2_T3_T4_T5_mT6_T7_P12ihipStream_tbENKUlT_T0_E_clISt17integral_constantIbLb0EESW_IbLb1EEEEDaSS_ST_EUlSS_E_NS1_11comp_targetILNS1_3genE8ELNS1_11target_archE1030ELNS1_3gpuE2ELNS1_3repE0EEENS1_30default_config_static_selectorELNS0_4arch9wavefront6targetE0EEEvT1_.num_agpr, 0
	.set _ZN7rocprim17ROCPRIM_400000_NS6detail17trampoline_kernelINS0_14default_configENS1_27scan_by_key_config_selectorIllEEZZNS1_16scan_by_key_implILNS1_25lookback_scan_determinismE0ELb0ES3_PKlN6hipcub16HIPCUB_304000_NS21ConstantInputIteratorIllEEPllNSB_3SumENSB_8EqualityElEE10hipError_tPvRmT2_T3_T4_T5_mT6_T7_P12ihipStream_tbENKUlT_T0_E_clISt17integral_constantIbLb0EESW_IbLb1EEEEDaSS_ST_EUlSS_E_NS1_11comp_targetILNS1_3genE8ELNS1_11target_archE1030ELNS1_3gpuE2ELNS1_3repE0EEENS1_30default_config_static_selectorELNS0_4arch9wavefront6targetE0EEEvT1_.numbered_sgpr, 0
	.set _ZN7rocprim17ROCPRIM_400000_NS6detail17trampoline_kernelINS0_14default_configENS1_27scan_by_key_config_selectorIllEEZZNS1_16scan_by_key_implILNS1_25lookback_scan_determinismE0ELb0ES3_PKlN6hipcub16HIPCUB_304000_NS21ConstantInputIteratorIllEEPllNSB_3SumENSB_8EqualityElEE10hipError_tPvRmT2_T3_T4_T5_mT6_T7_P12ihipStream_tbENKUlT_T0_E_clISt17integral_constantIbLb0EESW_IbLb1EEEEDaSS_ST_EUlSS_E_NS1_11comp_targetILNS1_3genE8ELNS1_11target_archE1030ELNS1_3gpuE2ELNS1_3repE0EEENS1_30default_config_static_selectorELNS0_4arch9wavefront6targetE0EEEvT1_.num_named_barrier, 0
	.set _ZN7rocprim17ROCPRIM_400000_NS6detail17trampoline_kernelINS0_14default_configENS1_27scan_by_key_config_selectorIllEEZZNS1_16scan_by_key_implILNS1_25lookback_scan_determinismE0ELb0ES3_PKlN6hipcub16HIPCUB_304000_NS21ConstantInputIteratorIllEEPllNSB_3SumENSB_8EqualityElEE10hipError_tPvRmT2_T3_T4_T5_mT6_T7_P12ihipStream_tbENKUlT_T0_E_clISt17integral_constantIbLb0EESW_IbLb1EEEEDaSS_ST_EUlSS_E_NS1_11comp_targetILNS1_3genE8ELNS1_11target_archE1030ELNS1_3gpuE2ELNS1_3repE0EEENS1_30default_config_static_selectorELNS0_4arch9wavefront6targetE0EEEvT1_.private_seg_size, 0
	.set _ZN7rocprim17ROCPRIM_400000_NS6detail17trampoline_kernelINS0_14default_configENS1_27scan_by_key_config_selectorIllEEZZNS1_16scan_by_key_implILNS1_25lookback_scan_determinismE0ELb0ES3_PKlN6hipcub16HIPCUB_304000_NS21ConstantInputIteratorIllEEPllNSB_3SumENSB_8EqualityElEE10hipError_tPvRmT2_T3_T4_T5_mT6_T7_P12ihipStream_tbENKUlT_T0_E_clISt17integral_constantIbLb0EESW_IbLb1EEEEDaSS_ST_EUlSS_E_NS1_11comp_targetILNS1_3genE8ELNS1_11target_archE1030ELNS1_3gpuE2ELNS1_3repE0EEENS1_30default_config_static_selectorELNS0_4arch9wavefront6targetE0EEEvT1_.uses_vcc, 0
	.set _ZN7rocprim17ROCPRIM_400000_NS6detail17trampoline_kernelINS0_14default_configENS1_27scan_by_key_config_selectorIllEEZZNS1_16scan_by_key_implILNS1_25lookback_scan_determinismE0ELb0ES3_PKlN6hipcub16HIPCUB_304000_NS21ConstantInputIteratorIllEEPllNSB_3SumENSB_8EqualityElEE10hipError_tPvRmT2_T3_T4_T5_mT6_T7_P12ihipStream_tbENKUlT_T0_E_clISt17integral_constantIbLb0EESW_IbLb1EEEEDaSS_ST_EUlSS_E_NS1_11comp_targetILNS1_3genE8ELNS1_11target_archE1030ELNS1_3gpuE2ELNS1_3repE0EEENS1_30default_config_static_selectorELNS0_4arch9wavefront6targetE0EEEvT1_.uses_flat_scratch, 0
	.set _ZN7rocprim17ROCPRIM_400000_NS6detail17trampoline_kernelINS0_14default_configENS1_27scan_by_key_config_selectorIllEEZZNS1_16scan_by_key_implILNS1_25lookback_scan_determinismE0ELb0ES3_PKlN6hipcub16HIPCUB_304000_NS21ConstantInputIteratorIllEEPllNSB_3SumENSB_8EqualityElEE10hipError_tPvRmT2_T3_T4_T5_mT6_T7_P12ihipStream_tbENKUlT_T0_E_clISt17integral_constantIbLb0EESW_IbLb1EEEEDaSS_ST_EUlSS_E_NS1_11comp_targetILNS1_3genE8ELNS1_11target_archE1030ELNS1_3gpuE2ELNS1_3repE0EEENS1_30default_config_static_selectorELNS0_4arch9wavefront6targetE0EEEvT1_.has_dyn_sized_stack, 0
	.set _ZN7rocprim17ROCPRIM_400000_NS6detail17trampoline_kernelINS0_14default_configENS1_27scan_by_key_config_selectorIllEEZZNS1_16scan_by_key_implILNS1_25lookback_scan_determinismE0ELb0ES3_PKlN6hipcub16HIPCUB_304000_NS21ConstantInputIteratorIllEEPllNSB_3SumENSB_8EqualityElEE10hipError_tPvRmT2_T3_T4_T5_mT6_T7_P12ihipStream_tbENKUlT_T0_E_clISt17integral_constantIbLb0EESW_IbLb1EEEEDaSS_ST_EUlSS_E_NS1_11comp_targetILNS1_3genE8ELNS1_11target_archE1030ELNS1_3gpuE2ELNS1_3repE0EEENS1_30default_config_static_selectorELNS0_4arch9wavefront6targetE0EEEvT1_.has_recursion, 0
	.set _ZN7rocprim17ROCPRIM_400000_NS6detail17trampoline_kernelINS0_14default_configENS1_27scan_by_key_config_selectorIllEEZZNS1_16scan_by_key_implILNS1_25lookback_scan_determinismE0ELb0ES3_PKlN6hipcub16HIPCUB_304000_NS21ConstantInputIteratorIllEEPllNSB_3SumENSB_8EqualityElEE10hipError_tPvRmT2_T3_T4_T5_mT6_T7_P12ihipStream_tbENKUlT_T0_E_clISt17integral_constantIbLb0EESW_IbLb1EEEEDaSS_ST_EUlSS_E_NS1_11comp_targetILNS1_3genE8ELNS1_11target_archE1030ELNS1_3gpuE2ELNS1_3repE0EEENS1_30default_config_static_selectorELNS0_4arch9wavefront6targetE0EEEvT1_.has_indirect_call, 0
	.section	.AMDGPU.csdata,"",@progbits
; Kernel info:
; codeLenInByte = 0
; TotalNumSgprs: 0
; NumVgprs: 0
; ScratchSize: 0
; MemoryBound: 0
; FloatMode: 240
; IeeeMode: 1
; LDSByteSize: 0 bytes/workgroup (compile time only)
; SGPRBlocks: 0
; VGPRBlocks: 0
; NumSGPRsForWavesPerEU: 1
; NumVGPRsForWavesPerEU: 1
; NamedBarCnt: 0
; Occupancy: 16
; WaveLimiterHint : 0
; COMPUTE_PGM_RSRC2:SCRATCH_EN: 0
; COMPUTE_PGM_RSRC2:USER_SGPR: 2
; COMPUTE_PGM_RSRC2:TRAP_HANDLER: 0
; COMPUTE_PGM_RSRC2:TGID_X_EN: 1
; COMPUTE_PGM_RSRC2:TGID_Y_EN: 0
; COMPUTE_PGM_RSRC2:TGID_Z_EN: 0
; COMPUTE_PGM_RSRC2:TIDIG_COMP_CNT: 0
	.section	.text._ZN7rocprim17ROCPRIM_400000_NS6detail30init_device_scan_by_key_kernelINS1_19lookback_scan_stateINS0_5tupleIJlbEEELb0ELb0EEEN6thrust23THRUST_200600_302600_NS16reverse_iteratorIPKlEEjNS1_16block_id_wrapperIjLb0EEEEEvT_jjPNSF_10value_typeET0_PNSt15iterator_traitsISI_E10value_typeEmT1_T2_,"axG",@progbits,_ZN7rocprim17ROCPRIM_400000_NS6detail30init_device_scan_by_key_kernelINS1_19lookback_scan_stateINS0_5tupleIJlbEEELb0ELb0EEEN6thrust23THRUST_200600_302600_NS16reverse_iteratorIPKlEEjNS1_16block_id_wrapperIjLb0EEEEEvT_jjPNSF_10value_typeET0_PNSt15iterator_traitsISI_E10value_typeEmT1_T2_,comdat
	.protected	_ZN7rocprim17ROCPRIM_400000_NS6detail30init_device_scan_by_key_kernelINS1_19lookback_scan_stateINS0_5tupleIJlbEEELb0ELb0EEEN6thrust23THRUST_200600_302600_NS16reverse_iteratorIPKlEEjNS1_16block_id_wrapperIjLb0EEEEEvT_jjPNSF_10value_typeET0_PNSt15iterator_traitsISI_E10value_typeEmT1_T2_ ; -- Begin function _ZN7rocprim17ROCPRIM_400000_NS6detail30init_device_scan_by_key_kernelINS1_19lookback_scan_stateINS0_5tupleIJlbEEELb0ELb0EEEN6thrust23THRUST_200600_302600_NS16reverse_iteratorIPKlEEjNS1_16block_id_wrapperIjLb0EEEEEvT_jjPNSF_10value_typeET0_PNSt15iterator_traitsISI_E10value_typeEmT1_T2_
	.globl	_ZN7rocprim17ROCPRIM_400000_NS6detail30init_device_scan_by_key_kernelINS1_19lookback_scan_stateINS0_5tupleIJlbEEELb0ELb0EEEN6thrust23THRUST_200600_302600_NS16reverse_iteratorIPKlEEjNS1_16block_id_wrapperIjLb0EEEEEvT_jjPNSF_10value_typeET0_PNSt15iterator_traitsISI_E10value_typeEmT1_T2_
	.p2align	8
	.type	_ZN7rocprim17ROCPRIM_400000_NS6detail30init_device_scan_by_key_kernelINS1_19lookback_scan_stateINS0_5tupleIJlbEEELb0ELb0EEEN6thrust23THRUST_200600_302600_NS16reverse_iteratorIPKlEEjNS1_16block_id_wrapperIjLb0EEEEEvT_jjPNSF_10value_typeET0_PNSt15iterator_traitsISI_E10value_typeEmT1_T2_,@function
_ZN7rocprim17ROCPRIM_400000_NS6detail30init_device_scan_by_key_kernelINS1_19lookback_scan_stateINS0_5tupleIJlbEEELb0ELb0EEEN6thrust23THRUST_200600_302600_NS16reverse_iteratorIPKlEEjNS1_16block_id_wrapperIjLb0EEEEEvT_jjPNSF_10value_typeET0_PNSt15iterator_traitsISI_E10value_typeEmT1_T2_: ; @_ZN7rocprim17ROCPRIM_400000_NS6detail30init_device_scan_by_key_kernelINS1_19lookback_scan_stateINS0_5tupleIJlbEEELb0ELb0EEEN6thrust23THRUST_200600_302600_NS16reverse_iteratorIPKlEEjNS1_16block_id_wrapperIjLb0EEEEEvT_jjPNSF_10value_typeET0_PNSt15iterator_traitsISI_E10value_typeEmT1_T2_
; %bb.0:
	s_clause 0x2
	s_load_b32 s2, s[0:1], 0x54
	s_load_b32 s18, s[0:1], 0x48
	s_load_b256 s[4:11], s[0:1], 0x10
	s_bfe_u32 s3, ttmp6, 0x4000c
	s_and_b32 s12, ttmp6, 15
	s_add_co_i32 s3, s3, 1
	s_getreg_b32 s13, hwreg(HW_REG_IB_STS2, 6, 4)
	s_mul_i32 s3, ttmp9, s3
	s_delay_alu instid0(SALU_CYCLE_1)
	s_add_co_i32 s12, s12, s3
	s_wait_kmcnt 0x0
	s_and_b32 s19, s2, 0xffff
	s_cmp_eq_u32 s13, 0
	s_cselect_b32 s2, ttmp9, s12
	s_cmp_eq_u64 s[8:9], 0
	v_mad_u32 v0, s2, s19, v0
	s_cbranch_scc1 .LBB136_7
; %bb.1:
	s_cmp_lt_u32 s7, s6
	s_mov_b32 s20, exec_lo
	s_cselect_b32 s2, s7, 0
	s_delay_alu instid0(VALU_DEP_1) | instid1(SALU_CYCLE_1)
	v_cmpx_eq_u32_e64 s2, v0
	s_cbranch_execz .LBB136_6
; %bb.2:
	s_add_co_i32 s2, s7, 32
	s_load_b128 s[12:15], s[0:1], 0x0
	v_mov_b32_e32 v1, s2
	s_mov_b32 s3, 0
	global_load_u8 v1, v1, s[4:5] scope:SCOPE_DEV
	s_wait_loadcnt 0x0
	v_and_b32_e32 v2, 0xffff, v1
	v_readfirstlane_b32 s7, v1
	s_delay_alu instid0(VALU_DEP_2)
	v_cmp_ne_u32_e32 vcc_lo, 0, v2
	s_cbranch_vccnz .LBB136_5
; %bb.3:
	v_mov_b32_e32 v1, 0
	s_add_nc_u64 s[16:17], s[4:5], s[2:3]
.LBB136_4:                              ; =>This Inner Loop Header: Depth=1
	global_load_u8 v2, v1, s[16:17] scope:SCOPE_DEV
	s_wait_loadcnt 0x0
	v_and_b32_e32 v3, 0xffff, v2
	v_readfirstlane_b32 s7, v2
	s_delay_alu instid0(VALU_DEP_2)
	v_cmp_eq_u32_e32 vcc_lo, 0, v3
	s_cbranch_vccnz .LBB136_4
.LBB136_5:
	s_and_b32 s7, 0xffff, s7
	v_mov_b32_e32 v1, 0
	s_cmp_eq_u32 s7, 1
	global_wb scope:SCOPE_DEV
	s_wait_storecnt 0x0
	global_inv scope:SCOPE_DEV
	s_wait_kmcnt 0x0
	s_cselect_b32 s13, s13, s15
	s_cselect_b32 s12, s12, s14
	s_lshl_b64 s[2:3], s[2:3], 4
	s_delay_alu instid0(SALU_CYCLE_1)
	s_add_nc_u64 s[2:3], s[12:13], s[2:3]
	s_clause 0x1
	global_load_b64 v[2:3], v1, s[2:3]
	global_load_u8 v4, v1, s[2:3] offset:8
	s_wait_loadcnt 0x1
	global_store_b64 v1, v[2:3], s[8:9]
	s_wait_loadcnt 0x0
	global_store_b8 v1, v4, s[8:9] offset:8
.LBB136_6:
	s_wait_xcnt 0x0
	s_or_b32 exec_lo, exec_lo, s20
.LBB136_7:
	s_delay_alu instid0(SALU_CYCLE_1) | instskip(NEXT) | instid1(VALU_DEP_1)
	s_mov_b32 s2, exec_lo
	v_cmpx_gt_u32_e64 s6, v0
	s_cbranch_execz .LBB136_9
; %bb.8:
	v_dual_mov_b32 v2, 0 :: v_dual_add_nc_u32 v1, 32, v0
	global_store_b8 v1, v2, s[4:5]
.LBB136_9:
	s_wait_xcnt 0x0
	s_or_b32 exec_lo, exec_lo, s2
	v_mov_b32_e32 v1, 0
	s_mov_b32 s2, exec_lo
	v_cmpx_gt_u32_e32 32, v0
	s_cbranch_execz .LBB136_11
; %bb.10:
	s_delay_alu instid0(VALU_DEP_2)
	v_add_nc_u64_e32 v[2:3], s[4:5], v[0:1]
	v_mov_b32_e32 v4, 0xff
	global_store_b8 v[2:3], v4, off
.LBB136_11:
	s_wait_xcnt 0x0
	s_or_b32 exec_lo, exec_lo, s2
	s_load_b64 s[2:3], s[0:1], 0x38
	s_mov_b32 s4, exec_lo
	s_wait_kmcnt 0x0
	v_cmpx_gt_u64_e64 s[2:3], v[0:1]
	s_cbranch_execz .LBB136_14
; %bb.12:
	s_clause 0x1
	s_load_b32 s4, s[0:1], 0x40
	s_load_b64 s[6:7], s[0:1], 0x30
	s_mov_b32 s5, 0
	s_wait_xcnt 0x0
	s_mov_b32 s1, s5
	s_wait_kmcnt 0x0
	s_add_co_i32 s0, s4, -1
	v_lshl_add_u64 v[4:5], v[0:1], 3, s[6:7]
	v_mad_nc_u64_u32 v[2:3], s4, v0, s[0:1]
	s_mul_i32 s0, s18, s19
	s_delay_alu instid0(SALU_CYCLE_1) | instskip(NEXT) | instid1(SALU_CYCLE_1)
	s_mul_u64 s[8:9], s[4:5], s[0:1]
	s_lshl_b64 s[8:9], s[8:9], 3
	s_delay_alu instid0(SALU_CYCLE_1) | instskip(SKIP_1) | instid1(VALU_DEP_1)
	s_sub_nc_u64 s[6:7], 0, s[8:9]
	s_lshl_b64 s[8:9], s[0:1], 3
	v_not_b32_e32 v3, v3
	s_delay_alu instid0(VALU_DEP_2) | instskip(NEXT) | instid1(VALU_DEP_1)
	v_not_b32_e32 v2, v2
	v_lshl_add_u64 v[2:3], v[2:3], 3, s[10:11]
.LBB136_13:                             ; =>This Inner Loop Header: Depth=1
	global_load_b64 v[6:7], v[2:3], off
	v_add_nc_u64_e32 v[0:1], s[0:1], v[0:1]
	s_wait_xcnt 0x0
	v_add_nc_u64_e32 v[2:3], s[6:7], v[2:3]
	s_delay_alu instid0(VALU_DEP_2)
	v_cmp_le_u64_e32 vcc_lo, s[2:3], v[0:1]
	s_or_b32 s5, vcc_lo, s5
	s_wait_loadcnt 0x0
	global_store_b64 v[4:5], v[6:7], off
	s_wait_xcnt 0x0
	v_add_nc_u64_e32 v[4:5], s[8:9], v[4:5]
	s_and_not1_b32 exec_lo, exec_lo, s5
	s_cbranch_execnz .LBB136_13
.LBB136_14:
	s_endpgm
	.section	.rodata,"a",@progbits
	.p2align	6, 0x0
	.amdhsa_kernel _ZN7rocprim17ROCPRIM_400000_NS6detail30init_device_scan_by_key_kernelINS1_19lookback_scan_stateINS0_5tupleIJlbEEELb0ELb0EEEN6thrust23THRUST_200600_302600_NS16reverse_iteratorIPKlEEjNS1_16block_id_wrapperIjLb0EEEEEvT_jjPNSF_10value_typeET0_PNSt15iterator_traitsISI_E10value_typeEmT1_T2_
		.amdhsa_group_segment_fixed_size 0
		.amdhsa_private_segment_fixed_size 0
		.amdhsa_kernarg_size 328
		.amdhsa_user_sgpr_count 2
		.amdhsa_user_sgpr_dispatch_ptr 0
		.amdhsa_user_sgpr_queue_ptr 0
		.amdhsa_user_sgpr_kernarg_segment_ptr 1
		.amdhsa_user_sgpr_dispatch_id 0
		.amdhsa_user_sgpr_kernarg_preload_length 0
		.amdhsa_user_sgpr_kernarg_preload_offset 0
		.amdhsa_user_sgpr_private_segment_size 0
		.amdhsa_wavefront_size32 1
		.amdhsa_uses_dynamic_stack 0
		.amdhsa_enable_private_segment 0
		.amdhsa_system_sgpr_workgroup_id_x 1
		.amdhsa_system_sgpr_workgroup_id_y 0
		.amdhsa_system_sgpr_workgroup_id_z 0
		.amdhsa_system_sgpr_workgroup_info 0
		.amdhsa_system_vgpr_workitem_id 0
		.amdhsa_next_free_vgpr 8
		.amdhsa_next_free_sgpr 21
		.amdhsa_named_barrier_count 0
		.amdhsa_reserve_vcc 1
		.amdhsa_float_round_mode_32 0
		.amdhsa_float_round_mode_16_64 0
		.amdhsa_float_denorm_mode_32 3
		.amdhsa_float_denorm_mode_16_64 3
		.amdhsa_fp16_overflow 0
		.amdhsa_memory_ordered 1
		.amdhsa_forward_progress 1
		.amdhsa_inst_pref_size 6
		.amdhsa_round_robin_scheduling 0
		.amdhsa_exception_fp_ieee_invalid_op 0
		.amdhsa_exception_fp_denorm_src 0
		.amdhsa_exception_fp_ieee_div_zero 0
		.amdhsa_exception_fp_ieee_overflow 0
		.amdhsa_exception_fp_ieee_underflow 0
		.amdhsa_exception_fp_ieee_inexact 0
		.amdhsa_exception_int_div_zero 0
	.end_amdhsa_kernel
	.section	.text._ZN7rocprim17ROCPRIM_400000_NS6detail30init_device_scan_by_key_kernelINS1_19lookback_scan_stateINS0_5tupleIJlbEEELb0ELb0EEEN6thrust23THRUST_200600_302600_NS16reverse_iteratorIPKlEEjNS1_16block_id_wrapperIjLb0EEEEEvT_jjPNSF_10value_typeET0_PNSt15iterator_traitsISI_E10value_typeEmT1_T2_,"axG",@progbits,_ZN7rocprim17ROCPRIM_400000_NS6detail30init_device_scan_by_key_kernelINS1_19lookback_scan_stateINS0_5tupleIJlbEEELb0ELb0EEEN6thrust23THRUST_200600_302600_NS16reverse_iteratorIPKlEEjNS1_16block_id_wrapperIjLb0EEEEEvT_jjPNSF_10value_typeET0_PNSt15iterator_traitsISI_E10value_typeEmT1_T2_,comdat
.Lfunc_end136:
	.size	_ZN7rocprim17ROCPRIM_400000_NS6detail30init_device_scan_by_key_kernelINS1_19lookback_scan_stateINS0_5tupleIJlbEEELb0ELb0EEEN6thrust23THRUST_200600_302600_NS16reverse_iteratorIPKlEEjNS1_16block_id_wrapperIjLb0EEEEEvT_jjPNSF_10value_typeET0_PNSt15iterator_traitsISI_E10value_typeEmT1_T2_, .Lfunc_end136-_ZN7rocprim17ROCPRIM_400000_NS6detail30init_device_scan_by_key_kernelINS1_19lookback_scan_stateINS0_5tupleIJlbEEELb0ELb0EEEN6thrust23THRUST_200600_302600_NS16reverse_iteratorIPKlEEjNS1_16block_id_wrapperIjLb0EEEEEvT_jjPNSF_10value_typeET0_PNSt15iterator_traitsISI_E10value_typeEmT1_T2_
                                        ; -- End function
	.set _ZN7rocprim17ROCPRIM_400000_NS6detail30init_device_scan_by_key_kernelINS1_19lookback_scan_stateINS0_5tupleIJlbEEELb0ELb0EEEN6thrust23THRUST_200600_302600_NS16reverse_iteratorIPKlEEjNS1_16block_id_wrapperIjLb0EEEEEvT_jjPNSF_10value_typeET0_PNSt15iterator_traitsISI_E10value_typeEmT1_T2_.num_vgpr, 8
	.set _ZN7rocprim17ROCPRIM_400000_NS6detail30init_device_scan_by_key_kernelINS1_19lookback_scan_stateINS0_5tupleIJlbEEELb0ELb0EEEN6thrust23THRUST_200600_302600_NS16reverse_iteratorIPKlEEjNS1_16block_id_wrapperIjLb0EEEEEvT_jjPNSF_10value_typeET0_PNSt15iterator_traitsISI_E10value_typeEmT1_T2_.num_agpr, 0
	.set _ZN7rocprim17ROCPRIM_400000_NS6detail30init_device_scan_by_key_kernelINS1_19lookback_scan_stateINS0_5tupleIJlbEEELb0ELb0EEEN6thrust23THRUST_200600_302600_NS16reverse_iteratorIPKlEEjNS1_16block_id_wrapperIjLb0EEEEEvT_jjPNSF_10value_typeET0_PNSt15iterator_traitsISI_E10value_typeEmT1_T2_.numbered_sgpr, 21
	.set _ZN7rocprim17ROCPRIM_400000_NS6detail30init_device_scan_by_key_kernelINS1_19lookback_scan_stateINS0_5tupleIJlbEEELb0ELb0EEEN6thrust23THRUST_200600_302600_NS16reverse_iteratorIPKlEEjNS1_16block_id_wrapperIjLb0EEEEEvT_jjPNSF_10value_typeET0_PNSt15iterator_traitsISI_E10value_typeEmT1_T2_.num_named_barrier, 0
	.set _ZN7rocprim17ROCPRIM_400000_NS6detail30init_device_scan_by_key_kernelINS1_19lookback_scan_stateINS0_5tupleIJlbEEELb0ELb0EEEN6thrust23THRUST_200600_302600_NS16reverse_iteratorIPKlEEjNS1_16block_id_wrapperIjLb0EEEEEvT_jjPNSF_10value_typeET0_PNSt15iterator_traitsISI_E10value_typeEmT1_T2_.private_seg_size, 0
	.set _ZN7rocprim17ROCPRIM_400000_NS6detail30init_device_scan_by_key_kernelINS1_19lookback_scan_stateINS0_5tupleIJlbEEELb0ELb0EEEN6thrust23THRUST_200600_302600_NS16reverse_iteratorIPKlEEjNS1_16block_id_wrapperIjLb0EEEEEvT_jjPNSF_10value_typeET0_PNSt15iterator_traitsISI_E10value_typeEmT1_T2_.uses_vcc, 1
	.set _ZN7rocprim17ROCPRIM_400000_NS6detail30init_device_scan_by_key_kernelINS1_19lookback_scan_stateINS0_5tupleIJlbEEELb0ELb0EEEN6thrust23THRUST_200600_302600_NS16reverse_iteratorIPKlEEjNS1_16block_id_wrapperIjLb0EEEEEvT_jjPNSF_10value_typeET0_PNSt15iterator_traitsISI_E10value_typeEmT1_T2_.uses_flat_scratch, 0
	.set _ZN7rocprim17ROCPRIM_400000_NS6detail30init_device_scan_by_key_kernelINS1_19lookback_scan_stateINS0_5tupleIJlbEEELb0ELb0EEEN6thrust23THRUST_200600_302600_NS16reverse_iteratorIPKlEEjNS1_16block_id_wrapperIjLb0EEEEEvT_jjPNSF_10value_typeET0_PNSt15iterator_traitsISI_E10value_typeEmT1_T2_.has_dyn_sized_stack, 0
	.set _ZN7rocprim17ROCPRIM_400000_NS6detail30init_device_scan_by_key_kernelINS1_19lookback_scan_stateINS0_5tupleIJlbEEELb0ELb0EEEN6thrust23THRUST_200600_302600_NS16reverse_iteratorIPKlEEjNS1_16block_id_wrapperIjLb0EEEEEvT_jjPNSF_10value_typeET0_PNSt15iterator_traitsISI_E10value_typeEmT1_T2_.has_recursion, 0
	.set _ZN7rocprim17ROCPRIM_400000_NS6detail30init_device_scan_by_key_kernelINS1_19lookback_scan_stateINS0_5tupleIJlbEEELb0ELb0EEEN6thrust23THRUST_200600_302600_NS16reverse_iteratorIPKlEEjNS1_16block_id_wrapperIjLb0EEEEEvT_jjPNSF_10value_typeET0_PNSt15iterator_traitsISI_E10value_typeEmT1_T2_.has_indirect_call, 0
	.section	.AMDGPU.csdata,"",@progbits
; Kernel info:
; codeLenInByte = 672
; TotalNumSgprs: 23
; NumVgprs: 8
; ScratchSize: 0
; MemoryBound: 0
; FloatMode: 240
; IeeeMode: 1
; LDSByteSize: 0 bytes/workgroup (compile time only)
; SGPRBlocks: 0
; VGPRBlocks: 0
; NumSGPRsForWavesPerEU: 23
; NumVGPRsForWavesPerEU: 8
; NamedBarCnt: 0
; Occupancy: 16
; WaveLimiterHint : 0
; COMPUTE_PGM_RSRC2:SCRATCH_EN: 0
; COMPUTE_PGM_RSRC2:USER_SGPR: 2
; COMPUTE_PGM_RSRC2:TRAP_HANDLER: 0
; COMPUTE_PGM_RSRC2:TGID_X_EN: 1
; COMPUTE_PGM_RSRC2:TGID_Y_EN: 0
; COMPUTE_PGM_RSRC2:TGID_Z_EN: 0
; COMPUTE_PGM_RSRC2:TIDIG_COMP_CNT: 0
	.section	.text._ZN7rocprim17ROCPRIM_400000_NS6detail17trampoline_kernelINS0_14default_configENS1_27scan_by_key_config_selectorIllEEZZNS1_16scan_by_key_implILNS1_25lookback_scan_determinismE0ELb0ES3_N6thrust23THRUST_200600_302600_NS16reverse_iteratorIPKlEESD_NSA_IPlEElN6hipcub16HIPCUB_304000_NS3MaxENSH_8EqualityElEE10hipError_tPvRmT2_T3_T4_T5_mT6_T7_P12ihipStream_tbENKUlT_T0_E_clISt17integral_constantIbLb0EES10_EEDaSV_SW_EUlSV_E_NS1_11comp_targetILNS1_3genE0ELNS1_11target_archE4294967295ELNS1_3gpuE0ELNS1_3repE0EEENS1_30default_config_static_selectorELNS0_4arch9wavefront6targetE0EEEvT1_,"axG",@progbits,_ZN7rocprim17ROCPRIM_400000_NS6detail17trampoline_kernelINS0_14default_configENS1_27scan_by_key_config_selectorIllEEZZNS1_16scan_by_key_implILNS1_25lookback_scan_determinismE0ELb0ES3_N6thrust23THRUST_200600_302600_NS16reverse_iteratorIPKlEESD_NSA_IPlEElN6hipcub16HIPCUB_304000_NS3MaxENSH_8EqualityElEE10hipError_tPvRmT2_T3_T4_T5_mT6_T7_P12ihipStream_tbENKUlT_T0_E_clISt17integral_constantIbLb0EES10_EEDaSV_SW_EUlSV_E_NS1_11comp_targetILNS1_3genE0ELNS1_11target_archE4294967295ELNS1_3gpuE0ELNS1_3repE0EEENS1_30default_config_static_selectorELNS0_4arch9wavefront6targetE0EEEvT1_,comdat
	.protected	_ZN7rocprim17ROCPRIM_400000_NS6detail17trampoline_kernelINS0_14default_configENS1_27scan_by_key_config_selectorIllEEZZNS1_16scan_by_key_implILNS1_25lookback_scan_determinismE0ELb0ES3_N6thrust23THRUST_200600_302600_NS16reverse_iteratorIPKlEESD_NSA_IPlEElN6hipcub16HIPCUB_304000_NS3MaxENSH_8EqualityElEE10hipError_tPvRmT2_T3_T4_T5_mT6_T7_P12ihipStream_tbENKUlT_T0_E_clISt17integral_constantIbLb0EES10_EEDaSV_SW_EUlSV_E_NS1_11comp_targetILNS1_3genE0ELNS1_11target_archE4294967295ELNS1_3gpuE0ELNS1_3repE0EEENS1_30default_config_static_selectorELNS0_4arch9wavefront6targetE0EEEvT1_ ; -- Begin function _ZN7rocprim17ROCPRIM_400000_NS6detail17trampoline_kernelINS0_14default_configENS1_27scan_by_key_config_selectorIllEEZZNS1_16scan_by_key_implILNS1_25lookback_scan_determinismE0ELb0ES3_N6thrust23THRUST_200600_302600_NS16reverse_iteratorIPKlEESD_NSA_IPlEElN6hipcub16HIPCUB_304000_NS3MaxENSH_8EqualityElEE10hipError_tPvRmT2_T3_T4_T5_mT6_T7_P12ihipStream_tbENKUlT_T0_E_clISt17integral_constantIbLb0EES10_EEDaSV_SW_EUlSV_E_NS1_11comp_targetILNS1_3genE0ELNS1_11target_archE4294967295ELNS1_3gpuE0ELNS1_3repE0EEENS1_30default_config_static_selectorELNS0_4arch9wavefront6targetE0EEEvT1_
	.globl	_ZN7rocprim17ROCPRIM_400000_NS6detail17trampoline_kernelINS0_14default_configENS1_27scan_by_key_config_selectorIllEEZZNS1_16scan_by_key_implILNS1_25lookback_scan_determinismE0ELb0ES3_N6thrust23THRUST_200600_302600_NS16reverse_iteratorIPKlEESD_NSA_IPlEElN6hipcub16HIPCUB_304000_NS3MaxENSH_8EqualityElEE10hipError_tPvRmT2_T3_T4_T5_mT6_T7_P12ihipStream_tbENKUlT_T0_E_clISt17integral_constantIbLb0EES10_EEDaSV_SW_EUlSV_E_NS1_11comp_targetILNS1_3genE0ELNS1_11target_archE4294967295ELNS1_3gpuE0ELNS1_3repE0EEENS1_30default_config_static_selectorELNS0_4arch9wavefront6targetE0EEEvT1_
	.p2align	8
	.type	_ZN7rocprim17ROCPRIM_400000_NS6detail17trampoline_kernelINS0_14default_configENS1_27scan_by_key_config_selectorIllEEZZNS1_16scan_by_key_implILNS1_25lookback_scan_determinismE0ELb0ES3_N6thrust23THRUST_200600_302600_NS16reverse_iteratorIPKlEESD_NSA_IPlEElN6hipcub16HIPCUB_304000_NS3MaxENSH_8EqualityElEE10hipError_tPvRmT2_T3_T4_T5_mT6_T7_P12ihipStream_tbENKUlT_T0_E_clISt17integral_constantIbLb0EES10_EEDaSV_SW_EUlSV_E_NS1_11comp_targetILNS1_3genE0ELNS1_11target_archE4294967295ELNS1_3gpuE0ELNS1_3repE0EEENS1_30default_config_static_selectorELNS0_4arch9wavefront6targetE0EEEvT1_,@function
_ZN7rocprim17ROCPRIM_400000_NS6detail17trampoline_kernelINS0_14default_configENS1_27scan_by_key_config_selectorIllEEZZNS1_16scan_by_key_implILNS1_25lookback_scan_determinismE0ELb0ES3_N6thrust23THRUST_200600_302600_NS16reverse_iteratorIPKlEESD_NSA_IPlEElN6hipcub16HIPCUB_304000_NS3MaxENSH_8EqualityElEE10hipError_tPvRmT2_T3_T4_T5_mT6_T7_P12ihipStream_tbENKUlT_T0_E_clISt17integral_constantIbLb0EES10_EEDaSV_SW_EUlSV_E_NS1_11comp_targetILNS1_3genE0ELNS1_11target_archE4294967295ELNS1_3gpuE0ELNS1_3repE0EEENS1_30default_config_static_selectorELNS0_4arch9wavefront6targetE0EEEvT1_: ; @_ZN7rocprim17ROCPRIM_400000_NS6detail17trampoline_kernelINS0_14default_configENS1_27scan_by_key_config_selectorIllEEZZNS1_16scan_by_key_implILNS1_25lookback_scan_determinismE0ELb0ES3_N6thrust23THRUST_200600_302600_NS16reverse_iteratorIPKlEESD_NSA_IPlEElN6hipcub16HIPCUB_304000_NS3MaxENSH_8EqualityElEE10hipError_tPvRmT2_T3_T4_T5_mT6_T7_P12ihipStream_tbENKUlT_T0_E_clISt17integral_constantIbLb0EES10_EEDaSV_SW_EUlSV_E_NS1_11comp_targetILNS1_3genE0ELNS1_11target_archE4294967295ELNS1_3gpuE0ELNS1_3repE0EEENS1_30default_config_static_selectorELNS0_4arch9wavefront6targetE0EEEvT1_
; %bb.0:
	s_clause 0x3
	s_load_b256 s[20:27], s[0:1], 0x0
	s_load_b256 s[44:51], s[0:1], 0x60
	s_load_b96 s[28:30], s[0:1], 0x50
	s_load_b256 s[36:43], s[0:1], 0x30
	s_getreg_b32 s4, hwreg(HW_REG_IB_STS2, 6, 4)
	s_mov_b32 s31, 0
	s_delay_alu instid0(SALU_CYCLE_1)
	s_mov_b32 s35, s31
	s_barrier_signal -1
	s_barrier_wait -1
	s_wait_kmcnt 0x0
	s_lshl_b64 s[2:3], s[22:23], 3
	s_cmp_eq_u64 s[48:49], 0
	s_cselect_b32 s43, -1, 0
	s_bfe_u32 s0, ttmp6, 0x4000c
	s_and_b32 s1, ttmp6, 15
	s_add_co_i32 s0, s0, 1
	s_delay_alu instid0(SALU_CYCLE_1) | instskip(NEXT) | instid1(SALU_CYCLE_1)
	s_mul_i32 s0, ttmp9, s0
	s_add_co_i32 s5, s1, s0
	s_cmp_eq_u32 s4, 0
	s_mul_u64 s[0:1], s[28:29], s[30:31]
	s_cselect_b32 s34, ttmp9, s5
	s_add_nc_u64 s[4:5], s[44:45], -1
	s_add_nc_u64 s[16:17], s[0:1], s[34:35]
	s_mul_i32 s30, s34, 0xe00
	v_cmp_ge_u64_e64 s33, s[16:17], s[4:5]
	s_sub_nc_u64 s[0:1], s[20:21], s[2:3]
	s_lshl_b64 s[6:7], s[30:31], 3
	s_sub_nc_u64 s[2:3], s[24:25], s[2:3]
	s_sub_nc_u64 s[18:19], s[0:1], s[6:7]
	;; [unrolled: 1-line block ×3, first 2 shown]
	s_mul_i32 s24, s4, 0xfffff200
	s_and_b32 vcc_lo, exec_lo, s33
	s_add_nc_u64 s[20:21], s[18:19], -8
	s_cbranch_vccz .LBB137_74
; %bb.1:
	v_mov_b32_e32 v7, 0
	s_add_co_i32 s44, s24, s42
	s_delay_alu instid0(SALU_CYCLE_1)
	v_cmp_gt_u32_e32 vcc_lo, s44, v0
	flat_load_b64 v[2:3], v7, s[18:19] offset:-8
	s_wait_loadcnt_dscnt 0x0
	v_mov_b64_e32 v[4:5], v[2:3]
	s_and_saveexec_b32 s0, vcc_lo
	s_cbranch_execz .LBB137_3
; %bb.2:
	v_lshlrev_b32_e32 v6, 3, v0
	s_delay_alu instid0(VALU_DEP_1)
	v_sub_nc_u64_e32 v[4:5], s[18:19], v[6:7]
	flat_load_b64 v[4:5], v[4:5] offset:-8
.LBB137_3:
	s_wait_xcnt 0x0
	s_or_b32 exec_lo, exec_lo, s0
	v_or_b32_e32 v1, 0x100, v0
	v_mov_b64_e32 v[6:7], v[2:3]
	s_delay_alu instid0(VALU_DEP_2)
	v_cmp_gt_u32_e64 s0, s44, v1
	s_and_saveexec_b32 s1, s0
	s_cbranch_execz .LBB137_5
; %bb.4:
	v_dual_mov_b32 v7, 0 :: v_dual_lshlrev_b32 v6, 3, v0
	s_delay_alu instid0(VALU_DEP_1)
	v_sub_nc_u64_e32 v[6:7], s[18:19], v[6:7]
	flat_load_b64 v[6:7], v[6:7] offset:-2056
.LBB137_5:
	s_wait_xcnt 0x0
	s_or_b32 exec_lo, exec_lo, s1
	v_or_b32_e32 v1, 0x200, v0
	v_mov_b64_e32 v[8:9], v[2:3]
	s_delay_alu instid0(VALU_DEP_2)
	v_cmp_gt_u32_e64 s1, s44, v1
	s_and_saveexec_b32 s2, s1
	s_cbranch_execz .LBB137_7
; %bb.6:
	v_dual_mov_b32 v9, 0 :: v_dual_lshlrev_b32 v8, 3, v0
	s_delay_alu instid0(VALU_DEP_1)
	v_sub_nc_u64_e32 v[8:9], s[18:19], v[8:9]
	flat_load_b64 v[8:9], v[8:9] offset:-4104
.LBB137_7:
	;; [unrolled: 14-line block ×12, first 2 shown]
	s_wait_xcnt 0x0
	s_or_b32 exec_lo, exec_lo, s12
	v_or_b32_e32 v1, 0xd00, v0
	s_delay_alu instid0(VALU_DEP_1) | instskip(SKIP_2) | instid1(SALU_CYCLE_1)
	v_cmp_gt_u32_e64 s12, s44, v1
	v_cmp_le_u32_e64 s13, s44, v1
	s_and_saveexec_b32 s25, s13
	s_xor_b32 s13, exec_lo, s25
	s_delay_alu instid0(SALU_CYCLE_1)
	s_and_not1_saveexec_b32 s13, s13
	s_cbranch_execz .LBB137_29
; %bb.28:
	v_dual_mov_b32 v3, 0 :: v_dual_lshlrev_b32 v2, 3, v0
	s_delay_alu instid0(VALU_DEP_1)
	v_sub_nc_u64_e32 v[2:3], s[18:19], v[2:3]
	flat_load_b64 v[2:3], v[2:3] offset:-26632
.LBB137_29:
	s_wait_xcnt 0x0
	s_or_b32 exec_lo, exec_lo, s13
	v_lshlrev_b32_e32 v1, 3, v0
	s_lshl_b64 s[48:49], s[16:17], 3
	s_and_b32 s13, s43, exec_lo
	s_add_nc_u64 s[48:49], s[50:51], s[48:49]
	s_wait_loadcnt_dscnt 0x0
	ds_store_2addr_stride64_b64 v1, v[4:5], v[6:7] offset1:4
	ds_store_2addr_stride64_b64 v1, v[8:9], v[10:11] offset0:8 offset1:12
	ds_store_2addr_stride64_b64 v1, v[12:13], v[14:15] offset0:16 offset1:20
	;; [unrolled: 1-line block ×6, first 2 shown]
	s_add_nc_u64 s[48:49], s[48:49], -8
	v_mov_b32_e32 v2, 0
	s_cselect_b32 s13, s18, s48
	s_cselect_b32 s25, s19, s49
	s_cmp_eq_u64 s[16:17], 0
	s_wait_dscnt 0x0
	s_cselect_b32 s49, s21, s25
	s_cselect_b32 s48, s20, s13
	s_barrier_signal -1
	s_barrier_wait -1
	flat_load_b64 v[8:9], v2, s[48:49]
	v_mad_u32_u24 v100, 0x68, v0, v1
	ds_load_b128 v[50:53], v100 offset:96
	ds_load_b128 v[78:81], v100
	ds_load_b128 v[74:77], v100 offset:16
	ds_load_b128 v[70:73], v100 offset:32
	;; [unrolled: 1-line block ×5, first 2 shown]
	s_wait_xcnt 0x0
	v_mad_i32_i24 v2, 0xffffff98, v0, v100
	s_mov_b32 s25, exec_lo
	s_wait_dscnt 0x6
	ds_store_b64 v2, v[52:53] offset:28672
	s_wait_loadcnt_dscnt 0x0
	s_barrier_signal -1
	s_barrier_wait -1
	v_cmpx_ne_u32_e32 0, v0
; %bb.30:
	v_mul_i32_i24_e32 v2, 0xffffff98, v0
	s_delay_alu instid0(VALU_DEP_1)
	v_add_nc_u32_e32 v2, v100, v2
	ds_load_b64 v[8:9], v2 offset:28664
; %bb.31:
	s_or_b32 exec_lo, exec_lo, s25
	v_lshlrev_b32_e32 v2, 3, v0
	s_wait_dscnt 0x0
	s_barrier_signal -1
	s_barrier_wait -1
                                        ; implicit-def: $vgpr4_vgpr5
	s_and_saveexec_b32 s13, vcc_lo
	s_cbranch_execz .LBB137_130
; %bb.32:
	v_mov_b32_e32 v3, 0
	s_delay_alu instid0(VALU_DEP_1)
	v_sub_nc_u64_e32 v[4:5], s[14:15], v[2:3]
	flat_load_b64 v[4:5], v[4:5] offset:-8
	s_wait_xcnt 0x0
	s_or_b32 exec_lo, exec_lo, s13
                                        ; implicit-def: $vgpr6_vgpr7
	s_and_saveexec_b32 s13, s0
	s_cbranch_execnz .LBB137_131
.LBB137_33:
	s_or_b32 exec_lo, exec_lo, s13
                                        ; implicit-def: $vgpr10_vgpr11
	s_and_saveexec_b32 s0, s1
	s_cbranch_execz .LBB137_132
.LBB137_34:
	v_mov_b32_e32 v3, 0
	s_delay_alu instid0(VALU_DEP_1)
	v_sub_nc_u64_e32 v[10:11], s[14:15], v[2:3]
	flat_load_b64 v[10:11], v[10:11] offset:-4104
	s_wait_xcnt 0x0
	s_or_b32 exec_lo, exec_lo, s0
                                        ; implicit-def: $vgpr12_vgpr13
	s_and_saveexec_b32 s0, s2
	s_cbranch_execnz .LBB137_133
.LBB137_35:
	s_or_b32 exec_lo, exec_lo, s0
                                        ; implicit-def: $vgpr14_vgpr15
	s_and_saveexec_b32 s0, s3
	s_cbranch_execz .LBB137_134
.LBB137_36:
	v_mov_b32_e32 v3, 0
	s_delay_alu instid0(VALU_DEP_1)
	v_sub_nc_u64_e32 v[14:15], s[14:15], v[2:3]
	flat_load_b64 v[14:15], v[14:15] offset:-8200
	s_wait_xcnt 0x0
	s_or_b32 exec_lo, exec_lo, s0
                                        ; implicit-def: $vgpr16_vgpr17
	s_and_saveexec_b32 s0, s4
	s_cbranch_execnz .LBB137_135
.LBB137_37:
	s_or_b32 exec_lo, exec_lo, s0
                                        ; implicit-def: $vgpr18_vgpr19
	s_and_saveexec_b32 s0, s5
	s_cbranch_execz .LBB137_136
.LBB137_38:
	v_mov_b32_e32 v3, 0
	s_delay_alu instid0(VALU_DEP_1)
	v_sub_nc_u64_e32 v[18:19], s[14:15], v[2:3]
	flat_load_b64 v[18:19], v[18:19] offset:-12296
	s_wait_xcnt 0x0
	s_or_b32 exec_lo, exec_lo, s0
                                        ; implicit-def: $vgpr20_vgpr21
	s_and_saveexec_b32 s0, s6
	s_cbranch_execnz .LBB137_137
.LBB137_39:
	s_or_b32 exec_lo, exec_lo, s0
                                        ; implicit-def: $vgpr22_vgpr23
	s_and_saveexec_b32 s0, s7
	s_cbranch_execz .LBB137_138
.LBB137_40:
	v_mov_b32_e32 v3, 0
	s_delay_alu instid0(VALU_DEP_1)
	v_sub_nc_u64_e32 v[22:23], s[14:15], v[2:3]
	flat_load_b64 v[22:23], v[22:23] offset:-16392
	s_wait_xcnt 0x0
	s_or_b32 exec_lo, exec_lo, s0
                                        ; implicit-def: $vgpr24_vgpr25
	s_and_saveexec_b32 s0, s8
	s_cbranch_execnz .LBB137_139
.LBB137_41:
	s_or_b32 exec_lo, exec_lo, s0
                                        ; implicit-def: $vgpr26_vgpr27
	s_and_saveexec_b32 s0, s9
	s_cbranch_execz .LBB137_140
.LBB137_42:
	v_mov_b32_e32 v3, 0
	s_delay_alu instid0(VALU_DEP_1)
	v_sub_nc_u64_e32 v[26:27], s[14:15], v[2:3]
	flat_load_b64 v[26:27], v[26:27] offset:-20488
	s_wait_xcnt 0x0
	s_or_b32 exec_lo, exec_lo, s0
                                        ; implicit-def: $vgpr28_vgpr29
	s_and_saveexec_b32 s0, s10
	s_cbranch_execnz .LBB137_141
.LBB137_43:
	s_or_b32 exec_lo, exec_lo, s0
                                        ; implicit-def: $vgpr30_vgpr31
	s_and_saveexec_b32 s0, s11
	s_cbranch_execz .LBB137_45
.LBB137_44:
	v_mov_b32_e32 v3, 0
	s_delay_alu instid0(VALU_DEP_1)
	v_sub_nc_u64_e32 v[30:31], s[14:15], v[2:3]
	flat_load_b64 v[30:31], v[30:31] offset:-24584
.LBB137_45:
	s_wait_xcnt 0x0
	s_or_b32 exec_lo, exec_lo, s0
	v_mul_u32_u24_e32 v105, 14, v0
                                        ; implicit-def: $vgpr32_vgpr33
	s_and_saveexec_b32 s0, s12
	s_cbranch_execz .LBB137_47
; %bb.46:
	v_mov_b32_e32 v3, 0
	s_delay_alu instid0(VALU_DEP_1)
	v_sub_nc_u64_e32 v[2:3], s[14:15], v[2:3]
	flat_load_b64 v[32:33], v[2:3] offset:-26632
.LBB137_47:
	s_wait_xcnt 0x0
	s_or_b32 exec_lo, exec_lo, s0
	s_wait_loadcnt_dscnt 0x0
	ds_store_2addr_stride64_b64 v1, v[4:5], v[6:7] offset1:4
	ds_store_2addr_stride64_b64 v1, v[10:11], v[12:13] offset0:8 offset1:12
	ds_store_2addr_stride64_b64 v1, v[14:15], v[16:17] offset0:16 offset1:20
	ds_store_2addr_stride64_b64 v1, v[18:19], v[20:21] offset0:24 offset1:28
	ds_store_2addr_stride64_b64 v1, v[22:23], v[24:25] offset0:32 offset1:36
	ds_store_2addr_stride64_b64 v1, v[26:27], v[28:29] offset0:40 offset1:44
	ds_store_2addr_stride64_b64 v1, v[30:31], v[32:33] offset0:48 offset1:52
	v_mov_b64_e32 v[36:37], 0
	v_mov_b64_e32 v[34:35], 0
	;; [unrolled: 1-line block ×24, first 2 shown]
	v_cmp_gt_u32_e32 vcc_lo, s44, v105
	v_dual_mov_b32 v85, 0 :: v_dual_mov_b32 v86, 0
	v_dual_mov_b32 v32, 0 :: v_dual_mov_b32 v33, 0
	;; [unrolled: 1-line block ×12, first 2 shown]
	v_mov_b32_e32 v1, 0
	s_mov_b32 s13, 0
	s_mov_b32 s1, 0
	s_wait_dscnt 0x0
	s_barrier_signal -1
	s_barrier_wait -1
                                        ; implicit-def: $sgpr25
	s_and_saveexec_b32 s35, vcc_lo
	s_cbranch_execz .LBB137_73
; %bb.48:
	ds_load_b64 v[2:3], v100
	v_dual_mov_b32 v85, 0 :: v_dual_bitop2_b32 v1, 1, v105 bitop3:0x54
	v_mov_b64_e32 v[36:37], 0
	v_mov_b64_e32 v[34:35], 0
	;; [unrolled: 1-line block ×23, first 2 shown]
	v_cmp_gt_u32_e64 s0, s44, v1
	v_dual_mov_b32 v86, 0 :: v_dual_mov_b32 v32, 0
	v_dual_mov_b32 v33, 0 :: v_dual_mov_b32 v88, 0
	;; [unrolled: 1-line block ×11, first 2 shown]
	v_cmp_ne_u64_e32 vcc_lo, v[8:9], v[78:79]
                                        ; implicit-def: $sgpr25
	s_and_saveexec_b32 s45, s0
	s_cbranch_execz .LBB137_72
; %bb.49:
	ds_load_2addr_b64 v[6:9], v100 offset0:1 offset1:2
	v_dual_add_nc_u32 v1, 2, v105 :: v_dual_mov_b32 v85, 0
	v_cmp_ne_u64_e64 s0, v[78:79], v[80:81]
	v_mov_b64_e32 v[36:37], 0
	v_mov_b64_e32 v[34:35], 0
	;; [unrolled: 1-line block ×21, first 2 shown]
	v_cmp_gt_u32_e64 s1, s44, v1
	v_dual_mov_b32 v86, 0 :: v_dual_mov_b32 v32, 0
	v_dual_mov_b32 v33, 0 :: v_dual_mov_b32 v88, 0
	;; [unrolled: 1-line block ×10, first 2 shown]
	s_mov_b32 s2, 0
                                        ; implicit-def: $sgpr25
	s_and_saveexec_b32 s48, s1
	s_cbranch_execz .LBB137_71
; %bb.50:
	v_dual_add_nc_u32 v1, 3, v105 :: v_dual_mov_b32 v85, 0
	v_cmp_ne_u64_e64 s1, v[80:81], v[74:75]
	v_mov_b64_e32 v[36:37], 0
	v_mov_b64_e32 v[34:35], 0
	;; [unrolled: 1-line block ×19, first 2 shown]
	v_dual_mov_b32 v86, 0 :: v_dual_mov_b32 v32, 0
	v_cmp_gt_u32_e64 s2, s44, v1
	v_dual_mov_b32 v33, 0 :: v_dual_mov_b32 v88, 0
	v_dual_mov_b32 v91, 0 :: v_dual_mov_b32 v94, 0
	;; [unrolled: 1-line block ×8, first 2 shown]
	s_mov_b32 s3, 0
                                        ; implicit-def: $sgpr25
	s_and_saveexec_b32 s49, s2
	s_cbranch_execz .LBB137_70
; %bb.51:
	ds_load_2addr_b64 v[14:17], v100 offset0:3 offset1:4
	v_dual_add_nc_u32 v1, 4, v105 :: v_dual_mov_b32 v85, 0
	v_cmp_ne_u64_e64 s2, v[74:75], v[76:77]
	v_mov_b64_e32 v[36:37], 0
	v_mov_b64_e32 v[34:35], 0
	;; [unrolled: 1-line block ×17, first 2 shown]
	v_cmp_gt_u32_e64 s3, s44, v1
	v_dual_mov_b32 v86, 0 :: v_dual_mov_b32 v32, 0
	v_dual_mov_b32 v33, 0 :: v_dual_mov_b32 v88, 0
	;; [unrolled: 1-line block ×8, first 2 shown]
	s_mov_b32 s4, 0
                                        ; implicit-def: $sgpr25
	s_and_saveexec_b32 s52, s3
	s_cbranch_execz .LBB137_69
; %bb.52:
	v_dual_add_nc_u32 v1, 5, v105 :: v_dual_mov_b32 v85, 0
	v_cmp_ne_u64_e64 s3, v[76:77], v[70:71]
	v_mov_b64_e32 v[36:37], 0
	v_mov_b64_e32 v[34:35], 0
	;; [unrolled: 1-line block ×15, first 2 shown]
	v_dual_mov_b32 v86, 0 :: v_dual_mov_b32 v32, 0
	v_cmp_gt_u32_e64 s4, s44, v1
	v_dual_mov_b32 v33, 0 :: v_dual_mov_b32 v88, 0
	v_dual_mov_b32 v91, 0 :: v_dual_mov_b32 v94, 0
	;; [unrolled: 1-line block ×6, first 2 shown]
	s_mov_b32 s5, 0
                                        ; implicit-def: $sgpr25
	s_and_saveexec_b32 s53, s4
	s_cbranch_execz .LBB137_68
; %bb.53:
	ds_load_2addr_b64 v[18:21], v100 offset0:5 offset1:6
	v_dual_add_nc_u32 v1, 6, v105 :: v_dual_mov_b32 v85, 0
	v_cmp_ne_u64_e64 s4, v[70:71], v[72:73]
	v_mov_b64_e32 v[36:37], 0
	v_mov_b64_e32 v[34:35], 0
	;; [unrolled: 1-line block ×13, first 2 shown]
	v_cmp_gt_u32_e64 s5, s44, v1
	v_dual_mov_b32 v86, 0 :: v_dual_mov_b32 v32, 0
	v_dual_mov_b32 v33, 0 :: v_dual_mov_b32 v88, 0
	;; [unrolled: 1-line block ×6, first 2 shown]
	s_mov_b32 s6, 0
                                        ; implicit-def: $sgpr25
	s_and_saveexec_b32 s54, s5
	s_cbranch_execz .LBB137_67
; %bb.54:
	v_dual_add_nc_u32 v1, 7, v105 :: v_dual_mov_b32 v85, 0
	v_cmp_ne_u64_e64 s5, v[72:73], v[66:67]
	v_mov_b64_e32 v[36:37], 0
	v_mov_b64_e32 v[34:35], 0
	;; [unrolled: 1-line block ×11, first 2 shown]
	v_dual_mov_b32 v86, 0 :: v_dual_mov_b32 v32, 0
	v_cmp_gt_u32_e64 s6, s44, v1
	v_dual_mov_b32 v33, 0 :: v_dual_mov_b32 v88, 0
	v_dual_mov_b32 v87, 0 :: v_dual_mov_b32 v90, 0
	;; [unrolled: 1-line block ×4, first 2 shown]
	s_mov_b32 s7, 0
                                        ; implicit-def: $sgpr25
	s_and_saveexec_b32 s55, s6
	s_cbranch_execz .LBB137_66
; %bb.55:
	ds_load_2addr_b64 v[26:29], v100 offset0:7 offset1:8
	v_cmp_ne_u64_e64 s6, v[66:67], v[68:69]
	v_mov_b64_e32 v[36:37], 0
	v_mov_b64_e32 v[34:35], 0
	v_mov_b64_e32 v[40:41], 0
	v_mov_b64_e32 v[38:39], 0
	v_mov_b64_e32 v[10:11], 0
	v_mov_b64_e32 v[22:23], 0
	v_mov_b64_e32 v[24:25], 0
	v_mov_b64_e32 v[30:31], 0
	v_mov_b64_e32 v[82:83], 0
	v_dual_add_nc_u32 v1, 8, v105 :: v_dual_mov_b32 v85, 0
	v_dual_mov_b32 v86, 0 :: v_dual_mov_b32 v32, 0
	v_dual_mov_b32 v33, 0 :: v_dual_mov_b32 v87, 0
	;; [unrolled: 1-line block ×4, first 2 shown]
	s_mov_b32 s8, 0
	s_mov_b32 s56, exec_lo
                                        ; implicit-def: $sgpr25
	v_cmpx_gt_u32_e64 s44, v1
	s_cbranch_execz .LBB137_65
; %bb.56:
	v_cmp_ne_u64_e64 s7, v[68:69], v[62:63]
	v_mov_b64_e32 v[36:37], 0
	v_mov_b64_e32 v[34:35], 0
	;; [unrolled: 1-line block ×7, first 2 shown]
	v_dual_add_nc_u32 v1, 9, v105 :: v_dual_mov_b32 v85, 0
	v_dual_mov_b32 v86, 0 :: v_dual_mov_b32 v32, 0
	v_dual_mov_b32 v87, 0 :: v_dual_mov_b32 v90, 0
	;; [unrolled: 1-line block ×3, first 2 shown]
	s_mov_b32 s9, 0
	s_mov_b32 s57, exec_lo
                                        ; implicit-def: $sgpr25
	v_cmpx_gt_u32_e64 s44, v1
	s_cbranch_execz .LBB137_64
; %bb.57:
	ds_load_2addr_b64 v[30:33], v100 offset0:9 offset1:10
	v_cmp_ne_u64_e64 s8, v[62:63], v[64:65]
	v_mov_b64_e32 v[36:37], 0
	v_mov_b64_e32 v[34:35], 0
	;; [unrolled: 1-line block ×5, first 2 shown]
	v_dual_add_nc_u32 v1, 10, v105 :: v_dual_mov_b32 v85, 0
	v_dual_mov_b32 v86, 0 :: v_dual_mov_b32 v87, 0
	v_mov_b32_e32 v89, 0
	s_mov_b32 s10, 0
	s_mov_b32 s58, exec_lo
                                        ; implicit-def: $sgpr25
	v_cmpx_gt_u32_e64 s44, v1
	s_cbranch_execz .LBB137_63
; %bb.58:
	v_cmp_ne_u64_e64 s9, v[64:65], v[54:55]
	v_mov_b64_e32 v[22:23], 0
	v_mov_b64_e32 v[10:11], 0
	v_dual_add_nc_u32 v1, 11, v105 :: v_dual_mov_b32 v85, 0
	v_mov_b32_e32 v87, 0
	s_mov_b32 s11, 0
	s_mov_b32 s59, exec_lo
                                        ; implicit-def: $sgpr25
	s_delay_alu instid0(VALU_DEP_2)
	v_cmpx_gt_u32_e64 s44, v1
	s_cbranch_execz .LBB137_62
; %bb.59:
	ds_load_2addr_b64 v[22:25], v100 offset0:11 offset1:12
	v_cmp_ne_u64_e64 s10, v[54:55], v[56:57]
	v_mov_b64_e32 v[10:11], 0
	v_dual_add_nc_u32 v1, 12, v105 :: v_dual_mov_b32 v87, 0
	s_mov_b32 s12, 0
	s_mov_b32 s60, exec_lo
                                        ; implicit-def: $sgpr25
	s_delay_alu instid0(VALU_DEP_1)
	v_cmpx_gt_u32_e64 s44, v1
	s_xor_b32 s60, exec_lo, s60
	s_cbranch_execz .LBB137_61
; %bb.60:
	ds_load_b64 v[12:13], v100 offset:104
	v_add_nc_u32_e32 v1, 13, v105
	v_cmp_ne_u64_e64 s12, v[56:57], v[50:51]
	v_cmp_ne_u64_e64 s25, v[50:51], v[52:53]
	s_wait_dscnt 0x1
	v_mov_b64_e32 v[10:11], v[24:25]
	v_cmp_gt_u32_e64 s11, s44, v1
	s_delay_alu instid0(VALU_DEP_4)
	v_cndmask_b32_e64 v87, 0, 1, s12
	s_and_b32 s12, s11, exec_lo
.LBB137_61:
	s_or_b32 exec_lo, exec_lo, s60
	v_cndmask_b32_e64 v85, 0, 1, s10
	s_and_b32 s11, s12, exec_lo
.LBB137_62:
	s_or_b32 exec_lo, exec_lo, s59
	v_cndmask_b32_e64 v86, 0, 1, s9
	s_wait_dscnt 0x0
	v_mov_b64_e32 v[36:37], v[22:23]
	v_mov_b64_e32 v[34:35], v[32:33]
	;; [unrolled: 1-line block ×3, first 2 shown]
	s_and_b32 s10, s11, exec_lo
	v_mov_b32_e32 v89, v86
.LBB137_63:
	s_or_b32 exec_lo, exec_lo, s58
	s_wait_dscnt 0x0
	v_cndmask_b32_e64 v32, 0, 1, s8
	v_mov_b64_e32 v[40:41], v[30:31]
	v_mov_b32_e32 v90, v85
	s_and_b32 s9, s10, exec_lo
	s_delay_alu instid0(VALU_DEP_3)
	v_mov_b32_e32 v92, v32
.LBB137_64:
	s_or_b32 exec_lo, exec_lo, s57
	v_cndmask_b32_e64 v33, 0, 1, s7
	s_wait_dscnt 0x0
	v_mov_b64_e32 v[38:39], v[28:29]
	v_mov_b64_e32 v[82:83], v[28:29]
	s_and_b32 s8, s9, exec_lo
	v_mov_b32_e32 v93, v33
.LBB137_65:
	s_or_b32 exec_lo, exec_lo, s56
	v_cndmask_b32_e64 v88, 0, 1, s6
	s_wait_dscnt 0x0
	v_mov_b64_e32 v[44:45], v[26:27]
	s_and_b32 s7, s8, exec_lo
	s_delay_alu instid0(VALU_DEP_2)
	v_mov_b32_e32 v95, v88
.LBB137_66:
	s_or_b32 exec_lo, exec_lo, s55
	v_cndmask_b32_e64 v91, 0, 1, s5
	s_wait_dscnt 0x0
	v_mov_b64_e32 v[42:43], v[20:21]
	v_mov_b64_e32 v[28:29], v[20:21]
	s_and_b32 s6, s7, exec_lo
	v_mov_b32_e32 v97, v91
.LBB137_67:
	s_or_b32 exec_lo, exec_lo, s54
	v_cndmask_b32_e64 v94, 0, 1, s4
	s_wait_dscnt 0x0
	v_mov_b64_e32 v[48:49], v[18:19]
	s_and_b32 s5, s6, exec_lo
	s_delay_alu instid0(VALU_DEP_2)
	v_mov_b32_e32 v99, v94
.LBB137_68:
	s_or_b32 exec_lo, exec_lo, s53
	v_cndmask_b32_e64 v96, 0, 1, s3
	s_wait_dscnt 0x0
	v_mov_b64_e32 v[46:47], v[16:17]
	v_mov_b64_e32 v[20:21], v[16:17]
	s_and_b32 s4, s5, exec_lo
	v_mov_b32_e32 v101, v96
.LBB137_69:
	s_or_b32 exec_lo, exec_lo, s52
	v_cndmask_b32_e64 v98, 0, 1, s2
	s_wait_dscnt 0x0
	v_mov_b64_e32 v[60:61], v[14:15]
	s_and_b32 s3, s4, exec_lo
	s_delay_alu instid0(VALU_DEP_2)
	v_mov_b32_e32 v103, v98
.LBB137_70:
	s_or_b32 exec_lo, exec_lo, s49
	v_cndmask_b32_e64 v102, 0, 1, s1
	s_wait_dscnt 0x0
	v_mov_b64_e32 v[58:59], v[8:9]
	v_mov_b64_e32 v[16:17], v[8:9]
	s_and_b32 s2, s3, exec_lo
	v_mov_b32_e32 v106, v102
.LBB137_71:
	s_or_b32 exec_lo, exec_lo, s48
	v_cndmask_b32_e64 v104, 0, 1, s0
	s_wait_dscnt 0x0
	v_mov_b64_e32 v[4:5], v[6:7]
	s_and_b32 s1, s2, exec_lo
	s_delay_alu instid0(VALU_DEP_2)
	v_mov_b32_e32 v84, v104
.LBB137_72:
	s_or_b32 exec_lo, exec_lo, s45
	v_cndmask_b32_e64 v107, 0, 1, vcc_lo
	s_and_b32 s1, s1, exec_lo
	s_delay_alu instid0(VALU_DEP_1)
	v_mov_b32_e32 v1, v107
.LBB137_73:
	s_or_b32 exec_lo, exec_lo, s35
	v_lshlrev_b32_e32 v62, 3, v0
	v_cmp_ne_u32_e64 s0, 0, v0
	s_and_b32 vcc_lo, exec_lo, s13
	s_cbranch_vccnz .LBB137_75
	s_branch .LBB137_78
.LBB137_74:
	s_mov_b32 s1, s31
                                        ; implicit-def: $sgpr25
                                        ; implicit-def: $vgpr12_vgpr13
                                        ; implicit-def: $vgpr85
                                        ; implicit-def: $vgpr36_vgpr37
                                        ; implicit-def: $vgpr86
                                        ; implicit-def: $vgpr32
                                        ; implicit-def: $vgpr40_vgpr41
                                        ; implicit-def: $vgpr33
                                        ; implicit-def: $vgpr88
                                        ; implicit-def: $vgpr44_vgpr45
                                        ; implicit-def: $vgpr91
                                        ; implicit-def: $vgpr94
                                        ; implicit-def: $vgpr48_vgpr49
                                        ; implicit-def: $vgpr96
                                        ; implicit-def: $vgpr98
                                        ; implicit-def: $vgpr60_vgpr61
                                        ; implicit-def: $vgpr102
                                        ; implicit-def: $vgpr104
                                        ; implicit-def: $vgpr107
                                        ; implicit-def: $vgpr87
                                        ; implicit-def: $vgpr90
                                        ; implicit-def: $vgpr89
                                        ; implicit-def: $vgpr24_vgpr25
                                        ; implicit-def: $vgpr92
                                        ; implicit-def: $vgpr93
                                        ; implicit-def: $vgpr82_vgpr83
                                        ; implicit-def: $vgpr95
                                        ; implicit-def: $vgpr97
                                        ; implicit-def: $vgpr28_vgpr29
                                        ; implicit-def: $vgpr99
                                        ; implicit-def: $vgpr101
                                        ; implicit-def: $vgpr20_vgpr21
                                        ; implicit-def: $vgpr103
                                        ; implicit-def: $vgpr106
                                        ; implicit-def: $vgpr16_vgpr17
                                        ; implicit-def: $vgpr84
                                        ; implicit-def: $vgpr1
                                        ; implicit-def: $vgpr4_vgpr5
                                        ; implicit-def: $vgpr22_vgpr23
                                        ; implicit-def: $vgpr30_vgpr31
                                        ; implicit-def: $vgpr26_vgpr27
                                        ; implicit-def: $vgpr18_vgpr19
                                        ; implicit-def: $vgpr14_vgpr15
                                        ; implicit-def: $vgpr6_vgpr7
	v_lshlrev_b32_e32 v62, 3, v0
	v_cmp_ne_u32_e64 s0, 0, v0
	s_cbranch_execz .LBB137_78
.LBB137_75:
	v_mov_b32_e32 v1, 0
	s_lshl_b64 s[2:3], s[16:17], 3
	s_and_b32 s1, s43, exec_lo
	s_add_nc_u64 s[2:3], s[50:51], s[2:3]
	v_mad_u32_u24 v50, 0x68, v0, v62
	v_mov_b32_e32 v63, v1
	s_add_nc_u64 s[2:3], s[2:3], -8
	v_sub_nc_u64_e32 v[32:33], 0, v[0:1]
	s_cselect_b32 s1, s18, s2
	s_cselect_b32 s2, s19, s3
	s_wait_dscnt 0x0
	v_sub_nc_u64_e32 v[2:3], s[18:19], v[62:63]
	s_cmp_eq_u64 s[16:17], 0
	v_mad_i32_i24 v34, 0xffffff98, v0, v50
	s_cselect_b32 s3, s21, s2
	s_cselect_b32 s2, s20, s1
	s_clause 0xd
	flat_load_b64 v[4:5], v[2:3] offset:-8
	flat_load_b64 v[6:7], v[2:3] offset:-2056
	;; [unrolled: 1-line block ×14, first 2 shown]
	s_wait_loadcnt_dscnt 0xc0c
	ds_store_2addr_stride64_b64 v62, v[4:5], v[6:7] offset1:4
	s_wait_loadcnt_dscnt 0xa0b
	ds_store_2addr_stride64_b64 v62, v[8:9], v[10:11] offset0:8 offset1:12
	s_wait_loadcnt_dscnt 0x80a
	ds_store_2addr_stride64_b64 v62, v[12:13], v[14:15] offset0:16 offset1:20
	;; [unrolled: 2-line block ×6, first 2 shown]
	s_wait_dscnt 0x0
	s_barrier_signal -1
	s_barrier_wait -1
	flat_load_b64 v[30:31], v1, s[2:3]
	ds_load_b128 v[22:25], v50 offset:96
	ds_load_b128 v[2:5], v50
	ds_load_b128 v[6:9], v50 offset:16
	ds_load_b128 v[10:13], v50 offset:32
	;; [unrolled: 1-line block ×5, first 2 shown]
	s_wait_dscnt 0x6
	ds_store_b64 v34, v[24:25] offset:28672
	s_wait_loadcnt_dscnt 0x0
	s_barrier_signal -1
	s_barrier_wait -1
	s_and_saveexec_b32 s1, s0
; %bb.76:
	v_mul_i32_i24_e32 v1, 0xffffff98, v0
	s_delay_alu instid0(VALU_DEP_1)
	v_add_nc_u32_e32 v1, v50, v1
	ds_load_b64 v[30:31], v1 offset:28664
; %bb.77:
	s_or_b32 exec_lo, exec_lo, s1
	v_lshl_add_u64 v[32:33], v[32:33], 3, s[14:15]
	s_wait_dscnt 0x0
	s_barrier_signal -1
	s_barrier_wait -1
	s_clause 0xd
	flat_load_b64 v[34:35], v[32:33] offset:-8
	flat_load_b64 v[36:37], v[32:33] offset:-2056
	;; [unrolled: 1-line block ×14, first 2 shown]
	v_cmp_ne_u64_e32 vcc_lo, v[28:29], v[22:23]
	v_cmp_ne_u64_e64 s25, v[22:23], v[24:25]
	s_mov_b32 s1, -1
	s_wait_loadcnt_dscnt 0xc0c
	ds_store_2addr_stride64_b64 v62, v[34:35], v[36:37] offset1:4
	s_wait_loadcnt_dscnt 0xa0b
	ds_store_2addr_stride64_b64 v62, v[38:39], v[40:41] offset0:8 offset1:12
	s_wait_loadcnt_dscnt 0x80a
	ds_store_2addr_stride64_b64 v62, v[42:43], v[44:45] offset0:16 offset1:20
	;; [unrolled: 2-line block ×6, first 2 shown]
	v_cndmask_b32_e64 v87, 0, 1, vcc_lo
	v_cmp_ne_u64_e32 vcc_lo, v[26:27], v[28:29]
	s_wait_dscnt 0x0
	s_barrier_signal -1
	s_barrier_wait -1
	ds_load_b128 v[38:41], v50 offset:64
	ds_load_b128 v[34:37], v50 offset:80
	;; [unrolled: 1-line block ×4, first 2 shown]
	v_cndmask_b32_e64 v85, 0, 1, vcc_lo
	v_cmp_ne_u64_e32 vcc_lo, v[20:21], v[26:27]
	v_cndmask_b32_e64 v86, 0, 1, vcc_lo
	v_cmp_ne_u64_e32 vcc_lo, v[18:19], v[20:21]
	s_delay_alu instid0(VALU_DEP_2)
	v_dual_mov_b32 v90, v85 :: v_dual_mov_b32 v89, v86
	v_cndmask_b32_e64 v32, 0, 1, vcc_lo
	v_cmp_ne_u64_e32 vcc_lo, v[16:17], v[18:19]
	s_wait_dscnt 0x2
	v_mov_b64_e32 v[22:23], v[36:37]
	v_mov_b64_e32 v[24:25], v[34:35]
	;; [unrolled: 1-line block ×3, first 2 shown]
	s_wait_dscnt 0x0
	v_mov_b64_e32 v[26:27], v[44:45]
	v_mov_b64_e32 v[28:29], v[42:43]
	;; [unrolled: 1-line block ×3, first 2 shown]
	v_cndmask_b32_e64 v33, 0, 1, vcc_lo
	v_cmp_ne_u64_e32 vcc_lo, v[14:15], v[16:17]
	v_mov_b64_e32 v[18:19], v[48:49]
	s_delay_alu instid0(VALU_DEP_3) | instskip(SKIP_4) | instid1(VALU_DEP_2)
	v_dual_mov_b32 v92, v32 :: v_dual_mov_b32 v93, v33
	v_cndmask_b32_e64 v88, 0, 1, vcc_lo
	v_cmp_ne_u64_e32 vcc_lo, v[12:13], v[14:15]
	v_cndmask_b32_e64 v91, 0, 1, vcc_lo
	v_cmp_ne_u64_e32 vcc_lo, v[10:11], v[12:13]
	v_dual_mov_b32 v95, v88 :: v_dual_mov_b32 v97, v91
	v_cndmask_b32_e64 v94, 0, 1, vcc_lo
	v_cmp_ne_u64_e32 vcc_lo, v[8:9], v[10:11]
	v_cndmask_b32_e64 v96, 0, 1, vcc_lo
	v_cmp_ne_u64_e32 vcc_lo, v[6:7], v[8:9]
	s_delay_alu instid0(VALU_DEP_2) | instskip(SKIP_4) | instid1(VALU_DEP_2)
	v_dual_mov_b32 v99, v94 :: v_dual_mov_b32 v101, v96
	v_cndmask_b32_e64 v98, 0, 1, vcc_lo
	v_cmp_ne_u64_e32 vcc_lo, v[4:5], v[6:7]
	v_cndmask_b32_e64 v102, 0, 1, vcc_lo
	v_cmp_ne_u64_e32 vcc_lo, v[2:3], v[4:5]
	v_dual_mov_b32 v103, v98 :: v_dual_mov_b32 v106, v102
	v_cndmask_b32_e64 v104, 0, 1, vcc_lo
	v_cmp_ne_u64_e32 vcc_lo, v[30:31], v[2:3]
	ds_load_b128 v[2:5], v50
	ds_load_b128 v[58:61], v50 offset:16
	ds_load_b128 v[10:13], v50 offset:96
	v_mov_b64_e32 v[30:31], v[40:41]
	v_cndmask_b32_e64 v107, 0, 1, vcc_lo
	s_delay_alu instid0(VALU_DEP_1)
	v_dual_mov_b32 v84, v104 :: v_dual_mov_b32 v1, v107
	s_wait_dscnt 0x2
	v_mov_b64_e32 v[6:7], v[4:5]
	s_wait_dscnt 0x1
	v_mov_b64_e32 v[16:17], v[58:59]
	v_mov_b64_e32 v[14:15], v[60:61]
.LBB137_78:
	v_mov_b64_e32 v[8:9], 0
	v_mov_b32_e32 v63, 0
	s_and_saveexec_b32 s0, s1
	s_cbranch_execz .LBB137_80
; %bb.79:
	v_mov_b64_e32 v[6:7], v[4:5]
	v_mov_b64_e32 v[16:17], v[58:59]
	v_mov_b64_e32 v[14:15], v[60:61]
	v_mov_b64_e32 v[20:21], v[46:47]
	v_mov_b64_e32 v[18:19], v[48:49]
	v_mov_b64_e32 v[28:29], v[42:43]
	v_mov_b64_e32 v[26:27], v[44:45]
	v_mov_b64_e32 v[82:83], v[38:39]
	v_mov_b64_e32 v[30:31], v[40:41]
	v_mov_b64_e32 v[24:25], v[34:35]
	v_mov_b64_e32 v[22:23], v[36:37]
	s_wait_dscnt 0x0
	v_mov_b64_e32 v[8:9], v[12:13]
	v_cndmask_b32_e64 v63, 0, 1, s25
	v_dual_mov_b32 v1, v107 :: v_dual_mov_b32 v84, v104
	v_dual_mov_b32 v106, v102 :: v_dual_mov_b32 v103, v98
	;; [unrolled: 1-line block ×6, first 2 shown]
.LBB137_80:
	s_or_b32 exec_lo, exec_lo, s0
	v_dual_lshrrev_b32 v66, 1, v0 :: v_dual_bitop2_b32 v65, 1, v106 bitop3:0x40
	v_and_b32_e32 v64, 1, v99
	v_and_b32_e32 v61, 1, v93
	;; [unrolled: 1-line block ×5, first 2 shown]
	v_cmp_eq_u32_e64 s13, 1, v65
	v_and_b32_e32 v80, 0xff, v103
	v_and_b32_e32 v79, 0xff, v101
	v_bitop3_b16 v67, v101, 0xff, v103 bitop3:0xc8
	v_and_b32_e32 v78, 0xff, v99
	v_cmp_eq_u32_e64 s14, 1, v64
	v_and_b32_e32 v77, 0xff, v97
	v_and_b32_e32 v76, 0xff, v95
	v_bitop3_b16 v68, v95, 0xff, v97 bitop3:0xc8
	v_and_b32_e32 v75, 0xff, v93
	;; [unrolled: 5-line block ×3, first 2 shown]
	v_cmp_eq_u32_e64 s16, 1, v60
	v_and_b32_e32 v71, 0xff, v87
	v_cmp_eq_u16_e64 s0, 0, v63
	v_bitop3_b16 v69, v63, 0xff, v87 bitop3:0xc8
	s_cmp_lg_u32 s34, 0
	s_wait_dscnt 0x0
	v_cmp_gt_u32_e32 vcc_lo, 32, v0
	s_barrier_signal -1
	s_barrier_wait -1
	s_cbranch_scc0 .LBB137_142
; %bb.81:
	v_max_i64 v[4:5], v[6:7], v[2:3]
	v_cmp_eq_u16_e64 s1, 0, v85
	v_cmp_eq_u16_e64 s2, 0, v81
	;; [unrolled: 1-line block ×12, first 2 shown]
	v_cmp_ne_u16_e64 s19, 0, v70
	v_bitop3_b16 v12, v84, 0xff, v1 bitop3:0xc8
	v_cmp_ne_u16_e64 s18, 0, v68
	v_cmp_ne_u16_e64 s20, 0, v69
	;; [unrolled: 1-line block ×3, first 2 shown]
	s_or_b32 s16, s19, s16
	v_cmp_ne_u16_e64 s21, 0, v12
	s_or_b32 s15, s18, s15
	s_or_b32 s16, s20, s16
	s_or_b32 s14, s17, s14
	s_or_b32 s15, s16, s15
	v_and_b32_e32 v13, 0x70, v66
	s_or_b32 s13, s21, s13
	s_or_b32 s14, s15, s14
	s_delay_alu instid0(SALU_CYCLE_1) | instskip(NEXT) | instid1(VALU_DEP_1)
	s_or_b32 s18, s14, s13
	v_lshl_add_u32 v12, v0, 4, v13
	v_cndmask_b32_e64 v37, 0, 1, s18
	v_dual_cndmask_b32 v5, v7, v5, s1 :: v_dual_cndmask_b32 v4, v6, v4, s1
	s_delay_alu instid0(VALU_DEP_1) | instskip(NEXT) | instid1(VALU_DEP_1)
	v_max_i64 v[4:5], v[16:17], v[4:5]
	v_dual_cndmask_b32 v5, v17, v5, s2 :: v_dual_cndmask_b32 v4, v16, v4, s2
	s_delay_alu instid0(VALU_DEP_1) | instskip(NEXT) | instid1(VALU_DEP_1)
	v_max_i64 v[4:5], v[14:15], v[4:5]
	;; [unrolled: 3-line block ×12, first 2 shown]
	v_dual_cndmask_b32 v5, v9, v5, s0 :: v_dual_cndmask_b32 v4, v8, v4, s0
	ds_store_b64 v12, v[4:5]
	ds_store_b8 v12, v37 offset:8
	s_wait_dscnt 0x0
	s_barrier_signal -1
	s_barrier_wait -1
	s_and_saveexec_b32 s16, vcc_lo
	s_cbranch_execz .LBB137_93
; %bb.82:
	v_dual_lshlrev_b32 v12, 2, v0 :: v_dual_lshlrev_b32 v13, 7, v0
	s_mov_b32 s15, exec_lo
	s_delay_alu instid0(VALU_DEP_1) | instskip(NEXT) | instid1(VALU_DEP_1)
	v_and_b32_e32 v12, 0x3f0, v12
	v_add_nc_u32_e32 v36, v12, v13
	ds_load_2addr_b64 v[32:35], v36 offset0:2 offset1:4
	ds_load_b64 v[12:13], v36
	ds_load_b32 v38, v36 offset:8
	ds_load_u8 v39, v36 offset:24
	ds_load_u8 v46, v36 offset:40
	;; [unrolled: 1-line block ×6, first 2 shown]
	s_wait_dscnt 0x7
	v_max_i64 v[40:41], v[32:33], v[12:13]
	s_wait_dscnt 0x5
	v_cmp_eq_u16_e64 s13, 0, v39
	s_delay_alu instid0(VALU_DEP_1) | instskip(SKIP_2) | instid1(VALU_DEP_2)
	v_dual_cndmask_b32 v33, v33, v41, s13 :: v_dual_cndmask_b32 v32, v32, v40, s13
	s_wait_dscnt 0x4
	v_cmp_eq_u16_e64 s13, 0, v46
	v_max_i64 v[32:33], v[34:35], v[32:33]
	s_delay_alu instid0(VALU_DEP_1)
	v_cndmask_b32_e64 v32, v34, v32, s13
	ds_load_2addr_b64 v[40:43], v36 offset0:6 offset1:8
	v_cndmask_b32_e64 v33, v35, v33, s13
	s_wait_dscnt 0x4
	v_cmp_eq_u16_e64 s13, 0, v47
	s_wait_dscnt 0x0
	s_delay_alu instid0(VALU_DEP_2) | instskip(NEXT) | instid1(VALU_DEP_1)
	v_max_i64 v[32:33], v[40:41], v[32:33]
	v_dual_cndmask_b32 v33, v41, v33, s13 :: v_dual_cndmask_b32 v32, v40, v32, s13
	v_cmp_eq_u16_e64 s13, 0, v48
	s_delay_alu instid0(VALU_DEP_2) | instskip(SKIP_4) | instid1(VALU_DEP_2)
	v_max_i64 v[40:41], v[42:43], v[32:33]
	ds_load_2addr_b64 v[32:35], v36 offset0:10 offset1:12
	v_dual_cndmask_b32 v41, v43, v41, s13 :: v_dual_cndmask_b32 v40, v42, v40, s13
	v_cmp_eq_u16_e64 s13, 0, v49
	s_wait_dscnt 0x0
	v_max_i64 v[40:41], v[32:33], v[40:41]
	s_delay_alu instid0(VALU_DEP_1) | instskip(SKIP_4) | instid1(VALU_DEP_1)
	v_dual_cndmask_b32 v33, v33, v41, s13 :: v_dual_cndmask_b32 v32, v32, v40, s13
	ds_load_b64 v[44:45], v36 offset:112
	ds_load_u8 v40, v36 offset:120
	v_cmp_eq_u16_e64 s13, 0, v50
	v_max_i64 v[32:33], v[34:35], v[32:33]
	v_dual_cndmask_b32 v33, v35, v33, s13 :: v_dual_cndmask_b32 v32, v34, v32, s13
	v_bitop3_b16 v34, v46, v47, v39 bitop3:0xfe
	v_bitop3_b16 v35, v49, v50, v48 bitop3:0xfe
	v_and_b32_e32 v39, 0xffffff00, v38
	s_wait_dscnt 0x0
	s_delay_alu instid0(VALU_DEP_2) | instskip(SKIP_2) | instid1(VALU_DEP_3)
	v_bitop3_b16 v34, v40, v34, v35 bitop3:0xfe
	v_and_b32_e32 v35, 1, v38
	v_max_i64 v[32:33], v[44:45], v[32:33]
	v_and_b32_e32 v34, 1, v34
	s_delay_alu instid0(VALU_DEP_3) | instskip(NEXT) | instid1(VALU_DEP_2)
	v_cmp_eq_u32_e64 s13, 1, v35
	v_cmp_eq_u32_e64 s14, 1, v34
	s_or_b32 s13, s14, s13
	v_cmp_eq_u16_e64 s14, 0, v40
	v_cndmask_b32_e64 v34, 0, 1, s13
	v_mbcnt_lo_u32_b32 v40, -1, 0
	v_cndmask_b32_e64 v41, 0, 1, s13
	s_delay_alu instid0(VALU_DEP_3) | instskip(NEXT) | instid1(VALU_DEP_3)
	v_or_b32_e32 v43, v39, v34
	v_dual_cndmask_b32 v33, v45, v33, s14 :: v_dual_bitop2_b32 v42, 15, v40 bitop3:0x40
	v_cndmask_b32_e64 v32, v44, v32, s14
	s_delay_alu instid0(VALU_DEP_3) | instskip(NEXT) | instid1(VALU_DEP_3)
	v_mov_b32_dpp v44, v43 row_shr:1 row_mask:0xf bank_mask:0xf
	v_mov_b32_dpp v35, v33 row_shr:1 row_mask:0xf bank_mask:0xf
	s_delay_alu instid0(VALU_DEP_3)
	v_mov_b32_dpp v34, v32 row_shr:1 row_mask:0xf bank_mask:0xf
	v_cmpx_ne_u32_e32 0, v42
	s_cbranch_execz .LBB137_84
; %bb.83:
	s_delay_alu instid0(VALU_DEP_2) | instskip(SKIP_1) | instid1(VALU_DEP_1)
	v_max_i64 v[34:35], v[32:33], v[34:35]
	v_bitop3_b16 v41, v44, v41, 1 bitop3:0xec
	v_and_b32_e32 v43, 0xffff, v41
	s_delay_alu instid0(VALU_DEP_1) | instskip(NEXT) | instid1(VALU_DEP_4)
	v_or_b32_e32 v43, v39, v43
	v_dual_cndmask_b32 v33, v35, v33, s13 :: v_dual_cndmask_b32 v32, v34, v32, s13
.LBB137_84:
	s_or_b32 exec_lo, exec_lo, s15
	s_delay_alu instid0(VALU_DEP_1) | instskip(NEXT) | instid1(VALU_DEP_2)
	v_mov_b32_dpp v34, v32 row_shr:2 row_mask:0xf bank_mask:0xf
	v_mov_b32_dpp v35, v33 row_shr:2 row_mask:0xf bank_mask:0xf
	;; [unrolled: 1-line block ×3, first 2 shown]
	s_mov_b32 s17, exec_lo
	v_cmpx_lt_u32_e32 1, v42
	s_cbranch_execz .LBB137_86
; %bb.85:
	v_max_i64 v[34:35], v[32:33], v[34:35]
	v_cmp_eq_u16_e64 s15, 0, v41
	v_and_b32_e32 v43, 1, v41
	s_delay_alu instid0(VALU_DEP_2) | instskip(NEXT) | instid1(VALU_DEP_1)
	v_dual_cndmask_b32 v32, v32, v34, s15 :: v_dual_bitop2_b32 v44, 1, v44 bitop3:0x40
	v_cmp_eq_u32_e64 s14, 1, v44
	v_cndmask_b32_e64 v33, v33, v35, s15
	s_delay_alu instid0(VALU_DEP_4) | instskip(SKIP_1) | instid1(SALU_CYCLE_1)
	v_cmp_eq_u32_e64 s13, 1, v43
	s_or_b32 s13, s13, s14
	v_cndmask_b32_e64 v43, 0, 1, s13
	v_cndmask_b32_e64 v41, 0, 1, s13
	s_delay_alu instid0(VALU_DEP_2)
	v_or_b32_e32 v43, v39, v43
.LBB137_86:
	s_or_b32 exec_lo, exec_lo, s17
	v_mov_b32_dpp v34, v32 row_shr:4 row_mask:0xf bank_mask:0xf
	v_mov_b32_dpp v35, v33 row_shr:4 row_mask:0xf bank_mask:0xf
	s_delay_alu instid0(VALU_DEP_3)
	v_mov_b32_dpp v44, v43 row_shr:4 row_mask:0xf bank_mask:0xf
	s_mov_b32 s17, exec_lo
	v_cmpx_lt_u32_e32 3, v42
	s_cbranch_execz .LBB137_88
; %bb.87:
	v_max_i64 v[34:35], v[32:33], v[34:35]
	v_cmp_eq_u16_e64 s15, 0, v41
	v_and_b32_e32 v43, 1, v41
	s_delay_alu instid0(VALU_DEP_2) | instskip(NEXT) | instid1(VALU_DEP_1)
	v_dual_cndmask_b32 v32, v32, v34, s15 :: v_dual_bitop2_b32 v44, 1, v44 bitop3:0x40
	v_cmp_eq_u32_e64 s14, 1, v44
	v_cndmask_b32_e64 v33, v33, v35, s15
	s_delay_alu instid0(VALU_DEP_4) | instskip(SKIP_1) | instid1(SALU_CYCLE_1)
	v_cmp_eq_u32_e64 s13, 1, v43
	s_or_b32 s13, s13, s14
	v_cndmask_b32_e64 v43, 0, 1, s13
	v_cndmask_b32_e64 v41, 0, 1, s13
	s_delay_alu instid0(VALU_DEP_2)
	v_or_b32_e32 v43, v39, v43
.LBB137_88:
	s_or_b32 exec_lo, exec_lo, s17
	v_mov_b32_dpp v34, v32 row_shr:8 row_mask:0xf bank_mask:0xf
	v_mov_b32_dpp v35, v33 row_shr:8 row_mask:0xf bank_mask:0xf
	s_delay_alu instid0(VALU_DEP_3)
	v_mov_b32_dpp v44, v43 row_shr:8 row_mask:0xf bank_mask:0xf
	s_mov_b32 s17, exec_lo
	v_cmpx_lt_u32_e32 7, v42
	s_cbranch_execz .LBB137_90
; %bb.89:
	v_max_i64 v[34:35], v[32:33], v[34:35]
	v_cmp_eq_u16_e64 s15, 0, v41
	v_and_b32_e32 v42, 1, v41
	s_delay_alu instid0(VALU_DEP_2) | instskip(NEXT) | instid1(VALU_DEP_1)
	v_dual_cndmask_b32 v32, v32, v34, s15 :: v_dual_bitop2_b32 v43, 1, v44 bitop3:0x40
	v_cmp_eq_u32_e64 s14, 1, v43
	v_cndmask_b32_e64 v33, v33, v35, s15
	s_delay_alu instid0(VALU_DEP_4) | instskip(SKIP_1) | instid1(SALU_CYCLE_1)
	v_cmp_eq_u32_e64 s13, 1, v42
	s_or_b32 s13, s13, s14
	v_cndmask_b32_e64 v42, 0, 1, s13
	v_cndmask_b32_e64 v41, 0, 1, s13
	s_delay_alu instid0(VALU_DEP_2)
	v_or_b32_e32 v43, v39, v42
.LBB137_90:
	s_or_b32 exec_lo, exec_lo, s17
	ds_swizzle_b32 v34, v32 offset:swizzle(BROADCAST,32,15)
	ds_swizzle_b32 v35, v33 offset:swizzle(BROADCAST,32,15)
	;; [unrolled: 1-line block ×3, first 2 shown]
	v_and_b32_e32 v43, 16, v40
	s_mov_b32 s17, exec_lo
	s_delay_alu instid0(VALU_DEP_1)
	v_cmpx_ne_u32_e32 0, v43
	s_cbranch_execz .LBB137_92
; %bb.91:
	s_wait_dscnt 0x1
	v_max_i64 v[34:35], v[32:33], v[34:35]
	v_cmp_eq_u16_e64 s13, 0, v41
	v_and_b32_e32 v43, 1, v41
	s_wait_dscnt 0x0
	s_delay_alu instid0(VALU_DEP_2) | instskip(NEXT) | instid1(VALU_DEP_1)
	v_dual_cndmask_b32 v33, v33, v35, s13 :: v_dual_bitop2_b32 v42, 1, v42 bitop3:0x40
	v_cmp_eq_u32_e64 s15, 1, v42
	v_cndmask_b32_e64 v32, v32, v34, s13
	v_cmp_eq_u32_e64 s14, 1, v43
	s_or_b32 s13, s14, s15
	s_delay_alu instid0(SALU_CYCLE_1)
	v_cndmask_b32_e64 v41, 0, 1, s13
.LBB137_92:
	s_or_b32 exec_lo, exec_lo, s17
	s_wait_dscnt 0x1
	s_delay_alu instid0(VALU_DEP_1) | instskip(SKIP_1) | instid1(VALU_DEP_2)
	v_and_b32_e32 v35, 0xffff, v41
	v_add_nc_u32_e32 v34, -1, v40
	; wave barrier
	v_or_b32_e32 v35, v39, v35
	s_delay_alu instid0(VALU_DEP_2) | instskip(NEXT) | instid1(VALU_DEP_1)
	v_cmp_gt_i32_e64 s13, 0, v34
	v_cndmask_b32_e64 v34, v34, v40, s13
	s_delay_alu instid0(VALU_DEP_1) | instskip(SKIP_4) | instid1(VALU_DEP_1)
	v_lshlrev_b32_e32 v34, 2, v34
	ds_bpermute_b32 v32, v34, v32
	ds_bpermute_b32 v33, v34, v33
	;; [unrolled: 1-line block ×3, first 2 shown]
	v_and_b32_e32 v35, 0xff, v38
	v_cmp_eq_u32_e64 s13, 0, v35
	s_wait_dscnt 0x1
	v_max_i64 v[32:33], v[12:13], v[32:33]
	s_delay_alu instid0(VALU_DEP_1) | instskip(SKIP_2) | instid1(VALU_DEP_1)
	v_dual_cndmask_b32 v12, v12, v32, s13 :: v_dual_cndmask_b32 v13, v13, v33, s13
	v_cmp_eq_u32_e64 s13, 0, v0
	s_wait_dscnt 0x0
	v_dual_cndmask_b32 v13, v13, v5, s13 :: v_dual_bitop2_b32 v34, v34, v38 bitop3:0x54
	s_delay_alu instid0(VALU_DEP_1) | instskip(NEXT) | instid1(VALU_DEP_1)
	v_dual_cndmask_b32 v12, v12, v4, s13 :: v_dual_bitop2_b32 v34, 1, v34 bitop3:0x40
	v_cndmask_b32_e64 v37, v34, v37, s13
	ds_store_b64 v36, v[12:13]
	ds_store_b8 v36, v37 offset:8
	; wave barrier
	ds_load_2addr_b64 v[32:35], v36 offset0:2 offset1:4
	ds_load_u8 v48, v36 offset:24
	ds_load_u8 v49, v36 offset:40
	;; [unrolled: 1-line block ×6, first 2 shown]
	ds_load_b64 v[42:43], v36 offset:112
	ds_load_u8 v54, v36 offset:120
	s_wait_dscnt 0x7
	v_and_b32_e32 v38, 0xff, v48
	s_wait_dscnt 0x6
	v_and_b32_e32 v44, 0xff, v49
	;; [unrolled: 2-line block ×3, first 2 shown]
	v_cmp_eq_u16_e64 s13, 0, v38
	v_max_i64 v[12:13], v[32:33], v[12:13]
	ds_load_2addr_b64 v[38:41], v36 offset0:6 offset1:8
	v_dual_cndmask_b32 v13, v33, v13, s13 :: v_dual_cndmask_b32 v12, v32, v12, s13
	v_cmp_eq_u16_e64 s13, 0, v44
	v_bitop3_b16 v56, v49, v48, v37 bitop3:0xfe
	s_delay_alu instid0(VALU_DEP_3) | instskip(NEXT) | instid1(VALU_DEP_2)
	v_max_i64 v[32:33], v[34:35], v[12:13]
	v_bitop3_b16 v58, v51, v50, v56 bitop3:0xfe
	s_delay_alu instid0(VALU_DEP_2) | instskip(SKIP_2) | instid1(VALU_DEP_2)
	v_dual_cndmask_b32 v45, v35, v33, s13 :: v_dual_cndmask_b32 v44, v34, v32, s13
	v_and_b32_e32 v34, 0xff, v50
	s_wait_dscnt 0x0
	v_max_i64 v[32:33], v[38:39], v[44:45]
	s_delay_alu instid0(VALU_DEP_2) | instskip(NEXT) | instid1(VALU_DEP_1)
	v_cmp_eq_u16_e64 s13, 0, v34
	v_dual_cndmask_b32 v39, v39, v33, s13 :: v_dual_cndmask_b32 v38, v38, v32, s13
	ds_load_2addr_b64 v[32:35], v36 offset0:10 offset1:12
	v_cmp_eq_u16_e64 s13, 0, v55
	v_and_b32_e32 v55, 0xff, v52
	v_max_i64 v[46:47], v[40:41], v[38:39]
	s_delay_alu instid0(VALU_DEP_1) | instskip(NEXT) | instid1(VALU_DEP_3)
	v_dual_cndmask_b32 v41, v41, v47, s13 :: v_dual_cndmask_b32 v40, v40, v46, s13
	v_cmp_eq_u16_e64 s13, 0, v55
	v_and_b32_e32 v55, 0xff, v53
	s_wait_dscnt 0x0
	s_delay_alu instid0(VALU_DEP_3) | instskip(NEXT) | instid1(VALU_DEP_1)
	v_max_i64 v[46:47], v[32:33], v[40:41]
	v_dual_cndmask_b32 v33, v33, v47, s13 :: v_dual_cndmask_b32 v32, v32, v46, s13
	s_delay_alu instid0(VALU_DEP_3) | instskip(SKIP_2) | instid1(VALU_DEP_4)
	v_cmp_eq_u16_e64 s13, 0, v55
	v_or_b32_e32 v55, v48, v37
	v_bitop3_b16 v37, v48, 1, v37 bitop3:0xc8
	v_max_i64 v[46:47], v[34:35], v[32:33]
	s_delay_alu instid0(VALU_DEP_3) | instskip(SKIP_3) | instid1(VALU_DEP_4)
	v_bitop3_b16 v57, v50, v49, v55 bitop3:0xfe
	v_bitop3_b16 v48, v49, 1, v55 bitop3:0xc8
	;; [unrolled: 1-line block ×7, first 2 shown]
	s_delay_alu instid0(VALU_DEP_3)
	v_bitop3_b16 v49, v53, 1, v49 bitop3:0xc8
	v_bitop3_b16 v53, v54, 1, v55 bitop3:0xc8
	v_dual_cndmask_b32 v35, v35, v47, s13 :: v_dual_cndmask_b32 v34, v34, v46, s13
	v_cmp_eq_u16_e64 s13, 0, v54
	ds_store_2addr_b64 v36, v[12:13], v[44:45] offset0:2 offset1:4
	ds_store_2addr_b64 v36, v[38:39], v[40:41] offset0:6 offset1:8
	;; [unrolled: 1-line block ×3, first 2 shown]
	v_max_i64 v[46:47], v[42:43], v[34:35]
	s_delay_alu instid0(VALU_DEP_1)
	v_dual_cndmask_b32 v13, v43, v47, s13 :: v_dual_cndmask_b32 v12, v42, v46, s13
	ds_store_b8 v36, v37 offset:24
	ds_store_b8 v36, v48 offset:40
	;; [unrolled: 1-line block ×6, first 2 shown]
	ds_store_b64 v36, v[12:13] offset:112
	ds_store_b8 v36, v53 offset:120
.LBB137_93:
	s_or_b32 exec_lo, exec_lo, s16
	v_cmp_eq_u32_e64 s13, 0, v0
	s_mov_b32 s15, exec_lo
	s_wait_dscnt 0x0
	s_barrier_signal -1
	s_barrier_wait -1
	v_cmpx_ne_u32_e32 0, v0
	s_cbranch_execz .LBB137_95
; %bb.94:
	v_add_nc_u32_e32 v4, -1, v0
	s_and_not1_b32 s16, s18, exec_lo
	s_delay_alu instid0(VALU_DEP_1) | instskip(NEXT) | instid1(VALU_DEP_1)
	v_lshrrev_b32_e32 v5, 1, v4
	v_and_b32_e32 v5, 0x7ffffff0, v5
	s_delay_alu instid0(VALU_DEP_1) | instskip(SKIP_4) | instid1(VALU_DEP_1)
	v_lshl_add_u32 v4, v4, 4, v5
	ds_load_u8 v12, v4 offset:8
	ds_load_b64 v[4:5], v4
	s_wait_dscnt 0x1
	v_and_b32_e32 v12, 1, v12
	v_cmp_eq_u32_e64 s14, 1, v12
	s_and_b32 s14, s14, exec_lo
	s_delay_alu instid0(SALU_CYCLE_1)
	s_or_b32 s18, s16, s14
.LBB137_95:
	s_or_b32 exec_lo, exec_lo, s15
	s_and_saveexec_b32 s19, vcc_lo
	s_cbranch_execz .LBB137_147
; %bb.96:
	v_mov_b32_e32 v35, 0
	v_mbcnt_lo_u32_b32 v41, -1, 0
	s_mov_b32 s17, 0
	ds_load_b64 v[12:13], v35 offset:4192
	ds_load_u8 v40, v35 offset:4200
	v_cmp_eq_u32_e64 s14, 0, v41
	s_and_saveexec_b32 s15, s14
	s_cbranch_execz .LBB137_98
; %bb.97:
	s_add_co_i32 s16, s34, 32
	s_delay_alu instid0(SALU_CYCLE_1) | instskip(SKIP_1) | instid1(SALU_CYCLE_1)
	v_dual_mov_b32 v32, 1 :: v_dual_mov_b32 v33, s16
	s_lshl_b64 s[20:21], s[16:17], 4
	s_add_nc_u64 s[16:17], s[36:37], s[20:21]
	s_wait_dscnt 0x1
	global_store_b64 v35, v[12:13], s[16:17]
	s_wait_dscnt 0x0
	global_store_b8 v35, v40, s[16:17] offset:8
	global_wb scope:SCOPE_DEV
	s_wait_storecnt 0x0
	global_inv scope:SCOPE_DEV
	s_wait_xcnt 0x0
	global_store_b8 v33, v32, s[40:41] scope:SCOPE_DEV
.LBB137_98:
	s_wait_xcnt 0x0
	s_or_b32 exec_lo, exec_lo, s15
	v_xad_u32 v32, v41, -1, s34
	s_mov_b32 s15, exec_lo
	s_delay_alu instid0(VALU_DEP_1)
	v_add_nc_u32_e32 v34, 32, v32
	global_load_u8 v42, v34, s[40:41] scope:SCOPE_DEV
	s_wait_loadcnt 0x0
	v_cmpx_eq_u16_e32 0, v42
	s_cbranch_execz .LBB137_102
; %bb.99:
	v_add_nc_u64_e32 v[36:37], s[40:41], v[34:35]
	s_mov_b32 s16, 0
.LBB137_100:                            ; =>This Inner Loop Header: Depth=1
	global_load_u8 v42, v[36:37], off scope:SCOPE_DEV
	s_wait_loadcnt 0x0
	v_cmp_ne_u16_e32 vcc_lo, 0, v42
	s_or_b32 s16, vcc_lo, s16
	s_wait_xcnt 0x0
	s_and_not1_b32 exec_lo, exec_lo, s16
	s_cbranch_execnz .LBB137_100
; %bb.101:
	s_or_b32 exec_lo, exec_lo, s16
.LBB137_102:
	s_delay_alu instid0(SALU_CYCLE_1)
	s_or_b32 exec_lo, exec_lo, s15
	v_dual_mov_b32 v33, s37 :: v_dual_mov_b32 v36, s36
	v_cmp_eq_u16_e32 vcc_lo, 1, v42
	global_wb scope:SCOPE_DEV
	s_wait_storecnt_dscnt 0x0
	global_inv scope:SCOPE_DEV
	v_lshlrev_b32_e64 v44, v41, -1
	s_mov_b32 s15, exec_lo
	v_cndmask_b32_e32 v37, s39, v33, vcc_lo
	v_cndmask_b32_e32 v36, s38, v36, vcc_lo
	v_cmp_ne_u32_e32 vcc_lo, 31, v41
	v_add_co_ci_u32_e64 v33, null, 0, v41, vcc_lo
	v_cmp_eq_u16_e32 vcc_lo, 2, v42
	s_delay_alu instid0(VALU_DEP_2)
	v_lshlrev_b32_e32 v43, 2, v33
	v_lshl_add_u64 v[34:35], v[34:35], 4, v[36:37]
	s_clause 0x1
	global_load_u8 v38, v[34:35], off offset:8
	global_load_b64 v[36:37], v[34:35], off
	v_and_or_b32 v33, vcc_lo, v44, 0x80000000
	s_delay_alu instid0(VALU_DEP_1)
	v_ctz_i32_b32_e32 v33, v33
	s_wait_loadcnt 0x1
	v_and_b32_e32 v39, 1, v38
	s_wait_loadcnt 0x0
	ds_bpermute_b32 v34, v43, v36
	ds_bpermute_b32 v35, v43, v37
	;; [unrolled: 1-line block ×3, first 2 shown]
	v_cmpx_lt_u32_e64 v41, v33
	s_cbranch_execz .LBB137_104
; %bb.103:
	s_wait_dscnt 0x1
	v_max_i64 v[34:35], v[36:37], v[34:35]
	v_and_b32_e32 v39, 0xff, v38
	s_wait_dscnt 0x0
	v_bitop3_b16 v38, v45, v38, 1 bitop3:0xec
	s_delay_alu instid0(VALU_DEP_2) | instskip(NEXT) | instid1(VALU_DEP_2)
	v_cmp_eq_u16_e32 vcc_lo, 0, v39
	v_and_b32_e32 v39, 0xff, v38
	v_dual_cndmask_b32 v37, v37, v35 :: v_dual_cndmask_b32 v36, v36, v34
.LBB137_104:
	s_or_b32 exec_lo, exec_lo, s15
	v_cmp_gt_u32_e32 vcc_lo, 30, v41
	v_add_nc_u32_e32 v46, 2, v41
	s_mov_b32 s17, exec_lo
	s_wait_dscnt 0x2
	v_cndmask_b32_e64 v34, 0, 2, vcc_lo
	s_wait_dscnt 0x0
	s_delay_alu instid0(VALU_DEP_1)
	v_add_lshl_u32 v45, v34, v41, 2
	ds_bpermute_b32 v34, v45, v36
	ds_bpermute_b32 v35, v45, v37
	ds_bpermute_b32 v47, v45, v39
	v_cmpx_le_u32_e64 v46, v33
	s_cbranch_execz .LBB137_106
; %bb.105:
	s_wait_dscnt 0x1
	v_max_i64 v[34:35], v[36:37], v[34:35]
	v_and_b32_e32 v39, 1, v38
	v_and_b32_e32 v38, 0xff, v38
	s_delay_alu instid0(VALU_DEP_1) | instskip(SKIP_1) | instid1(VALU_DEP_1)
	v_cmp_eq_u16_e64 s16, 0, v38
	s_wait_dscnt 0x0
	v_dual_cndmask_b32 v36, v36, v34, s16 :: v_dual_bitop2_b32 v47, 1, v47 bitop3:0x40
	s_delay_alu instid0(VALU_DEP_1) | instskip(SKIP_3) | instid1(SALU_CYCLE_1)
	v_cmp_eq_u32_e64 s15, 1, v47
	v_cndmask_b32_e64 v37, v37, v35, s16
	v_cmp_eq_u32_e32 vcc_lo, 1, v39
	s_or_b32 s15, vcc_lo, s15
	v_cndmask_b32_e64 v38, 0, 1, s15
	v_cndmask_b32_e64 v39, 0, 1, s15
.LBB137_106:
	s_or_b32 exec_lo, exec_lo, s17
	v_cmp_gt_u32_e32 vcc_lo, 28, v41
	v_add_nc_u32_e32 v48, 4, v41
	s_mov_b32 s17, exec_lo
	s_wait_dscnt 0x2
	v_cndmask_b32_e64 v34, 0, 4, vcc_lo
	s_wait_dscnt 0x0
	s_delay_alu instid0(VALU_DEP_1)
	v_add_lshl_u32 v47, v34, v41, 2
	ds_bpermute_b32 v34, v47, v36
	ds_bpermute_b32 v35, v47, v37
	ds_bpermute_b32 v49, v47, v39
	v_cmpx_le_u32_e64 v48, v33
	s_cbranch_execz .LBB137_108
; %bb.107:
	s_wait_dscnt 0x1
	v_max_i64 v[34:35], v[36:37], v[34:35]
	v_and_b32_e32 v39, 1, v38
	v_and_b32_e32 v38, 0xff, v38
	s_delay_alu instid0(VALU_DEP_1) | instskip(SKIP_1) | instid1(VALU_DEP_1)
	v_cmp_eq_u16_e64 s16, 0, v38
	s_wait_dscnt 0x0
	v_dual_cndmask_b32 v36, v36, v34, s16 :: v_dual_bitop2_b32 v49, 1, v49 bitop3:0x40
	s_delay_alu instid0(VALU_DEP_1) | instskip(SKIP_3) | instid1(SALU_CYCLE_1)
	v_cmp_eq_u32_e64 s15, 1, v49
	v_cndmask_b32_e64 v37, v37, v35, s16
	v_cmp_eq_u32_e32 vcc_lo, 1, v39
	s_or_b32 s15, vcc_lo, s15
	v_cndmask_b32_e64 v38, 0, 1, s15
	v_cndmask_b32_e64 v39, 0, 1, s15
.LBB137_108:
	;; [unrolled: 31-line block ×3, first 2 shown]
	s_or_b32 exec_lo, exec_lo, s17
	s_wait_dscnt 0x0
	v_lshl_or_b32 v51, v41, 2, 64
	v_add_nc_u32_e32 v52, 16, v41
	s_mov_b32 s17, exec_lo
	ds_bpermute_b32 v34, v51, v36
	ds_bpermute_b32 v35, v51, v37
	;; [unrolled: 1-line block ×3, first 2 shown]
	v_cmpx_le_u32_e64 v52, v33
	s_cbranch_execz .LBB137_112
; %bb.111:
	s_wait_dscnt 0x1
	v_max_i64 v[34:35], v[36:37], v[34:35]
	v_and_b32_e32 v33, 0xff, v38
	s_delay_alu instid0(VALU_DEP_1) | instskip(SKIP_2) | instid1(VALU_DEP_4)
	v_cmp_eq_u16_e32 vcc_lo, 0, v33
	v_and_b32_e32 v38, 1, v38
	s_wait_dscnt 0x0
	v_dual_cndmask_b32 v36, v36, v34, vcc_lo :: v_dual_bitop2_b32 v39, 1, v39 bitop3:0x40
	s_delay_alu instid0(VALU_DEP_1) | instskip(SKIP_3) | instid1(SALU_CYCLE_1)
	v_cmp_eq_u32_e64 s16, 1, v39
	v_cndmask_b32_e32 v37, v37, v35, vcc_lo
	v_cmp_eq_u32_e64 s15, 1, v38
	s_or_b32 s15, s15, s16
	v_cndmask_b32_e64 v38, 0, 1, s15
.LBB137_112:
	s_or_b32 exec_lo, exec_lo, s17
	v_mov_b32_e32 v33, 0
	s_branch .LBB137_115
.LBB137_113:                            ;   in Loop: Header=BB137_115 Depth=1
	s_or_b32 exec_lo, exec_lo, s20
	v_max_i64 v[36:37], v[34:35], v[36:37]
	s_wait_dscnt 0x2
	v_and_b32_e32 v38, 0xff, v53
	v_subrev_nc_u32_e32 v32, 32, v32
	s_delay_alu instid0(VALU_DEP_2) | instskip(SKIP_1) | instid1(VALU_DEP_4)
	v_cmp_eq_u16_e32 vcc_lo, 0, v38
	s_wait_dscnt 0x1
	v_dual_cndmask_b32 v36, v34, v36, vcc_lo :: v_dual_bitop2_b32 v39, 1, v53 bitop3:0x40
	s_delay_alu instid0(VALU_DEP_1) | instskip(SKIP_2) | instid1(SALU_CYCLE_1)
	v_cmp_eq_u32_e64 s15, 1, v39
	v_cndmask_b32_e32 v37, v35, v37, vcc_lo
	s_or_b32 s15, s15, s17
	v_cndmask_b32_e64 v38, 0, 1, s15
	s_mov_b32 s15, 0
.LBB137_114:                            ;   in Loop: Header=BB137_115 Depth=1
	s_delay_alu instid0(SALU_CYCLE_1)
	s_and_b32 vcc_lo, exec_lo, s15
	s_cbranch_vccnz .LBB137_143
.LBB137_115:                            ; =>This Loop Header: Depth=1
                                        ;     Child Loop BB137_118 Depth 2
	s_wait_dscnt 0x2
	v_and_b32_e32 v34, 0xff, v42
	v_mov_b32_e32 v53, v38
	s_mov_b32 s15, -1
                                        ; implicit-def: $vgpr38
                                        ; implicit-def: $vgpr42
	s_delay_alu instid0(VALU_DEP_2)
	v_cmp_ne_u16_e32 vcc_lo, 2, v34
	s_wait_dscnt 0x1
	v_mov_b64_e32 v[34:35], v[36:37]
                                        ; implicit-def: $vgpr36_vgpr37
	s_cmp_lg_u32 vcc_lo, exec_lo
	s_cbranch_scc1 .LBB137_114
; %bb.116:                              ;   in Loop: Header=BB137_115 Depth=1
	global_load_u8 v42, v32, s[40:41] scope:SCOPE_DEV
	s_mov_b32 s15, exec_lo
	s_wait_loadcnt 0x0
	s_wait_xcnt 0x0
	v_cmpx_eq_u16_e32 0, v42
	s_cbranch_execz .LBB137_120
; %bb.117:                              ;   in Loop: Header=BB137_115 Depth=1
	v_add_nc_u64_e32 v[36:37], s[40:41], v[32:33]
	s_mov_b32 s16, 0
.LBB137_118:                            ;   Parent Loop BB137_115 Depth=1
                                        ; =>  This Inner Loop Header: Depth=2
	global_load_u8 v42, v[36:37], off scope:SCOPE_DEV
	s_wait_loadcnt 0x0
	v_cmp_ne_u16_e32 vcc_lo, 0, v42
	s_or_b32 s16, vcc_lo, s16
	s_wait_xcnt 0x0
	s_and_not1_b32 exec_lo, exec_lo, s16
	s_cbranch_execnz .LBB137_118
; %bb.119:                              ;   in Loop: Header=BB137_115 Depth=1
	s_or_b32 exec_lo, exec_lo, s16
.LBB137_120:                            ;   in Loop: Header=BB137_115 Depth=1
	s_delay_alu instid0(SALU_CYCLE_1)
	s_or_b32 exec_lo, exec_lo, s15
	v_dual_mov_b32 v36, s37 :: v_dual_mov_b32 v38, s36
	v_cmp_eq_u16_e32 vcc_lo, 1, v42
	global_wb scope:SCOPE_DEV
	s_wait_storecnt_dscnt 0x0
	global_inv scope:SCOPE_DEV
	s_mov_b32 s15, exec_lo
	v_cndmask_b32_e32 v37, s39, v36, vcc_lo
	v_cndmask_b32_e32 v36, s38, v38, vcc_lo
	v_cmp_eq_u16_e32 vcc_lo, 2, v42
	s_delay_alu instid0(VALU_DEP_2)
	v_lshl_add_u64 v[38:39], v[32:33], 4, v[36:37]
	v_and_or_b32 v55, vcc_lo, v44, 0x80000000
	s_clause 0x1
	global_load_u8 v54, v[38:39], off offset:8
	global_load_b64 v[36:37], v[38:39], off
	v_ctz_i32_b32_e32 v55, v55
	s_wait_loadcnt 0x1
	v_and_b32_e32 v56, 1, v54
	s_wait_loadcnt 0x0
	s_wait_xcnt 0x0
	ds_bpermute_b32 v38, v43, v36
	ds_bpermute_b32 v39, v43, v37
	ds_bpermute_b32 v57, v43, v56
	v_cmpx_lt_u32_e64 v41, v55
	s_cbranch_execz .LBB137_122
; %bb.121:                              ;   in Loop: Header=BB137_115 Depth=1
	s_wait_dscnt 0x1
	v_max_i64 v[38:39], v[36:37], v[38:39]
	v_and_b32_e32 v56, 0xff, v54
	s_wait_dscnt 0x0
	v_bitop3_b16 v54, v57, v54, 1 bitop3:0xec
	s_delay_alu instid0(VALU_DEP_2) | instskip(NEXT) | instid1(VALU_DEP_2)
	v_cmp_eq_u16_e32 vcc_lo, 0, v56
	v_and_b32_e32 v56, 0xff, v54
	v_dual_cndmask_b32 v37, v37, v39 :: v_dual_cndmask_b32 v36, v36, v38
.LBB137_122:                            ;   in Loop: Header=BB137_115 Depth=1
	s_or_b32 exec_lo, exec_lo, s15
	s_wait_dscnt 0x2
	ds_bpermute_b32 v38, v45, v36
	s_wait_dscnt 0x2
	ds_bpermute_b32 v39, v45, v37
	;; [unrolled: 2-line block ×3, first 2 shown]
	v_and_b32_e32 v58, 1, v54
	s_mov_b32 s16, exec_lo
	s_delay_alu instid0(VALU_DEP_1)
	v_cmp_eq_u32_e64 s17, 1, v58
	v_cmpx_le_u32_e64 v46, v55
	s_cbranch_execz .LBB137_124
; %bb.123:                              ;   in Loop: Header=BB137_115 Depth=1
	s_wait_dscnt 0x1
	v_max_i64 v[38:39], v[36:37], v[38:39]
	v_and_b32_e32 v54, 0xff, v54
	s_delay_alu instid0(VALU_DEP_1) | instskip(SKIP_1) | instid1(VALU_DEP_1)
	v_cmp_eq_u16_e64 s15, 0, v54
	s_wait_dscnt 0x0
	v_dual_cndmask_b32 v37, v37, v39, s15 :: v_dual_bitop2_b32 v56, 1, v57 bitop3:0x40
	s_delay_alu instid0(VALU_DEP_1) | instskip(SKIP_3) | instid1(SALU_CYCLE_1)
	v_cmp_eq_u32_e32 vcc_lo, 1, v56
	v_cndmask_b32_e64 v36, v36, v38, s15
	s_and_not1_b32 s15, s17, exec_lo
	s_or_b32 s20, s17, vcc_lo
	v_cndmask_b32_e64 v54, 0, 1, s20
	v_cndmask_b32_e64 v56, 0, 1, s20
	s_and_b32 s17, s20, exec_lo
	s_delay_alu instid0(SALU_CYCLE_1)
	s_or_b32 s17, s15, s17
.LBB137_124:                            ;   in Loop: Header=BB137_115 Depth=1
	s_or_b32 exec_lo, exec_lo, s16
	s_wait_dscnt 0x2
	ds_bpermute_b32 v38, v47, v36
	s_wait_dscnt 0x2
	ds_bpermute_b32 v39, v47, v37
	;; [unrolled: 2-line block ×3, first 2 shown]
	s_mov_b32 s20, exec_lo
	v_cmpx_le_u32_e64 v48, v55
	s_cbranch_execz .LBB137_126
; %bb.125:                              ;   in Loop: Header=BB137_115 Depth=1
	s_wait_dscnt 0x1
	v_max_i64 v[38:39], v[36:37], v[38:39]
	v_and_b32_e32 v56, 1, v54
	v_and_b32_e32 v54, 0xff, v54
	s_delay_alu instid0(VALU_DEP_1) | instskip(SKIP_1) | instid1(VALU_DEP_1)
	v_cmp_eq_u16_e64 s16, 0, v54
	s_wait_dscnt 0x0
	v_dual_cndmask_b32 v36, v36, v38, s16 :: v_dual_bitop2_b32 v57, 1, v57 bitop3:0x40
	s_delay_alu instid0(VALU_DEP_1) | instskip(SKIP_4) | instid1(SALU_CYCLE_1)
	v_cmp_eq_u32_e64 s15, 1, v57
	v_cndmask_b32_e64 v37, v37, v39, s16
	v_cmp_eq_u32_e32 vcc_lo, 1, v56
	s_and_not1_b32 s16, s17, exec_lo
	s_or_b32 s15, vcc_lo, s15
	v_cndmask_b32_e64 v54, 0, 1, s15
	v_cndmask_b32_e64 v56, 0, 1, s15
	s_and_b32 s15, s15, exec_lo
	s_delay_alu instid0(SALU_CYCLE_1)
	s_or_b32 s17, s16, s15
.LBB137_126:                            ;   in Loop: Header=BB137_115 Depth=1
	s_or_b32 exec_lo, exec_lo, s20
	s_wait_dscnt 0x2
	ds_bpermute_b32 v38, v49, v36
	s_wait_dscnt 0x2
	ds_bpermute_b32 v39, v49, v37
	;; [unrolled: 2-line block ×3, first 2 shown]
	s_mov_b32 s20, exec_lo
	v_cmpx_le_u32_e64 v50, v55
	s_cbranch_execz .LBB137_128
; %bb.127:                              ;   in Loop: Header=BB137_115 Depth=1
	s_wait_dscnt 0x1
	v_max_i64 v[38:39], v[36:37], v[38:39]
	v_and_b32_e32 v56, 1, v54
	v_and_b32_e32 v54, 0xff, v54
	s_delay_alu instid0(VALU_DEP_1) | instskip(SKIP_1) | instid1(VALU_DEP_1)
	v_cmp_eq_u16_e64 s16, 0, v54
	s_wait_dscnt 0x0
	v_dual_cndmask_b32 v36, v36, v38, s16 :: v_dual_bitop2_b32 v57, 1, v57 bitop3:0x40
	s_delay_alu instid0(VALU_DEP_1) | instskip(SKIP_4) | instid1(SALU_CYCLE_1)
	v_cmp_eq_u32_e64 s15, 1, v57
	v_cndmask_b32_e64 v37, v37, v39, s16
	v_cmp_eq_u32_e32 vcc_lo, 1, v56
	s_and_not1_b32 s16, s17, exec_lo
	s_or_b32 s15, vcc_lo, s15
	v_cndmask_b32_e64 v54, 0, 1, s15
	v_cndmask_b32_e64 v56, 0, 1, s15
	s_and_b32 s15, s15, exec_lo
	s_delay_alu instid0(SALU_CYCLE_1)
	s_or_b32 s17, s16, s15
.LBB137_128:                            ;   in Loop: Header=BB137_115 Depth=1
	s_or_b32 exec_lo, exec_lo, s20
	s_wait_dscnt 0x2
	ds_bpermute_b32 v38, v51, v36
	s_wait_dscnt 0x2
	ds_bpermute_b32 v39, v51, v37
	ds_bpermute_b32 v56, v51, v56
	s_mov_b32 s20, exec_lo
	v_cmpx_le_u32_e64 v52, v55
	s_cbranch_execz .LBB137_113
; %bb.129:                              ;   in Loop: Header=BB137_115 Depth=1
	s_wait_dscnt 0x1
	v_max_i64 v[38:39], v[36:37], v[38:39]
	v_and_b32_e32 v55, 1, v54
	v_and_b32_e32 v54, 0xff, v54
	s_delay_alu instid0(VALU_DEP_1) | instskip(SKIP_1) | instid1(VALU_DEP_1)
	v_cmp_eq_u16_e64 s16, 0, v54
	s_wait_dscnt 0x0
	v_dual_cndmask_b32 v36, v36, v38, s16 :: v_dual_bitop2_b32 v56, 1, v56 bitop3:0x40
	s_delay_alu instid0(VALU_DEP_1) | instskip(SKIP_4) | instid1(SALU_CYCLE_1)
	v_cmp_eq_u32_e64 s15, 1, v56
	v_cndmask_b32_e64 v37, v37, v39, s16
	v_cmp_eq_u32_e32 vcc_lo, 1, v55
	s_and_not1_b32 s16, s17, exec_lo
	s_or_b32 s15, vcc_lo, s15
	s_and_b32 s15, s15, exec_lo
	s_delay_alu instid0(SALU_CYCLE_1)
	s_or_b32 s17, s16, s15
	s_branch .LBB137_113
.LBB137_130:
	s_or_b32 exec_lo, exec_lo, s13
                                        ; implicit-def: $vgpr6_vgpr7
	s_and_saveexec_b32 s13, s0
	s_cbranch_execz .LBB137_33
.LBB137_131:
	v_mov_b32_e32 v3, 0
	s_delay_alu instid0(VALU_DEP_1)
	v_sub_nc_u64_e32 v[6:7], s[14:15], v[2:3]
	flat_load_b64 v[6:7], v[6:7] offset:-2056
	s_wait_xcnt 0x0
	s_or_b32 exec_lo, exec_lo, s13
                                        ; implicit-def: $vgpr10_vgpr11
	s_and_saveexec_b32 s0, s1
	s_cbranch_execnz .LBB137_34
.LBB137_132:
	s_or_b32 exec_lo, exec_lo, s0
                                        ; implicit-def: $vgpr12_vgpr13
	s_and_saveexec_b32 s0, s2
	s_cbranch_execz .LBB137_35
.LBB137_133:
	v_mov_b32_e32 v3, 0
	s_delay_alu instid0(VALU_DEP_1)
	v_sub_nc_u64_e32 v[12:13], s[14:15], v[2:3]
	flat_load_b64 v[12:13], v[12:13] offset:-6152
	s_wait_xcnt 0x0
	s_or_b32 exec_lo, exec_lo, s0
                                        ; implicit-def: $vgpr14_vgpr15
	s_and_saveexec_b32 s0, s3
	s_cbranch_execnz .LBB137_36
.LBB137_134:
	s_or_b32 exec_lo, exec_lo, s0
                                        ; implicit-def: $vgpr16_vgpr17
	s_and_saveexec_b32 s0, s4
	s_cbranch_execz .LBB137_37
.LBB137_135:
	v_mov_b32_e32 v3, 0
	s_delay_alu instid0(VALU_DEP_1)
	v_sub_nc_u64_e32 v[16:17], s[14:15], v[2:3]
	flat_load_b64 v[16:17], v[16:17] offset:-10248
	s_wait_xcnt 0x0
	s_or_b32 exec_lo, exec_lo, s0
                                        ; implicit-def: $vgpr18_vgpr19
	s_and_saveexec_b32 s0, s5
	s_cbranch_execnz .LBB137_38
.LBB137_136:
	s_or_b32 exec_lo, exec_lo, s0
                                        ; implicit-def: $vgpr20_vgpr21
	s_and_saveexec_b32 s0, s6
	s_cbranch_execz .LBB137_39
.LBB137_137:
	v_mov_b32_e32 v3, 0
	s_delay_alu instid0(VALU_DEP_1)
	v_sub_nc_u64_e32 v[20:21], s[14:15], v[2:3]
	flat_load_b64 v[20:21], v[20:21] offset:-14344
	s_wait_xcnt 0x0
	s_or_b32 exec_lo, exec_lo, s0
                                        ; implicit-def: $vgpr22_vgpr23
	s_and_saveexec_b32 s0, s7
	s_cbranch_execnz .LBB137_40
.LBB137_138:
	s_or_b32 exec_lo, exec_lo, s0
                                        ; implicit-def: $vgpr24_vgpr25
	s_and_saveexec_b32 s0, s8
	s_cbranch_execz .LBB137_41
.LBB137_139:
	v_mov_b32_e32 v3, 0
	s_delay_alu instid0(VALU_DEP_1)
	v_sub_nc_u64_e32 v[24:25], s[14:15], v[2:3]
	flat_load_b64 v[24:25], v[24:25] offset:-18440
	s_wait_xcnt 0x0
	s_or_b32 exec_lo, exec_lo, s0
                                        ; implicit-def: $vgpr26_vgpr27
	s_and_saveexec_b32 s0, s9
	s_cbranch_execnz .LBB137_42
.LBB137_140:
	s_or_b32 exec_lo, exec_lo, s0
                                        ; implicit-def: $vgpr28_vgpr29
	s_and_saveexec_b32 s0, s10
	s_cbranch_execz .LBB137_43
.LBB137_141:
	v_mov_b32_e32 v3, 0
	s_delay_alu instid0(VALU_DEP_1)
	v_sub_nc_u64_e32 v[28:29], s[14:15], v[2:3]
	flat_load_b64 v[28:29], v[28:29] offset:-22536
	s_wait_xcnt 0x0
	s_or_b32 exec_lo, exec_lo, s0
                                        ; implicit-def: $vgpr30_vgpr31
	s_and_saveexec_b32 s0, s11
	s_cbranch_execz .LBB137_45
	s_branch .LBB137_44
.LBB137_142:
                                        ; implicit-def: $vgpr58_vgpr59
                                        ; implicit-def: $vgpr54_vgpr55
                                        ; implicit-def: $vgpr50_vgpr51
                                        ; implicit-def: $vgpr46_vgpr47
                                        ; implicit-def: $vgpr42_vgpr43
                                        ; implicit-def: $vgpr38_vgpr39
                                        ; implicit-def: $vgpr34_vgpr35
	s_cbranch_execnz .LBB137_148
	s_branch .LBB137_167
.LBB137_143:
	s_and_saveexec_b32 s15, s14
	s_cbranch_execz .LBB137_145
; %bb.144:
	v_max_i64 v[32:33], v[12:13], v[34:35]
	v_and_b32_e32 v36, 0xff, v40
	s_add_co_i32 s16, s34, 32
	s_mov_b32 s17, 0
	v_bitop3_b16 v37, v40, 1, v53 bitop3:0xc8
	v_mov_b32_e32 v38, 2
	v_cmp_eq_u32_e32 vcc_lo, 0, v36
	v_mov_b32_e32 v36, 0
	s_lshl_b64 s[20:21], s[16:17], 4
	v_dual_cndmask_b32 v13, v13, v33 :: v_dual_cndmask_b32 v12, v12, v32
	v_mov_b32_e32 v32, s16
	s_add_nc_u64 s[16:17], s[38:39], s[20:21]
	s_clause 0x1
	global_store_b64 v36, v[12:13], s[16:17]
	global_store_b8 v36, v37, s[16:17] offset:8
	global_wb scope:SCOPE_DEV
	s_wait_storecnt_dscnt 0x0
	global_inv scope:SCOPE_DEV
	s_wait_xcnt 0x0
	global_store_b8 v32, v38, s[40:41] scope:SCOPE_DEV
.LBB137_145:
	s_wait_xcnt 0x0
	s_or_b32 exec_lo, exec_lo, s15
	s_delay_alu instid0(SALU_CYCLE_1)
	s_and_b32 exec_lo, exec_lo, s13
	s_cbranch_execz .LBB137_147
; %bb.146:
	v_mov_b32_e32 v12, 0
	ds_store_b64 v12, v[34:35]
	ds_store_b8 v12, v53 offset:8
.LBB137_147:
	s_or_b32 exec_lo, exec_lo, s19
	s_wait_dscnt 0x0
	v_max_i64 v[4:5], v[2:3], v[4:5]
	v_and_b32_e32 v32, 0xff, v1
	s_wait_loadcnt 0x0
	s_wait_storecnt 0x0
	s_barrier_signal -1
	s_barrier_wait -1
	v_cmp_eq_u16_e32 vcc_lo, 0, v32
	v_dual_mov_b32 v12, 0 :: v_dual_bitop2_b32 v32, 1, v1 bitop3:0x40
	s_delay_alu instid0(VALU_DEP_4) | instskip(SKIP_3) | instid1(VALU_DEP_2)
	v_cndmask_b32_e32 v4, v2, v4, vcc_lo
	ds_load_b64 v[12:13], v12
	v_cndmask_b32_e32 v5, v3, v5, vcc_lo
	v_cmp_eq_u32_e32 vcc_lo, 1, v32
	v_dual_cndmask_b32 v4, v4, v2, s13 :: v_dual_cndmask_b32 v5, v5, v3, s13
	s_or_b32 s14, vcc_lo, s18
	s_delay_alu instid0(SALU_CYCLE_1) | instskip(NEXT) | instid1(VALU_DEP_1)
	v_cndmask_b32_e64 v32, 0, 1, s14
	v_cndmask_b32_e64 v32, v32, v1, s13
	s_delay_alu instid0(VALU_DEP_1) | instskip(SKIP_2) | instid1(VALU_DEP_2)
	v_and_b32_e32 v32, 0xff, v32
	s_wait_dscnt 0x0
	v_max_i64 v[12:13], v[4:5], v[12:13]
	v_cmp_eq_u16_e32 vcc_lo, 0, v32
	s_delay_alu instid0(VALU_DEP_2) | instskip(NEXT) | instid1(VALU_DEP_1)
	v_dual_cndmask_b32 v33, v5, v13 :: v_dual_cndmask_b32 v32, v4, v12
	v_max_i64 v[4:5], v[6:7], v[32:33]
	s_delay_alu instid0(VALU_DEP_1) | instskip(NEXT) | instid1(VALU_DEP_1)
	v_dual_cndmask_b32 v35, v7, v5, s1 :: v_dual_cndmask_b32 v34, v6, v4, s1
	v_max_i64 v[4:5], v[16:17], v[34:35]
	s_delay_alu instid0(VALU_DEP_1) | instskip(NEXT) | instid1(VALU_DEP_1)
	v_dual_cndmask_b32 v37, v17, v5, s2 :: v_dual_cndmask_b32 v36, v16, v4, s2
	;; [unrolled: 3-line block ×12, first 2 shown]
	v_max_i64 v[4:5], v[8:9], v[56:57]
	s_delay_alu instid0(VALU_DEP_1)
	v_dual_cndmask_b32 v59, v9, v5, s0 :: v_dual_cndmask_b32 v58, v8, v4, s0
	s_branch .LBB137_167
.LBB137_148:
	s_cmp_lg_u64 s[28:29], 0
	v_cmp_eq_u32_e32 vcc_lo, 0, v0
	s_cselect_b32 s1, -1, 0
	s_cmp_lg_u64 s[46:47], 0
	v_cmp_ne_u32_e64 s0, 0, v0
	s_cselect_b32 s2, -1, 0
	s_delay_alu instid0(SALU_CYCLE_1) | instskip(NEXT) | instid1(SALU_CYCLE_1)
	s_and_b32 s1, s1, s2
	s_and_b32 s1, vcc_lo, s1
	s_delay_alu instid0(SALU_CYCLE_1)
	s_and_saveexec_b32 s2, s1
	s_cbranch_execz .LBB137_150
; %bb.149:
	v_mov_b32_e32 v12, 0
	s_clause 0x1
	global_load_b64 v[4:5], v12, s[46:47]
	global_load_u8 v13, v12, s[46:47] offset:8
	s_wait_xcnt 0x0
	v_and_b32_e32 v12, 0xff, v1
	s_delay_alu instid0(VALU_DEP_1) | instskip(SKIP_4) | instid1(VALU_DEP_2)
	v_cmp_eq_u16_e64 s1, 0, v12
	s_wait_loadcnt 0x1
	v_max_i64 v[4:5], v[2:3], v[4:5]
	s_wait_loadcnt 0x0
	v_bitop3_b16 v1, v1, 1, v13 bitop3:0xc8
	v_dual_cndmask_b32 v3, v3, v5, s1 :: v_dual_cndmask_b32 v2, v2, v4, s1
.LBB137_150:
	s_or_b32 exec_lo, exec_lo, s2
	s_delay_alu instid0(VALU_DEP_1)
	v_max_i64 v[4:5], v[6:7], v[2:3]
	v_cmp_eq_u16_e64 s1, 0, v85
	v_cmp_eq_u16_e64 s2, 0, v81
	v_cmp_eq_u16_e64 s3, 0, v80
	v_cmp_eq_u16_e64 s4, 0, v79
	v_cmp_eq_u16_e64 s5, 0, v78
	v_cmp_eq_u16_e64 s6, 0, v77
	v_cmp_eq_u16_e64 s7, 0, v76
	v_cmp_eq_u16_e64 s8, 0, v75
	v_cmp_eq_u16_e64 s9, 0, v74
	v_cmp_eq_u16_e64 s10, 0, v73
	v_cmp_eq_u16_e64 s11, 0, v72
	v_cmp_eq_u16_e64 s12, 0, v71
	v_cmp_ne_u16_e64 s13, 0, v67
	v_cmp_eq_u32_e64 s15, 1, v64
	v_cmp_ne_u16_e64 s18, 0, v70
	v_cmp_eq_u32_e64 s19, 1, v60
	v_bitop3_b16 v12, v1, 0xff, v84 bitop3:0xc8
	v_cmp_ne_u16_e64 s16, 0, v68
	v_cmp_eq_u32_e64 s17, 1, v61
	v_cmp_ne_u16_e64 s20, 0, v69
	s_or_b32 s15, s13, s15
	s_or_b32 s13, s18, s19
	v_cmp_eq_u32_e64 s14, 1, v65
	v_cmp_ne_u16_e64 s21, 0, v12
	s_or_b32 s16, s16, s17
	s_or_b32 s17, s20, s13
	v_and_b32_e32 v13, 0x70, v66
	s_or_b32 s16, s17, s16
	v_cmp_eq_u16_e64 s13, 0, v63
	s_or_b32 s14, s21, s14
	s_or_b32 s15, s16, s15
	v_dual_cndmask_b32 v35, v7, v5, s1 :: v_dual_cndmask_b32 v34, v6, v4, s1
	s_or_b32 s14, s15, s14
	v_lshl_add_u32 v12, v0, 4, v13
	v_cndmask_b32_e64 v61, 0, 1, s14
	s_mov_b32 s17, exec_lo
	v_max_i64 v[4:5], v[16:17], v[34:35]
	s_delay_alu instid0(VALU_DEP_1) | instskip(NEXT) | instid1(VALU_DEP_1)
	v_dual_cndmask_b32 v37, v17, v5, s2 :: v_dual_cndmask_b32 v36, v16, v4, s2
	v_max_i64 v[4:5], v[14:15], v[36:37]
	s_delay_alu instid0(VALU_DEP_1) | instskip(NEXT) | instid1(VALU_DEP_1)
	v_dual_cndmask_b32 v39, v15, v5, s3 :: v_dual_cndmask_b32 v38, v14, v4, s3
	;; [unrolled: 3-line block ×11, first 2 shown]
	v_max_i64 v[4:5], v[8:9], v[56:57]
	s_delay_alu instid0(VALU_DEP_1)
	v_dual_cndmask_b32 v59, v9, v5, s13 :: v_dual_cndmask_b32 v58, v8, v4, s13
	ds_store_b64 v12, v[58:59]
	ds_store_b8 v12, v61 offset:8
	s_wait_dscnt 0x0
	s_barrier_signal -1
	s_barrier_wait -1
	v_cmpx_gt_u32_e32 32, v0
	s_cbranch_execz .LBB137_162
; %bb.151:
	v_dual_lshlrev_b32 v4, 2, v0 :: v_dual_lshlrev_b32 v5, 7, v0
	s_mov_b32 s16, exec_lo
	s_delay_alu instid0(VALU_DEP_1) | instskip(NEXT) | instid1(VALU_DEP_1)
	v_and_b32_e32 v4, 0x3f0, v4
	v_add_nc_u32_e32 v60, v4, v5
	ds_load_2addr_b64 v[64:67], v60 offset0:2 offset1:4
	ds_load_b64 v[4:5], v60
	ds_load_b32 v63, v60 offset:8
	ds_load_u8 v72, v60 offset:24
	ds_load_u8 v73, v60 offset:40
	;; [unrolled: 1-line block ×6, first 2 shown]
	s_wait_dscnt 0x7
	v_max_i64 v[12:13], v[64:65], v[4:5]
	s_wait_dscnt 0x5
	v_cmp_eq_u16_e64 s14, 0, v72
	s_delay_alu instid0(VALU_DEP_1) | instskip(SKIP_2) | instid1(VALU_DEP_2)
	v_dual_cndmask_b32 v13, v65, v13, s14 :: v_dual_cndmask_b32 v12, v64, v12, s14
	s_wait_dscnt 0x4
	v_cmp_eq_u16_e64 s14, 0, v73
	v_max_i64 v[12:13], v[66:67], v[12:13]
	s_delay_alu instid0(VALU_DEP_1)
	v_cndmask_b32_e64 v12, v66, v12, s14
	ds_load_2addr_b64 v[68:71], v60 offset0:6 offset1:8
	v_cndmask_b32_e64 v13, v67, v13, s14
	s_wait_dscnt 0x4
	v_cmp_eq_u16_e64 s14, 0, v74
	ds_load_2addr_b64 v[64:67], v60 offset0:10 offset1:12
	s_wait_dscnt 0x1
	v_max_i64 v[12:13], v[68:69], v[12:13]
	s_delay_alu instid0(VALU_DEP_1) | instskip(SKIP_1) | instid1(VALU_DEP_2)
	v_dual_cndmask_b32 v13, v69, v13, s14 :: v_dual_cndmask_b32 v12, v68, v12, s14
	v_cmp_eq_u16_e64 s14, 0, v75
	v_max_i64 v[12:13], v[70:71], v[12:13]
	s_delay_alu instid0(VALU_DEP_1) | instskip(SKIP_2) | instid1(VALU_DEP_2)
	v_dual_cndmask_b32 v13, v71, v13, s14 :: v_dual_cndmask_b32 v12, v70, v12, s14
	v_cmp_eq_u16_e64 s14, 0, v76
	s_wait_dscnt 0x0
	v_max_i64 v[12:13], v[64:65], v[12:13]
	s_delay_alu instid0(VALU_DEP_1)
	v_dual_cndmask_b32 v13, v65, v13, s14 :: v_dual_cndmask_b32 v12, v64, v12, s14
	ds_load_b64 v[32:33], v60 offset:112
	ds_load_u8 v65, v60 offset:120
	v_cmp_eq_u16_e64 s14, 0, v77
	v_bitop3_b16 v64, v73, v74, v72 bitop3:0xfe
	v_max_i64 v[12:13], v[66:67], v[12:13]
	s_delay_alu instid0(VALU_DEP_1) | instskip(SKIP_2) | instid1(VALU_DEP_1)
	v_dual_cndmask_b32 v13, v67, v13, s14 :: v_dual_cndmask_b32 v12, v66, v12, s14
	v_bitop3_b16 v66, v76, v77, v75 bitop3:0xfe
	s_wait_dscnt 0x0
	v_bitop3_b16 v64, v65, v64, v66 bitop3:0xfe
	v_and_b32_e32 v66, 1, v63
	v_max_i64 v[12:13], v[32:33], v[12:13]
	s_delay_alu instid0(VALU_DEP_3) | instskip(NEXT) | instid1(VALU_DEP_3)
	v_and_b32_e32 v64, 1, v64
	v_cmp_eq_u32_e64 s14, 1, v66
	s_delay_alu instid0(VALU_DEP_2)
	v_cmp_eq_u32_e64 s15, 1, v64
	v_and_b32_e32 v64, 0xffffff00, v63
	s_or_b32 s14, s15, s14
	v_cmp_eq_u16_e64 s15, 0, v65
	v_cndmask_b32_e64 v67, 0, 1, s14
	v_mbcnt_lo_u32_b32 v65, -1, 0
	v_cndmask_b32_e64 v66, 0, 1, s14
	s_delay_alu instid0(VALU_DEP_3) | instskip(NEXT) | instid1(VALU_DEP_3)
	v_or_b32_e32 v68, v64, v67
	v_and_b32_e32 v67, 15, v65
	s_delay_alu instid0(VALU_DEP_2) | instskip(SKIP_1) | instid1(VALU_DEP_1)
	v_mov_b32_dpp v69, v68 row_shr:1 row_mask:0xf bank_mask:0xf
	v_dual_cndmask_b32 v13, v33, v13, s15 :: v_dual_cndmask_b32 v12, v32, v12, s15
	v_mov_b32_dpp v33, v13 row_shr:1 row_mask:0xf bank_mask:0xf
	s_delay_alu instid0(VALU_DEP_2)
	v_mov_b32_dpp v32, v12 row_shr:1 row_mask:0xf bank_mask:0xf
	v_cmpx_ne_u32_e32 0, v67
	s_cbranch_execz .LBB137_153
; %bb.152:
	s_delay_alu instid0(VALU_DEP_2) | instskip(SKIP_1) | instid1(VALU_DEP_1)
	v_max_i64 v[32:33], v[12:13], v[32:33]
	v_bitop3_b16 v66, v69, v66, 1 bitop3:0xec
	v_and_b32_e32 v68, 0xffff, v66
	s_delay_alu instid0(VALU_DEP_1) | instskip(NEXT) | instid1(VALU_DEP_4)
	v_dual_cndmask_b32 v13, v33, v13, s14 :: v_dual_bitop2_b32 v68, v64, v68 bitop3:0x54
	v_cndmask_b32_e64 v12, v32, v12, s14
.LBB137_153:
	s_or_b32 exec_lo, exec_lo, s16
	s_delay_alu instid0(VALU_DEP_1) | instskip(NEXT) | instid1(VALU_DEP_3)
	v_mov_b32_dpp v32, v12 row_shr:2 row_mask:0xf bank_mask:0xf
	v_mov_b32_dpp v33, v13 row_shr:2 row_mask:0xf bank_mask:0xf
	;; [unrolled: 1-line block ×3, first 2 shown]
	s_mov_b32 s18, exec_lo
	v_cmpx_lt_u32_e32 1, v67
	s_cbranch_execz .LBB137_155
; %bb.154:
	v_max_i64 v[32:33], v[12:13], v[32:33]
	v_cmp_eq_u16_e64 s16, 0, v66
	v_and_b32_e32 v68, 1, v66
	s_delay_alu instid0(VALU_DEP_2) | instskip(NEXT) | instid1(VALU_DEP_1)
	v_dual_cndmask_b32 v12, v12, v32, s16 :: v_dual_bitop2_b32 v69, 1, v69 bitop3:0x40
	v_cmp_eq_u32_e64 s15, 1, v69
	v_cndmask_b32_e64 v13, v13, v33, s16
	s_delay_alu instid0(VALU_DEP_4) | instskip(SKIP_1) | instid1(SALU_CYCLE_1)
	v_cmp_eq_u32_e64 s14, 1, v68
	s_or_b32 s14, s14, s15
	v_cndmask_b32_e64 v68, 0, 1, s14
	v_cndmask_b32_e64 v66, 0, 1, s14
	s_delay_alu instid0(VALU_DEP_2)
	v_or_b32_e32 v68, v64, v68
.LBB137_155:
	s_or_b32 exec_lo, exec_lo, s18
	v_mov_b32_dpp v32, v12 row_shr:4 row_mask:0xf bank_mask:0xf
	v_mov_b32_dpp v33, v13 row_shr:4 row_mask:0xf bank_mask:0xf
	s_delay_alu instid0(VALU_DEP_3)
	v_mov_b32_dpp v69, v68 row_shr:4 row_mask:0xf bank_mask:0xf
	s_mov_b32 s18, exec_lo
	v_cmpx_lt_u32_e32 3, v67
	s_cbranch_execz .LBB137_157
; %bb.156:
	v_max_i64 v[32:33], v[12:13], v[32:33]
	v_cmp_eq_u16_e64 s16, 0, v66
	v_and_b32_e32 v68, 1, v66
	s_delay_alu instid0(VALU_DEP_2) | instskip(NEXT) | instid1(VALU_DEP_1)
	v_dual_cndmask_b32 v12, v12, v32, s16 :: v_dual_bitop2_b32 v69, 1, v69 bitop3:0x40
	v_cmp_eq_u32_e64 s15, 1, v69
	v_cndmask_b32_e64 v13, v13, v33, s16
	s_delay_alu instid0(VALU_DEP_4) | instskip(SKIP_1) | instid1(SALU_CYCLE_1)
	v_cmp_eq_u32_e64 s14, 1, v68
	s_or_b32 s14, s14, s15
	v_cndmask_b32_e64 v68, 0, 1, s14
	v_cndmask_b32_e64 v66, 0, 1, s14
	s_delay_alu instid0(VALU_DEP_2)
	v_or_b32_e32 v68, v64, v68
.LBB137_157:
	s_or_b32 exec_lo, exec_lo, s18
	v_mov_b32_dpp v32, v12 row_shr:8 row_mask:0xf bank_mask:0xf
	v_mov_b32_dpp v33, v13 row_shr:8 row_mask:0xf bank_mask:0xf
	s_delay_alu instid0(VALU_DEP_3)
	v_mov_b32_dpp v69, v68 row_shr:8 row_mask:0xf bank_mask:0xf
	s_mov_b32 s18, exec_lo
	v_cmpx_lt_u32_e32 7, v67
	s_cbranch_execz .LBB137_159
; %bb.158:
	v_max_i64 v[32:33], v[12:13], v[32:33]
	v_cmp_eq_u16_e64 s16, 0, v66
	v_and_b32_e32 v67, 1, v66
	s_delay_alu instid0(VALU_DEP_2) | instskip(NEXT) | instid1(VALU_DEP_1)
	v_dual_cndmask_b32 v12, v12, v32, s16 :: v_dual_bitop2_b32 v68, 1, v69 bitop3:0x40
	v_cmp_eq_u32_e64 s15, 1, v68
	v_cndmask_b32_e64 v13, v13, v33, s16
	s_delay_alu instid0(VALU_DEP_4) | instskip(SKIP_1) | instid1(SALU_CYCLE_1)
	v_cmp_eq_u32_e64 s14, 1, v67
	s_or_b32 s14, s14, s15
	v_cndmask_b32_e64 v67, 0, 1, s14
	v_cndmask_b32_e64 v66, 0, 1, s14
	s_delay_alu instid0(VALU_DEP_2)
	v_or_b32_e32 v68, v64, v67
.LBB137_159:
	s_or_b32 exec_lo, exec_lo, s18
	ds_swizzle_b32 v32, v12 offset:swizzle(BROADCAST,32,15)
	ds_swizzle_b32 v33, v13 offset:swizzle(BROADCAST,32,15)
	;; [unrolled: 1-line block ×3, first 2 shown]
	v_and_b32_e32 v68, 16, v65
	s_mov_b32 s18, exec_lo
	s_delay_alu instid0(VALU_DEP_1)
	v_cmpx_ne_u32_e32 0, v68
	s_cbranch_execz .LBB137_161
; %bb.160:
	s_wait_dscnt 0x1
	v_max_i64 v[32:33], v[12:13], v[32:33]
	v_cmp_eq_u16_e64 s14, 0, v66
	v_and_b32_e32 v68, 1, v66
	s_wait_dscnt 0x0
	s_delay_alu instid0(VALU_DEP_2) | instskip(NEXT) | instid1(VALU_DEP_1)
	v_dual_cndmask_b32 v13, v13, v33, s14 :: v_dual_bitop2_b32 v67, 1, v67 bitop3:0x40
	v_cmp_eq_u32_e64 s16, 1, v67
	v_cndmask_b32_e64 v12, v12, v32, s14
	v_cmp_eq_u32_e64 s15, 1, v68
	s_or_b32 s14, s15, s16
	s_delay_alu instid0(SALU_CYCLE_1)
	v_cndmask_b32_e64 v66, 0, 1, s14
.LBB137_161:
	s_or_b32 exec_lo, exec_lo, s18
	s_wait_dscnt 0x2
	v_add_nc_u32_e32 v32, -1, v65
	s_wait_dscnt 0x1
	v_and_b32_e32 v33, 0xffff, v66
	; wave barrier
	s_delay_alu instid0(VALU_DEP_2) | instskip(NEXT) | instid1(VALU_DEP_2)
	v_cmp_gt_i32_e64 s14, 0, v32
	v_or_b32_e32 v33, v64, v33
	s_delay_alu instid0(VALU_DEP_2) | instskip(NEXT) | instid1(VALU_DEP_1)
	v_cndmask_b32_e64 v32, v32, v65, s14
	v_lshlrev_b32_e32 v32, 2, v32
	ds_bpermute_b32 v12, v32, v12
	ds_bpermute_b32 v13, v32, v13
	;; [unrolled: 1-line block ×3, first 2 shown]
	v_and_b32_e32 v33, 0xff, v63
	s_delay_alu instid0(VALU_DEP_1) | instskip(SKIP_3) | instid1(VALU_DEP_1)
	v_cmp_eq_u32_e64 s14, 0, v33
	s_wait_dscnt 0x1
	v_max_i64 v[12:13], v[4:5], v[12:13]
	s_wait_dscnt 0x0
	v_dual_cndmask_b32 v5, v5, v13, s14 :: v_dual_bitop2_b32 v32, v32, v63 bitop3:0x54
	s_delay_alu instid0(VALU_DEP_2) | instskip(NEXT) | instid1(VALU_DEP_2)
	v_cndmask_b32_e64 v4, v4, v12, s14
	v_dual_cndmask_b32 v5, v5, v59, vcc_lo :: v_dual_bitop2_b32 v12, 1, v32 bitop3:0x40
	s_delay_alu instid0(VALU_DEP_2) | instskip(NEXT) | instid1(VALU_DEP_2)
	v_cndmask_b32_e32 v4, v4, v58, vcc_lo
	v_cndmask_b32_e32 v61, v12, v61, vcc_lo
	ds_store_b64 v60, v[4:5]
	ds_store_b8 v60, v61 offset:8
	; wave barrier
	ds_load_2addr_b64 v[64:67], v60 offset0:2 offset1:4
	ds_load_u8 v63, v60 offset:24
	ds_load_u8 v74, v60 offset:40
	;; [unrolled: 1-line block ×6, first 2 shown]
	ds_load_b64 v[12:13], v60 offset:112
	ds_load_u8 v79, v60 offset:120
	ds_load_2addr_b64 v[68:71], v60 offset0:6 offset1:8
	s_wait_dscnt 0x8
	v_and_b32_e32 v32, 0xff, v63
	s_wait_dscnt 0x5
	v_and_b32_e32 v80, 0xff, v76
	s_delay_alu instid0(VALU_DEP_2) | instskip(SKIP_1) | instid1(VALU_DEP_1)
	v_cmp_eq_u16_e64 s14, 0, v32
	v_max_i64 v[4:5], v[64:65], v[4:5]
	v_dual_cndmask_b32 v5, v65, v5, s14 :: v_dual_cndmask_b32 v4, v64, v4, s14
	v_and_b32_e32 v64, 0xff, v74
	s_delay_alu instid0(VALU_DEP_2) | instskip(NEXT) | instid1(VALU_DEP_2)
	v_max_i64 v[32:33], v[66:67], v[4:5]
	v_cmp_eq_u16_e64 s14, 0, v64
	s_delay_alu instid0(VALU_DEP_1) | instskip(SKIP_3) | instid1(VALU_DEP_3)
	v_dual_cndmask_b32 v33, v67, v33, s14 :: v_dual_cndmask_b32 v32, v66, v32, s14
	v_and_b32_e32 v66, 0xff, v75
	v_bitop3_b16 v81, v74, v63, v61 bitop3:0xfe
	s_wait_dscnt 0x0
	v_max_i64 v[64:65], v[68:69], v[32:33]
	s_delay_alu instid0(VALU_DEP_3) | instskip(NEXT) | instid1(VALU_DEP_3)
	v_cmp_eq_u16_e64 s14, 0, v66
	v_bitop3_b16 v85, v76, v75, v81 bitop3:0xfe
	s_delay_alu instid0(VALU_DEP_2) | instskip(SKIP_4) | instid1(VALU_DEP_1)
	v_dual_cndmask_b32 v69, v69, v65, s14 :: v_dual_cndmask_b32 v68, v68, v64, s14
	ds_load_2addr_b64 v[64:67], v60 offset0:10 offset1:12
	v_cmp_eq_u16_e64 s14, 0, v80
	v_and_b32_e32 v80, 0xff, v77
	v_max_i64 v[72:73], v[70:71], v[68:69]
	v_dual_cndmask_b32 v71, v71, v73, s14 :: v_dual_cndmask_b32 v70, v70, v72, s14
	s_delay_alu instid0(VALU_DEP_3) | instskip(SKIP_2) | instid1(VALU_DEP_3)
	v_cmp_eq_u16_e64 s14, 0, v80
	v_and_b32_e32 v80, 0xff, v78
	s_wait_dscnt 0x0
	v_max_i64 v[72:73], v[64:65], v[70:71]
	s_delay_alu instid0(VALU_DEP_1) | instskip(NEXT) | instid1(VALU_DEP_3)
	v_dual_cndmask_b32 v65, v65, v73, s14 :: v_dual_cndmask_b32 v64, v64, v72, s14
	v_cmp_eq_u16_e64 s14, 0, v80
	v_or_b32_e32 v80, v63, v61
	v_bitop3_b16 v61, v63, 1, v61 bitop3:0xc8
	s_delay_alu instid0(VALU_DEP_4) | instskip(NEXT) | instid1(VALU_DEP_3)
	v_max_i64 v[72:73], v[66:67], v[64:65]
	v_bitop3_b16 v84, v75, v74, v80 bitop3:0xfe
	v_bitop3_b16 v63, v74, 1, v80 bitop3:0xc8
	;; [unrolled: 1-line block ×4, first 2 shown]
	s_delay_alu instid0(VALU_DEP_4) | instskip(SKIP_2) | instid1(VALU_DEP_3)
	v_bitop3_b16 v74, v77, v76, v84 bitop3:0xfe
	v_bitop3_b16 v76, v76, 1, v84 bitop3:0xc8
	;; [unrolled: 1-line block ×5, first 2 shown]
	v_dual_cndmask_b32 v67, v67, v73, s14 :: v_dual_cndmask_b32 v66, v66, v72, s14
	v_cmp_eq_u16_e64 s14, 0, v79
	ds_store_2addr_b64 v60, v[4:5], v[32:33] offset0:2 offset1:4
	ds_store_2addr_b64 v60, v[68:69], v[70:71] offset0:6 offset1:8
	;; [unrolled: 1-line block ×3, first 2 shown]
	v_max_i64 v[72:73], v[12:13], v[66:67]
	s_delay_alu instid0(VALU_DEP_1)
	v_dual_cndmask_b32 v5, v13, v73, s14 :: v_dual_cndmask_b32 v4, v12, v72, s14
	ds_store_b8 v60, v61 offset:24
	ds_store_b8 v60, v63 offset:40
	ds_store_b8 v60, v75 offset:56
	ds_store_b8 v60, v76 offset:72
	ds_store_b8 v60, v77 offset:88
	ds_store_b8 v60, v74 offset:104
	ds_store_b64 v60, v[4:5] offset:112
	ds_store_b8 v60, v78 offset:120
.LBB137_162:
	s_or_b32 exec_lo, exec_lo, s17
	s_wait_dscnt 0x0
	s_barrier_signal -1
	s_barrier_wait -1
	s_and_saveexec_b32 s14, s0
	s_cbranch_execz .LBB137_164
; %bb.163:
	v_and_b32_e32 v1, 0xff, v1
	s_delay_alu instid0(VALU_DEP_1) | instskip(SKIP_1) | instid1(VALU_DEP_1)
	v_cmp_eq_u16_e64 s0, 0, v1
	v_add_nc_u32_e32 v4, -1, v0
	v_lshrrev_b32_e32 v5, 1, v4
	s_delay_alu instid0(VALU_DEP_1) | instskip(NEXT) | instid1(VALU_DEP_1)
	v_and_b32_e32 v5, 0x7ffffff0, v5
	v_lshl_add_u32 v4, v4, 4, v5
	ds_load_b64 v[4:5], v4
	;;#ASMSTART
	;;#ASMEND
	s_wait_dscnt 0x0
	v_max_i64 v[4:5], v[2:3], v[4:5]
	s_delay_alu instid0(VALU_DEP_1) | instskip(NEXT) | instid1(VALU_DEP_1)
	v_dual_cndmask_b32 v3, v3, v5, s0 :: v_dual_cndmask_b32 v2, v2, v4, s0
	v_max_i64 v[4:5], v[6:7], v[2:3]
	s_delay_alu instid0(VALU_DEP_1) | instskip(NEXT) | instid1(VALU_DEP_1)
	v_dual_cndmask_b32 v35, v7, v5, s1 :: v_dual_cndmask_b32 v34, v6, v4, s1
	;; [unrolled: 3-line block ×13, first 2 shown]
	v_max_i64 v[4:5], v[8:9], v[56:57]
	s_delay_alu instid0(VALU_DEP_1)
	v_dual_cndmask_b32 v59, v9, v5, s13 :: v_dual_cndmask_b32 v58, v8, v4, s13
.LBB137_164:
	s_or_b32 exec_lo, exec_lo, s14
	s_and_saveexec_b32 s0, vcc_lo
	s_cbranch_execz .LBB137_166
; %bb.165:
	v_dual_mov_b32 v1, 0 :: v_dual_mov_b32 v7, 2
	ds_load_b64 v[4:5], v1 offset:4192
	ds_load_u8 v6, v1 offset:4200
	s_wait_dscnt 0x1
	global_store_b64 v1, v[4:5], s[38:39] offset:512
	s_wait_dscnt 0x0
	global_store_b8 v1, v6, s[38:39] offset:520
	global_wb scope:SCOPE_DEV
	s_wait_storecnt 0x0
	global_inv scope:SCOPE_DEV
	s_wait_xcnt 0x0
	global_store_b8 v1, v7, s[40:41] offset:32 scope:SCOPE_DEV
.LBB137_166:
	s_wait_xcnt 0x0
	s_or_b32 exec_lo, exec_lo, s0
	v_mov_b64_e32 v[32:33], v[2:3]
.LBB137_167:
	s_sub_nc_u64 s[2:3], 0, s[22:23]
	s_sub_nc_u64 s[0:1], 0, s[30:31]
	s_lshl_b64 s[2:3], s[2:3], 3
	s_lshl_b64 s[0:1], s[0:1], 3
	s_add_nc_u64 s[2:3], s[26:27], s[2:3]
	s_and_b32 vcc_lo, exec_lo, s33
	s_add_nc_u64 s[0:1], s[2:3], s[0:1]
	s_cbranch_vccz .LBB137_215
; %bb.168:
	v_mul_u32_u24_e32 v1, 14, v0
	s_add_co_i32 s24, s24, s42
	s_mov_b32 s2, exec_lo
	s_delay_alu instid0(VALU_DEP_1)
	v_cmpx_gt_u32_e64 s24, v1
	s_cbranch_execz .LBB137_188
; %bb.169:
	v_or_b32_e32 v2, 1, v1
	s_mov_b32 s3, exec_lo
	s_delay_alu instid0(VALU_DEP_1)
	v_cmpx_gt_u32_e64 s24, v2
	s_cbranch_execz .LBB137_187
; %bb.170:
	v_add_nc_u32_e32 v2, 2, v1
	s_mov_b32 s4, exec_lo
	s_delay_alu instid0(VALU_DEP_1)
	v_cmpx_gt_u32_e64 s24, v2
	s_cbranch_execz .LBB137_186
; %bb.171:
	v_add_nc_u32_e32 v2, 3, v1
	;; [unrolled: 6-line block ×8, first 2 shown]
	s_mov_b32 s11, exec_lo
	s_delay_alu instid0(VALU_DEP_1)
	v_cmpx_gt_u32_e64 s24, v2
; %bb.178:
	v_add_nc_u32_e32 v2, 10, v1
	s_mov_b32 s12, exec_lo
	s_delay_alu instid0(VALU_DEP_1)
	v_cmpx_gt_u32_e64 s24, v2
	s_or_b32 exec_lo, exec_lo, s12
; %bb.179:
	s_delay_alu instid0(SALU_CYCLE_1)
	s_or_b32 exec_lo, exec_lo, s11
.LBB137_180:
	s_delay_alu instid0(SALU_CYCLE_1)
	s_or_b32 exec_lo, exec_lo, s10
.LBB137_181:
	s_delay_alu instid0(SALU_CYCLE_1)
	s_or_b32 exec_lo, exec_lo, s9
.LBB137_182:
	s_delay_alu instid0(SALU_CYCLE_1)
	s_or_b32 exec_lo, exec_lo, s8
.LBB137_183:
	s_delay_alu instid0(SALU_CYCLE_1)
	s_or_b32 exec_lo, exec_lo, s7
.LBB137_184:
	s_delay_alu instid0(SALU_CYCLE_1)
	s_or_b32 exec_lo, exec_lo, s6
.LBB137_185:
	s_delay_alu instid0(SALU_CYCLE_1)
	s_or_b32 exec_lo, exec_lo, s5
.LBB137_186:
	s_delay_alu instid0(SALU_CYCLE_1)
	s_or_b32 exec_lo, exec_lo, s4
.LBB137_187:
	s_delay_alu instid0(SALU_CYCLE_1)
	s_or_b32 exec_lo, exec_lo, s3
.LBB137_188:
	s_delay_alu instid0(SALU_CYCLE_1)
	s_or_b32 exec_lo, exec_lo, s2
	v_lshlrev_b32_e32 v30, 3, v1
	s_wait_loadcnt 0x0
	s_wait_storecnt 0x0
	s_barrier_signal -1
	s_barrier_wait -1
	v_mad_i32_i24 v1, 0xffffff98, v0, v30
	ds_store_b128 v30, v[32:35]
	ds_store_b128 v30, v[36:39] offset:16
	ds_store_b128 v30, v[40:43] offset:32
	;; [unrolled: 1-line block ×6, first 2 shown]
	s_wait_dscnt 0x0
	s_barrier_signal -1
	s_barrier_wait -1
	ds_load_2addr_stride64_b64 v[26:29], v1 offset0:4 offset1:8
	ds_load_2addr_stride64_b64 v[22:25], v1 offset0:12 offset1:16
	;; [unrolled: 1-line block ×6, first 2 shown]
	ds_load_b64 v[4:5], v1 offset:26624
	v_mov_b32_e32 v1, 0
	s_mov_b32 s2, exec_lo
	s_delay_alu instid0(VALU_DEP_1) | instskip(NEXT) | instid1(VALU_DEP_1)
	v_mov_b32_e32 v63, v1
	v_sub_nc_u64_e32 v[2:3], s[0:1], v[62:63]
	v_cmpx_gt_u32_e64 s24, v0
	s_cbranch_execz .LBB137_190
; %bb.189:
	v_mul_i32_i24_e32 v31, 0xffffff98, v0
	s_delay_alu instid0(VALU_DEP_1)
	v_add_nc_u32_e32 v30, v30, v31
	ds_load_b64 v[30:31], v30
	s_wait_dscnt 0x0
	flat_store_b64 v[2:3], v[30:31] offset:-8
.LBB137_190:
	s_wait_xcnt 0x0
	s_or_b32 exec_lo, exec_lo, s2
	v_or_b32_e32 v30, 0x100, v0
	s_mov_b32 s2, exec_lo
	s_delay_alu instid0(VALU_DEP_1)
	v_cmpx_gt_u32_e64 s24, v30
	s_cbranch_execz .LBB137_192
; %bb.191:
	s_wait_dscnt 0x6
	flat_store_b64 v[2:3], v[26:27] offset:-2056
.LBB137_192:
	s_wait_xcnt 0x0
	s_or_b32 exec_lo, exec_lo, s2
	s_wait_dscnt 0x6
	v_or_b32_e32 v26, 0x200, v0
	s_mov_b32 s2, exec_lo
	s_delay_alu instid0(VALU_DEP_1)
	v_cmpx_gt_u32_e64 s24, v26
	s_cbranch_execz .LBB137_194
; %bb.193:
	flat_store_b64 v[2:3], v[28:29] offset:-4104
.LBB137_194:
	s_wait_xcnt 0x0
	s_or_b32 exec_lo, exec_lo, s2
	v_or_b32_e32 v26, 0x300, v0
	s_mov_b32 s2, exec_lo
	s_delay_alu instid0(VALU_DEP_1)
	v_cmpx_gt_u32_e64 s24, v26
	s_cbranch_execz .LBB137_196
; %bb.195:
	s_wait_dscnt 0x5
	flat_store_b64 v[2:3], v[22:23] offset:-6152
.LBB137_196:
	s_wait_xcnt 0x0
	s_or_b32 exec_lo, exec_lo, s2
	s_wait_dscnt 0x5
	v_or_b32_e32 v22, 0x400, v0
	s_mov_b32 s2, exec_lo
	s_delay_alu instid0(VALU_DEP_1)
	v_cmpx_gt_u32_e64 s24, v22
	s_cbranch_execz .LBB137_198
; %bb.197:
	flat_store_b64 v[2:3], v[24:25] offset:-8200
.LBB137_198:
	;; [unrolled: 22-line block ×6, first 2 shown]
	s_wait_xcnt 0x0
	s_or_b32 exec_lo, exec_lo, s2
	v_or_b32_e32 v2, 0xd00, v0
	v_sub_nc_u64_e32 v[6:7], 0, v[0:1]
	s_delay_alu instid0(VALU_DEP_2)
	v_cmp_gt_u32_e64 s2, s24, v2
	s_branch .LBB137_217
.LBB137_215:
	s_mov_b32 s2, 0
                                        ; implicit-def: $vgpr4_vgpr5
                                        ; implicit-def: $vgpr6_vgpr7
	s_cbranch_execz .LBB137_217
; %bb.216:
	v_mul_i32_i24_e32 v2, 0xffffff98, v0
	v_mul_u32_u24_e32 v1, 0x70, v0
	s_wait_storecnt 0x0
	s_wait_loadcnt_dscnt 0x0
	s_barrier_signal -1
	s_barrier_wait -1
	v_mad_u32_u24 v2, 0x70, v0, v2
	ds_store_b128 v1, v[32:35]
	ds_store_b128 v1, v[36:39] offset:16
	ds_store_b128 v1, v[40:43] offset:32
	;; [unrolled: 1-line block ×6, first 2 shown]
	s_wait_dscnt 0x0
	s_barrier_signal -1
	s_barrier_wait -1
	ds_load_2addr_stride64_b64 v[8:11], v2 offset1:4
	ds_load_2addr_stride64_b64 v[12:15], v2 offset0:8 offset1:12
	ds_load_2addr_stride64_b64 v[16:19], v2 offset0:16 offset1:20
	;; [unrolled: 1-line block ×6, first 2 shown]
	v_mov_b32_e32 v1, 0
	s_or_b32 s2, s2, exec_lo
	s_delay_alu instid0(VALU_DEP_1) | instskip(SKIP_1) | instid1(VALU_DEP_2)
	v_mov_b32_e32 v63, v1
	v_sub_nc_u64_e32 v[6:7], 0, v[0:1]
	v_sub_nc_u64_e32 v[32:33], s[0:1], v[62:63]
	s_wait_dscnt 0x6
	s_clause 0x1
	flat_store_b64 v[32:33], v[8:9] offset:-8
	flat_store_b64 v[32:33], v[10:11] offset:-2056
	s_wait_dscnt 0x7
	s_clause 0x1
	flat_store_b64 v[32:33], v[12:13] offset:-4104
	flat_store_b64 v[32:33], v[14:15] offset:-6152
	;; [unrolled: 4-line block ×6, first 2 shown]
	s_wait_dscnt 0xc
	flat_store_b64 v[32:33], v[2:3] offset:-24584
.LBB137_217:
	s_wait_xcnt 0x0
	s_delay_alu instid0(VALU_DEP_1)
	s_and_saveexec_b32 s3, s2
	s_cbranch_execz .LBB137_219
; %bb.218:
	s_delay_alu instid0(VALU_DEP_2)
	v_lshl_add_u64 v[0:1], v[6:7], 3, s[0:1]
	s_wait_dscnt 0x0
	flat_store_b64 v[0:1], v[4:5] offset:-26632
	s_sendmsg sendmsg(MSG_DEALLOC_VGPRS)
	s_endpgm
.LBB137_219:
	s_sendmsg sendmsg(MSG_DEALLOC_VGPRS)
	s_endpgm
	.section	.rodata,"a",@progbits
	.p2align	6, 0x0
	.amdhsa_kernel _ZN7rocprim17ROCPRIM_400000_NS6detail17trampoline_kernelINS0_14default_configENS1_27scan_by_key_config_selectorIllEEZZNS1_16scan_by_key_implILNS1_25lookback_scan_determinismE0ELb0ES3_N6thrust23THRUST_200600_302600_NS16reverse_iteratorIPKlEESD_NSA_IPlEElN6hipcub16HIPCUB_304000_NS3MaxENSH_8EqualityElEE10hipError_tPvRmT2_T3_T4_T5_mT6_T7_P12ihipStream_tbENKUlT_T0_E_clISt17integral_constantIbLb0EES10_EEDaSV_SW_EUlSV_E_NS1_11comp_targetILNS1_3genE0ELNS1_11target_archE4294967295ELNS1_3gpuE0ELNS1_3repE0EEENS1_30default_config_static_selectorELNS0_4arch9wavefront6targetE0EEEvT1_
		.amdhsa_group_segment_fixed_size 32768
		.amdhsa_private_segment_fixed_size 0
		.amdhsa_kernarg_size 136
		.amdhsa_user_sgpr_count 2
		.amdhsa_user_sgpr_dispatch_ptr 0
		.amdhsa_user_sgpr_queue_ptr 0
		.amdhsa_user_sgpr_kernarg_segment_ptr 1
		.amdhsa_user_sgpr_dispatch_id 0
		.amdhsa_user_sgpr_kernarg_preload_length 0
		.amdhsa_user_sgpr_kernarg_preload_offset 0
		.amdhsa_user_sgpr_private_segment_size 0
		.amdhsa_wavefront_size32 1
		.amdhsa_uses_dynamic_stack 0
		.amdhsa_enable_private_segment 0
		.amdhsa_system_sgpr_workgroup_id_x 1
		.amdhsa_system_sgpr_workgroup_id_y 0
		.amdhsa_system_sgpr_workgroup_id_z 0
		.amdhsa_system_sgpr_workgroup_info 0
		.amdhsa_system_vgpr_workitem_id 0
		.amdhsa_next_free_vgpr 108
		.amdhsa_next_free_sgpr 61
		.amdhsa_named_barrier_count 0
		.amdhsa_reserve_vcc 1
		.amdhsa_float_round_mode_32 0
		.amdhsa_float_round_mode_16_64 0
		.amdhsa_float_denorm_mode_32 3
		.amdhsa_float_denorm_mode_16_64 3
		.amdhsa_fp16_overflow 0
		.amdhsa_memory_ordered 1
		.amdhsa_forward_progress 1
		.amdhsa_inst_pref_size 130
		.amdhsa_round_robin_scheduling 0
		.amdhsa_exception_fp_ieee_invalid_op 0
		.amdhsa_exception_fp_denorm_src 0
		.amdhsa_exception_fp_ieee_div_zero 0
		.amdhsa_exception_fp_ieee_overflow 0
		.amdhsa_exception_fp_ieee_underflow 0
		.amdhsa_exception_fp_ieee_inexact 0
		.amdhsa_exception_int_div_zero 0
	.end_amdhsa_kernel
	.section	.text._ZN7rocprim17ROCPRIM_400000_NS6detail17trampoline_kernelINS0_14default_configENS1_27scan_by_key_config_selectorIllEEZZNS1_16scan_by_key_implILNS1_25lookback_scan_determinismE0ELb0ES3_N6thrust23THRUST_200600_302600_NS16reverse_iteratorIPKlEESD_NSA_IPlEElN6hipcub16HIPCUB_304000_NS3MaxENSH_8EqualityElEE10hipError_tPvRmT2_T3_T4_T5_mT6_T7_P12ihipStream_tbENKUlT_T0_E_clISt17integral_constantIbLb0EES10_EEDaSV_SW_EUlSV_E_NS1_11comp_targetILNS1_3genE0ELNS1_11target_archE4294967295ELNS1_3gpuE0ELNS1_3repE0EEENS1_30default_config_static_selectorELNS0_4arch9wavefront6targetE0EEEvT1_,"axG",@progbits,_ZN7rocprim17ROCPRIM_400000_NS6detail17trampoline_kernelINS0_14default_configENS1_27scan_by_key_config_selectorIllEEZZNS1_16scan_by_key_implILNS1_25lookback_scan_determinismE0ELb0ES3_N6thrust23THRUST_200600_302600_NS16reverse_iteratorIPKlEESD_NSA_IPlEElN6hipcub16HIPCUB_304000_NS3MaxENSH_8EqualityElEE10hipError_tPvRmT2_T3_T4_T5_mT6_T7_P12ihipStream_tbENKUlT_T0_E_clISt17integral_constantIbLb0EES10_EEDaSV_SW_EUlSV_E_NS1_11comp_targetILNS1_3genE0ELNS1_11target_archE4294967295ELNS1_3gpuE0ELNS1_3repE0EEENS1_30default_config_static_selectorELNS0_4arch9wavefront6targetE0EEEvT1_,comdat
.Lfunc_end137:
	.size	_ZN7rocprim17ROCPRIM_400000_NS6detail17trampoline_kernelINS0_14default_configENS1_27scan_by_key_config_selectorIllEEZZNS1_16scan_by_key_implILNS1_25lookback_scan_determinismE0ELb0ES3_N6thrust23THRUST_200600_302600_NS16reverse_iteratorIPKlEESD_NSA_IPlEElN6hipcub16HIPCUB_304000_NS3MaxENSH_8EqualityElEE10hipError_tPvRmT2_T3_T4_T5_mT6_T7_P12ihipStream_tbENKUlT_T0_E_clISt17integral_constantIbLb0EES10_EEDaSV_SW_EUlSV_E_NS1_11comp_targetILNS1_3genE0ELNS1_11target_archE4294967295ELNS1_3gpuE0ELNS1_3repE0EEENS1_30default_config_static_selectorELNS0_4arch9wavefront6targetE0EEEvT1_, .Lfunc_end137-_ZN7rocprim17ROCPRIM_400000_NS6detail17trampoline_kernelINS0_14default_configENS1_27scan_by_key_config_selectorIllEEZZNS1_16scan_by_key_implILNS1_25lookback_scan_determinismE0ELb0ES3_N6thrust23THRUST_200600_302600_NS16reverse_iteratorIPKlEESD_NSA_IPlEElN6hipcub16HIPCUB_304000_NS3MaxENSH_8EqualityElEE10hipError_tPvRmT2_T3_T4_T5_mT6_T7_P12ihipStream_tbENKUlT_T0_E_clISt17integral_constantIbLb0EES10_EEDaSV_SW_EUlSV_E_NS1_11comp_targetILNS1_3genE0ELNS1_11target_archE4294967295ELNS1_3gpuE0ELNS1_3repE0EEENS1_30default_config_static_selectorELNS0_4arch9wavefront6targetE0EEEvT1_
                                        ; -- End function
	.set _ZN7rocprim17ROCPRIM_400000_NS6detail17trampoline_kernelINS0_14default_configENS1_27scan_by_key_config_selectorIllEEZZNS1_16scan_by_key_implILNS1_25lookback_scan_determinismE0ELb0ES3_N6thrust23THRUST_200600_302600_NS16reverse_iteratorIPKlEESD_NSA_IPlEElN6hipcub16HIPCUB_304000_NS3MaxENSH_8EqualityElEE10hipError_tPvRmT2_T3_T4_T5_mT6_T7_P12ihipStream_tbENKUlT_T0_E_clISt17integral_constantIbLb0EES10_EEDaSV_SW_EUlSV_E_NS1_11comp_targetILNS1_3genE0ELNS1_11target_archE4294967295ELNS1_3gpuE0ELNS1_3repE0EEENS1_30default_config_static_selectorELNS0_4arch9wavefront6targetE0EEEvT1_.num_vgpr, 108
	.set _ZN7rocprim17ROCPRIM_400000_NS6detail17trampoline_kernelINS0_14default_configENS1_27scan_by_key_config_selectorIllEEZZNS1_16scan_by_key_implILNS1_25lookback_scan_determinismE0ELb0ES3_N6thrust23THRUST_200600_302600_NS16reverse_iteratorIPKlEESD_NSA_IPlEElN6hipcub16HIPCUB_304000_NS3MaxENSH_8EqualityElEE10hipError_tPvRmT2_T3_T4_T5_mT6_T7_P12ihipStream_tbENKUlT_T0_E_clISt17integral_constantIbLb0EES10_EEDaSV_SW_EUlSV_E_NS1_11comp_targetILNS1_3genE0ELNS1_11target_archE4294967295ELNS1_3gpuE0ELNS1_3repE0EEENS1_30default_config_static_selectorELNS0_4arch9wavefront6targetE0EEEvT1_.num_agpr, 0
	.set _ZN7rocprim17ROCPRIM_400000_NS6detail17trampoline_kernelINS0_14default_configENS1_27scan_by_key_config_selectorIllEEZZNS1_16scan_by_key_implILNS1_25lookback_scan_determinismE0ELb0ES3_N6thrust23THRUST_200600_302600_NS16reverse_iteratorIPKlEESD_NSA_IPlEElN6hipcub16HIPCUB_304000_NS3MaxENSH_8EqualityElEE10hipError_tPvRmT2_T3_T4_T5_mT6_T7_P12ihipStream_tbENKUlT_T0_E_clISt17integral_constantIbLb0EES10_EEDaSV_SW_EUlSV_E_NS1_11comp_targetILNS1_3genE0ELNS1_11target_archE4294967295ELNS1_3gpuE0ELNS1_3repE0EEENS1_30default_config_static_selectorELNS0_4arch9wavefront6targetE0EEEvT1_.numbered_sgpr, 61
	.set _ZN7rocprim17ROCPRIM_400000_NS6detail17trampoline_kernelINS0_14default_configENS1_27scan_by_key_config_selectorIllEEZZNS1_16scan_by_key_implILNS1_25lookback_scan_determinismE0ELb0ES3_N6thrust23THRUST_200600_302600_NS16reverse_iteratorIPKlEESD_NSA_IPlEElN6hipcub16HIPCUB_304000_NS3MaxENSH_8EqualityElEE10hipError_tPvRmT2_T3_T4_T5_mT6_T7_P12ihipStream_tbENKUlT_T0_E_clISt17integral_constantIbLb0EES10_EEDaSV_SW_EUlSV_E_NS1_11comp_targetILNS1_3genE0ELNS1_11target_archE4294967295ELNS1_3gpuE0ELNS1_3repE0EEENS1_30default_config_static_selectorELNS0_4arch9wavefront6targetE0EEEvT1_.num_named_barrier, 0
	.set _ZN7rocprim17ROCPRIM_400000_NS6detail17trampoline_kernelINS0_14default_configENS1_27scan_by_key_config_selectorIllEEZZNS1_16scan_by_key_implILNS1_25lookback_scan_determinismE0ELb0ES3_N6thrust23THRUST_200600_302600_NS16reverse_iteratorIPKlEESD_NSA_IPlEElN6hipcub16HIPCUB_304000_NS3MaxENSH_8EqualityElEE10hipError_tPvRmT2_T3_T4_T5_mT6_T7_P12ihipStream_tbENKUlT_T0_E_clISt17integral_constantIbLb0EES10_EEDaSV_SW_EUlSV_E_NS1_11comp_targetILNS1_3genE0ELNS1_11target_archE4294967295ELNS1_3gpuE0ELNS1_3repE0EEENS1_30default_config_static_selectorELNS0_4arch9wavefront6targetE0EEEvT1_.private_seg_size, 0
	.set _ZN7rocprim17ROCPRIM_400000_NS6detail17trampoline_kernelINS0_14default_configENS1_27scan_by_key_config_selectorIllEEZZNS1_16scan_by_key_implILNS1_25lookback_scan_determinismE0ELb0ES3_N6thrust23THRUST_200600_302600_NS16reverse_iteratorIPKlEESD_NSA_IPlEElN6hipcub16HIPCUB_304000_NS3MaxENSH_8EqualityElEE10hipError_tPvRmT2_T3_T4_T5_mT6_T7_P12ihipStream_tbENKUlT_T0_E_clISt17integral_constantIbLb0EES10_EEDaSV_SW_EUlSV_E_NS1_11comp_targetILNS1_3genE0ELNS1_11target_archE4294967295ELNS1_3gpuE0ELNS1_3repE0EEENS1_30default_config_static_selectorELNS0_4arch9wavefront6targetE0EEEvT1_.uses_vcc, 1
	.set _ZN7rocprim17ROCPRIM_400000_NS6detail17trampoline_kernelINS0_14default_configENS1_27scan_by_key_config_selectorIllEEZZNS1_16scan_by_key_implILNS1_25lookback_scan_determinismE0ELb0ES3_N6thrust23THRUST_200600_302600_NS16reverse_iteratorIPKlEESD_NSA_IPlEElN6hipcub16HIPCUB_304000_NS3MaxENSH_8EqualityElEE10hipError_tPvRmT2_T3_T4_T5_mT6_T7_P12ihipStream_tbENKUlT_T0_E_clISt17integral_constantIbLb0EES10_EEDaSV_SW_EUlSV_E_NS1_11comp_targetILNS1_3genE0ELNS1_11target_archE4294967295ELNS1_3gpuE0ELNS1_3repE0EEENS1_30default_config_static_selectorELNS0_4arch9wavefront6targetE0EEEvT1_.uses_flat_scratch, 1
	.set _ZN7rocprim17ROCPRIM_400000_NS6detail17trampoline_kernelINS0_14default_configENS1_27scan_by_key_config_selectorIllEEZZNS1_16scan_by_key_implILNS1_25lookback_scan_determinismE0ELb0ES3_N6thrust23THRUST_200600_302600_NS16reverse_iteratorIPKlEESD_NSA_IPlEElN6hipcub16HIPCUB_304000_NS3MaxENSH_8EqualityElEE10hipError_tPvRmT2_T3_T4_T5_mT6_T7_P12ihipStream_tbENKUlT_T0_E_clISt17integral_constantIbLb0EES10_EEDaSV_SW_EUlSV_E_NS1_11comp_targetILNS1_3genE0ELNS1_11target_archE4294967295ELNS1_3gpuE0ELNS1_3repE0EEENS1_30default_config_static_selectorELNS0_4arch9wavefront6targetE0EEEvT1_.has_dyn_sized_stack, 0
	.set _ZN7rocprim17ROCPRIM_400000_NS6detail17trampoline_kernelINS0_14default_configENS1_27scan_by_key_config_selectorIllEEZZNS1_16scan_by_key_implILNS1_25lookback_scan_determinismE0ELb0ES3_N6thrust23THRUST_200600_302600_NS16reverse_iteratorIPKlEESD_NSA_IPlEElN6hipcub16HIPCUB_304000_NS3MaxENSH_8EqualityElEE10hipError_tPvRmT2_T3_T4_T5_mT6_T7_P12ihipStream_tbENKUlT_T0_E_clISt17integral_constantIbLb0EES10_EEDaSV_SW_EUlSV_E_NS1_11comp_targetILNS1_3genE0ELNS1_11target_archE4294967295ELNS1_3gpuE0ELNS1_3repE0EEENS1_30default_config_static_selectorELNS0_4arch9wavefront6targetE0EEEvT1_.has_recursion, 0
	.set _ZN7rocprim17ROCPRIM_400000_NS6detail17trampoline_kernelINS0_14default_configENS1_27scan_by_key_config_selectorIllEEZZNS1_16scan_by_key_implILNS1_25lookback_scan_determinismE0ELb0ES3_N6thrust23THRUST_200600_302600_NS16reverse_iteratorIPKlEESD_NSA_IPlEElN6hipcub16HIPCUB_304000_NS3MaxENSH_8EqualityElEE10hipError_tPvRmT2_T3_T4_T5_mT6_T7_P12ihipStream_tbENKUlT_T0_E_clISt17integral_constantIbLb0EES10_EEDaSV_SW_EUlSV_E_NS1_11comp_targetILNS1_3genE0ELNS1_11target_archE4294967295ELNS1_3gpuE0ELNS1_3repE0EEENS1_30default_config_static_selectorELNS0_4arch9wavefront6targetE0EEEvT1_.has_indirect_call, 0
	.section	.AMDGPU.csdata,"",@progbits
; Kernel info:
; codeLenInByte = 16608
; TotalNumSgprs: 63
; NumVgprs: 108
; ScratchSize: 0
; MemoryBound: 0
; FloatMode: 240
; IeeeMode: 1
; LDSByteSize: 32768 bytes/workgroup (compile time only)
; SGPRBlocks: 0
; VGPRBlocks: 6
; NumSGPRsForWavesPerEU: 63
; NumVGPRsForWavesPerEU: 108
; NamedBarCnt: 0
; Occupancy: 9
; WaveLimiterHint : 1
; COMPUTE_PGM_RSRC2:SCRATCH_EN: 0
; COMPUTE_PGM_RSRC2:USER_SGPR: 2
; COMPUTE_PGM_RSRC2:TRAP_HANDLER: 0
; COMPUTE_PGM_RSRC2:TGID_X_EN: 1
; COMPUTE_PGM_RSRC2:TGID_Y_EN: 0
; COMPUTE_PGM_RSRC2:TGID_Z_EN: 0
; COMPUTE_PGM_RSRC2:TIDIG_COMP_CNT: 0
	.section	.text._ZN7rocprim17ROCPRIM_400000_NS6detail17trampoline_kernelINS0_14default_configENS1_27scan_by_key_config_selectorIllEEZZNS1_16scan_by_key_implILNS1_25lookback_scan_determinismE0ELb0ES3_N6thrust23THRUST_200600_302600_NS16reverse_iteratorIPKlEESD_NSA_IPlEElN6hipcub16HIPCUB_304000_NS3MaxENSH_8EqualityElEE10hipError_tPvRmT2_T3_T4_T5_mT6_T7_P12ihipStream_tbENKUlT_T0_E_clISt17integral_constantIbLb0EES10_EEDaSV_SW_EUlSV_E_NS1_11comp_targetILNS1_3genE10ELNS1_11target_archE1201ELNS1_3gpuE5ELNS1_3repE0EEENS1_30default_config_static_selectorELNS0_4arch9wavefront6targetE0EEEvT1_,"axG",@progbits,_ZN7rocprim17ROCPRIM_400000_NS6detail17trampoline_kernelINS0_14default_configENS1_27scan_by_key_config_selectorIllEEZZNS1_16scan_by_key_implILNS1_25lookback_scan_determinismE0ELb0ES3_N6thrust23THRUST_200600_302600_NS16reverse_iteratorIPKlEESD_NSA_IPlEElN6hipcub16HIPCUB_304000_NS3MaxENSH_8EqualityElEE10hipError_tPvRmT2_T3_T4_T5_mT6_T7_P12ihipStream_tbENKUlT_T0_E_clISt17integral_constantIbLb0EES10_EEDaSV_SW_EUlSV_E_NS1_11comp_targetILNS1_3genE10ELNS1_11target_archE1201ELNS1_3gpuE5ELNS1_3repE0EEENS1_30default_config_static_selectorELNS0_4arch9wavefront6targetE0EEEvT1_,comdat
	.protected	_ZN7rocprim17ROCPRIM_400000_NS6detail17trampoline_kernelINS0_14default_configENS1_27scan_by_key_config_selectorIllEEZZNS1_16scan_by_key_implILNS1_25lookback_scan_determinismE0ELb0ES3_N6thrust23THRUST_200600_302600_NS16reverse_iteratorIPKlEESD_NSA_IPlEElN6hipcub16HIPCUB_304000_NS3MaxENSH_8EqualityElEE10hipError_tPvRmT2_T3_T4_T5_mT6_T7_P12ihipStream_tbENKUlT_T0_E_clISt17integral_constantIbLb0EES10_EEDaSV_SW_EUlSV_E_NS1_11comp_targetILNS1_3genE10ELNS1_11target_archE1201ELNS1_3gpuE5ELNS1_3repE0EEENS1_30default_config_static_selectorELNS0_4arch9wavefront6targetE0EEEvT1_ ; -- Begin function _ZN7rocprim17ROCPRIM_400000_NS6detail17trampoline_kernelINS0_14default_configENS1_27scan_by_key_config_selectorIllEEZZNS1_16scan_by_key_implILNS1_25lookback_scan_determinismE0ELb0ES3_N6thrust23THRUST_200600_302600_NS16reverse_iteratorIPKlEESD_NSA_IPlEElN6hipcub16HIPCUB_304000_NS3MaxENSH_8EqualityElEE10hipError_tPvRmT2_T3_T4_T5_mT6_T7_P12ihipStream_tbENKUlT_T0_E_clISt17integral_constantIbLb0EES10_EEDaSV_SW_EUlSV_E_NS1_11comp_targetILNS1_3genE10ELNS1_11target_archE1201ELNS1_3gpuE5ELNS1_3repE0EEENS1_30default_config_static_selectorELNS0_4arch9wavefront6targetE0EEEvT1_
	.globl	_ZN7rocprim17ROCPRIM_400000_NS6detail17trampoline_kernelINS0_14default_configENS1_27scan_by_key_config_selectorIllEEZZNS1_16scan_by_key_implILNS1_25lookback_scan_determinismE0ELb0ES3_N6thrust23THRUST_200600_302600_NS16reverse_iteratorIPKlEESD_NSA_IPlEElN6hipcub16HIPCUB_304000_NS3MaxENSH_8EqualityElEE10hipError_tPvRmT2_T3_T4_T5_mT6_T7_P12ihipStream_tbENKUlT_T0_E_clISt17integral_constantIbLb0EES10_EEDaSV_SW_EUlSV_E_NS1_11comp_targetILNS1_3genE10ELNS1_11target_archE1201ELNS1_3gpuE5ELNS1_3repE0EEENS1_30default_config_static_selectorELNS0_4arch9wavefront6targetE0EEEvT1_
	.p2align	8
	.type	_ZN7rocprim17ROCPRIM_400000_NS6detail17trampoline_kernelINS0_14default_configENS1_27scan_by_key_config_selectorIllEEZZNS1_16scan_by_key_implILNS1_25lookback_scan_determinismE0ELb0ES3_N6thrust23THRUST_200600_302600_NS16reverse_iteratorIPKlEESD_NSA_IPlEElN6hipcub16HIPCUB_304000_NS3MaxENSH_8EqualityElEE10hipError_tPvRmT2_T3_T4_T5_mT6_T7_P12ihipStream_tbENKUlT_T0_E_clISt17integral_constantIbLb0EES10_EEDaSV_SW_EUlSV_E_NS1_11comp_targetILNS1_3genE10ELNS1_11target_archE1201ELNS1_3gpuE5ELNS1_3repE0EEENS1_30default_config_static_selectorELNS0_4arch9wavefront6targetE0EEEvT1_,@function
_ZN7rocprim17ROCPRIM_400000_NS6detail17trampoline_kernelINS0_14default_configENS1_27scan_by_key_config_selectorIllEEZZNS1_16scan_by_key_implILNS1_25lookback_scan_determinismE0ELb0ES3_N6thrust23THRUST_200600_302600_NS16reverse_iteratorIPKlEESD_NSA_IPlEElN6hipcub16HIPCUB_304000_NS3MaxENSH_8EqualityElEE10hipError_tPvRmT2_T3_T4_T5_mT6_T7_P12ihipStream_tbENKUlT_T0_E_clISt17integral_constantIbLb0EES10_EEDaSV_SW_EUlSV_E_NS1_11comp_targetILNS1_3genE10ELNS1_11target_archE1201ELNS1_3gpuE5ELNS1_3repE0EEENS1_30default_config_static_selectorELNS0_4arch9wavefront6targetE0EEEvT1_: ; @_ZN7rocprim17ROCPRIM_400000_NS6detail17trampoline_kernelINS0_14default_configENS1_27scan_by_key_config_selectorIllEEZZNS1_16scan_by_key_implILNS1_25lookback_scan_determinismE0ELb0ES3_N6thrust23THRUST_200600_302600_NS16reverse_iteratorIPKlEESD_NSA_IPlEElN6hipcub16HIPCUB_304000_NS3MaxENSH_8EqualityElEE10hipError_tPvRmT2_T3_T4_T5_mT6_T7_P12ihipStream_tbENKUlT_T0_E_clISt17integral_constantIbLb0EES10_EEDaSV_SW_EUlSV_E_NS1_11comp_targetILNS1_3genE10ELNS1_11target_archE1201ELNS1_3gpuE5ELNS1_3repE0EEENS1_30default_config_static_selectorELNS0_4arch9wavefront6targetE0EEEvT1_
; %bb.0:
	.section	.rodata,"a",@progbits
	.p2align	6, 0x0
	.amdhsa_kernel _ZN7rocprim17ROCPRIM_400000_NS6detail17trampoline_kernelINS0_14default_configENS1_27scan_by_key_config_selectorIllEEZZNS1_16scan_by_key_implILNS1_25lookback_scan_determinismE0ELb0ES3_N6thrust23THRUST_200600_302600_NS16reverse_iteratorIPKlEESD_NSA_IPlEElN6hipcub16HIPCUB_304000_NS3MaxENSH_8EqualityElEE10hipError_tPvRmT2_T3_T4_T5_mT6_T7_P12ihipStream_tbENKUlT_T0_E_clISt17integral_constantIbLb0EES10_EEDaSV_SW_EUlSV_E_NS1_11comp_targetILNS1_3genE10ELNS1_11target_archE1201ELNS1_3gpuE5ELNS1_3repE0EEENS1_30default_config_static_selectorELNS0_4arch9wavefront6targetE0EEEvT1_
		.amdhsa_group_segment_fixed_size 0
		.amdhsa_private_segment_fixed_size 0
		.amdhsa_kernarg_size 136
		.amdhsa_user_sgpr_count 2
		.amdhsa_user_sgpr_dispatch_ptr 0
		.amdhsa_user_sgpr_queue_ptr 0
		.amdhsa_user_sgpr_kernarg_segment_ptr 1
		.amdhsa_user_sgpr_dispatch_id 0
		.amdhsa_user_sgpr_kernarg_preload_length 0
		.amdhsa_user_sgpr_kernarg_preload_offset 0
		.amdhsa_user_sgpr_private_segment_size 0
		.amdhsa_wavefront_size32 1
		.amdhsa_uses_dynamic_stack 0
		.amdhsa_enable_private_segment 0
		.amdhsa_system_sgpr_workgroup_id_x 1
		.amdhsa_system_sgpr_workgroup_id_y 0
		.amdhsa_system_sgpr_workgroup_id_z 0
		.amdhsa_system_sgpr_workgroup_info 0
		.amdhsa_system_vgpr_workitem_id 0
		.amdhsa_next_free_vgpr 1
		.amdhsa_next_free_sgpr 1
		.amdhsa_named_barrier_count 0
		.amdhsa_reserve_vcc 0
		.amdhsa_float_round_mode_32 0
		.amdhsa_float_round_mode_16_64 0
		.amdhsa_float_denorm_mode_32 3
		.amdhsa_float_denorm_mode_16_64 3
		.amdhsa_fp16_overflow 0
		.amdhsa_memory_ordered 1
		.amdhsa_forward_progress 1
		.amdhsa_inst_pref_size 0
		.amdhsa_round_robin_scheduling 0
		.amdhsa_exception_fp_ieee_invalid_op 0
		.amdhsa_exception_fp_denorm_src 0
		.amdhsa_exception_fp_ieee_div_zero 0
		.amdhsa_exception_fp_ieee_overflow 0
		.amdhsa_exception_fp_ieee_underflow 0
		.amdhsa_exception_fp_ieee_inexact 0
		.amdhsa_exception_int_div_zero 0
	.end_amdhsa_kernel
	.section	.text._ZN7rocprim17ROCPRIM_400000_NS6detail17trampoline_kernelINS0_14default_configENS1_27scan_by_key_config_selectorIllEEZZNS1_16scan_by_key_implILNS1_25lookback_scan_determinismE0ELb0ES3_N6thrust23THRUST_200600_302600_NS16reverse_iteratorIPKlEESD_NSA_IPlEElN6hipcub16HIPCUB_304000_NS3MaxENSH_8EqualityElEE10hipError_tPvRmT2_T3_T4_T5_mT6_T7_P12ihipStream_tbENKUlT_T0_E_clISt17integral_constantIbLb0EES10_EEDaSV_SW_EUlSV_E_NS1_11comp_targetILNS1_3genE10ELNS1_11target_archE1201ELNS1_3gpuE5ELNS1_3repE0EEENS1_30default_config_static_selectorELNS0_4arch9wavefront6targetE0EEEvT1_,"axG",@progbits,_ZN7rocprim17ROCPRIM_400000_NS6detail17trampoline_kernelINS0_14default_configENS1_27scan_by_key_config_selectorIllEEZZNS1_16scan_by_key_implILNS1_25lookback_scan_determinismE0ELb0ES3_N6thrust23THRUST_200600_302600_NS16reverse_iteratorIPKlEESD_NSA_IPlEElN6hipcub16HIPCUB_304000_NS3MaxENSH_8EqualityElEE10hipError_tPvRmT2_T3_T4_T5_mT6_T7_P12ihipStream_tbENKUlT_T0_E_clISt17integral_constantIbLb0EES10_EEDaSV_SW_EUlSV_E_NS1_11comp_targetILNS1_3genE10ELNS1_11target_archE1201ELNS1_3gpuE5ELNS1_3repE0EEENS1_30default_config_static_selectorELNS0_4arch9wavefront6targetE0EEEvT1_,comdat
.Lfunc_end138:
	.size	_ZN7rocprim17ROCPRIM_400000_NS6detail17trampoline_kernelINS0_14default_configENS1_27scan_by_key_config_selectorIllEEZZNS1_16scan_by_key_implILNS1_25lookback_scan_determinismE0ELb0ES3_N6thrust23THRUST_200600_302600_NS16reverse_iteratorIPKlEESD_NSA_IPlEElN6hipcub16HIPCUB_304000_NS3MaxENSH_8EqualityElEE10hipError_tPvRmT2_T3_T4_T5_mT6_T7_P12ihipStream_tbENKUlT_T0_E_clISt17integral_constantIbLb0EES10_EEDaSV_SW_EUlSV_E_NS1_11comp_targetILNS1_3genE10ELNS1_11target_archE1201ELNS1_3gpuE5ELNS1_3repE0EEENS1_30default_config_static_selectorELNS0_4arch9wavefront6targetE0EEEvT1_, .Lfunc_end138-_ZN7rocprim17ROCPRIM_400000_NS6detail17trampoline_kernelINS0_14default_configENS1_27scan_by_key_config_selectorIllEEZZNS1_16scan_by_key_implILNS1_25lookback_scan_determinismE0ELb0ES3_N6thrust23THRUST_200600_302600_NS16reverse_iteratorIPKlEESD_NSA_IPlEElN6hipcub16HIPCUB_304000_NS3MaxENSH_8EqualityElEE10hipError_tPvRmT2_T3_T4_T5_mT6_T7_P12ihipStream_tbENKUlT_T0_E_clISt17integral_constantIbLb0EES10_EEDaSV_SW_EUlSV_E_NS1_11comp_targetILNS1_3genE10ELNS1_11target_archE1201ELNS1_3gpuE5ELNS1_3repE0EEENS1_30default_config_static_selectorELNS0_4arch9wavefront6targetE0EEEvT1_
                                        ; -- End function
	.set _ZN7rocprim17ROCPRIM_400000_NS6detail17trampoline_kernelINS0_14default_configENS1_27scan_by_key_config_selectorIllEEZZNS1_16scan_by_key_implILNS1_25lookback_scan_determinismE0ELb0ES3_N6thrust23THRUST_200600_302600_NS16reverse_iteratorIPKlEESD_NSA_IPlEElN6hipcub16HIPCUB_304000_NS3MaxENSH_8EqualityElEE10hipError_tPvRmT2_T3_T4_T5_mT6_T7_P12ihipStream_tbENKUlT_T0_E_clISt17integral_constantIbLb0EES10_EEDaSV_SW_EUlSV_E_NS1_11comp_targetILNS1_3genE10ELNS1_11target_archE1201ELNS1_3gpuE5ELNS1_3repE0EEENS1_30default_config_static_selectorELNS0_4arch9wavefront6targetE0EEEvT1_.num_vgpr, 0
	.set _ZN7rocprim17ROCPRIM_400000_NS6detail17trampoline_kernelINS0_14default_configENS1_27scan_by_key_config_selectorIllEEZZNS1_16scan_by_key_implILNS1_25lookback_scan_determinismE0ELb0ES3_N6thrust23THRUST_200600_302600_NS16reverse_iteratorIPKlEESD_NSA_IPlEElN6hipcub16HIPCUB_304000_NS3MaxENSH_8EqualityElEE10hipError_tPvRmT2_T3_T4_T5_mT6_T7_P12ihipStream_tbENKUlT_T0_E_clISt17integral_constantIbLb0EES10_EEDaSV_SW_EUlSV_E_NS1_11comp_targetILNS1_3genE10ELNS1_11target_archE1201ELNS1_3gpuE5ELNS1_3repE0EEENS1_30default_config_static_selectorELNS0_4arch9wavefront6targetE0EEEvT1_.num_agpr, 0
	.set _ZN7rocprim17ROCPRIM_400000_NS6detail17trampoline_kernelINS0_14default_configENS1_27scan_by_key_config_selectorIllEEZZNS1_16scan_by_key_implILNS1_25lookback_scan_determinismE0ELb0ES3_N6thrust23THRUST_200600_302600_NS16reverse_iteratorIPKlEESD_NSA_IPlEElN6hipcub16HIPCUB_304000_NS3MaxENSH_8EqualityElEE10hipError_tPvRmT2_T3_T4_T5_mT6_T7_P12ihipStream_tbENKUlT_T0_E_clISt17integral_constantIbLb0EES10_EEDaSV_SW_EUlSV_E_NS1_11comp_targetILNS1_3genE10ELNS1_11target_archE1201ELNS1_3gpuE5ELNS1_3repE0EEENS1_30default_config_static_selectorELNS0_4arch9wavefront6targetE0EEEvT1_.numbered_sgpr, 0
	.set _ZN7rocprim17ROCPRIM_400000_NS6detail17trampoline_kernelINS0_14default_configENS1_27scan_by_key_config_selectorIllEEZZNS1_16scan_by_key_implILNS1_25lookback_scan_determinismE0ELb0ES3_N6thrust23THRUST_200600_302600_NS16reverse_iteratorIPKlEESD_NSA_IPlEElN6hipcub16HIPCUB_304000_NS3MaxENSH_8EqualityElEE10hipError_tPvRmT2_T3_T4_T5_mT6_T7_P12ihipStream_tbENKUlT_T0_E_clISt17integral_constantIbLb0EES10_EEDaSV_SW_EUlSV_E_NS1_11comp_targetILNS1_3genE10ELNS1_11target_archE1201ELNS1_3gpuE5ELNS1_3repE0EEENS1_30default_config_static_selectorELNS0_4arch9wavefront6targetE0EEEvT1_.num_named_barrier, 0
	.set _ZN7rocprim17ROCPRIM_400000_NS6detail17trampoline_kernelINS0_14default_configENS1_27scan_by_key_config_selectorIllEEZZNS1_16scan_by_key_implILNS1_25lookback_scan_determinismE0ELb0ES3_N6thrust23THRUST_200600_302600_NS16reverse_iteratorIPKlEESD_NSA_IPlEElN6hipcub16HIPCUB_304000_NS3MaxENSH_8EqualityElEE10hipError_tPvRmT2_T3_T4_T5_mT6_T7_P12ihipStream_tbENKUlT_T0_E_clISt17integral_constantIbLb0EES10_EEDaSV_SW_EUlSV_E_NS1_11comp_targetILNS1_3genE10ELNS1_11target_archE1201ELNS1_3gpuE5ELNS1_3repE0EEENS1_30default_config_static_selectorELNS0_4arch9wavefront6targetE0EEEvT1_.private_seg_size, 0
	.set _ZN7rocprim17ROCPRIM_400000_NS6detail17trampoline_kernelINS0_14default_configENS1_27scan_by_key_config_selectorIllEEZZNS1_16scan_by_key_implILNS1_25lookback_scan_determinismE0ELb0ES3_N6thrust23THRUST_200600_302600_NS16reverse_iteratorIPKlEESD_NSA_IPlEElN6hipcub16HIPCUB_304000_NS3MaxENSH_8EqualityElEE10hipError_tPvRmT2_T3_T4_T5_mT6_T7_P12ihipStream_tbENKUlT_T0_E_clISt17integral_constantIbLb0EES10_EEDaSV_SW_EUlSV_E_NS1_11comp_targetILNS1_3genE10ELNS1_11target_archE1201ELNS1_3gpuE5ELNS1_3repE0EEENS1_30default_config_static_selectorELNS0_4arch9wavefront6targetE0EEEvT1_.uses_vcc, 0
	.set _ZN7rocprim17ROCPRIM_400000_NS6detail17trampoline_kernelINS0_14default_configENS1_27scan_by_key_config_selectorIllEEZZNS1_16scan_by_key_implILNS1_25lookback_scan_determinismE0ELb0ES3_N6thrust23THRUST_200600_302600_NS16reverse_iteratorIPKlEESD_NSA_IPlEElN6hipcub16HIPCUB_304000_NS3MaxENSH_8EqualityElEE10hipError_tPvRmT2_T3_T4_T5_mT6_T7_P12ihipStream_tbENKUlT_T0_E_clISt17integral_constantIbLb0EES10_EEDaSV_SW_EUlSV_E_NS1_11comp_targetILNS1_3genE10ELNS1_11target_archE1201ELNS1_3gpuE5ELNS1_3repE0EEENS1_30default_config_static_selectorELNS0_4arch9wavefront6targetE0EEEvT1_.uses_flat_scratch, 0
	.set _ZN7rocprim17ROCPRIM_400000_NS6detail17trampoline_kernelINS0_14default_configENS1_27scan_by_key_config_selectorIllEEZZNS1_16scan_by_key_implILNS1_25lookback_scan_determinismE0ELb0ES3_N6thrust23THRUST_200600_302600_NS16reverse_iteratorIPKlEESD_NSA_IPlEElN6hipcub16HIPCUB_304000_NS3MaxENSH_8EqualityElEE10hipError_tPvRmT2_T3_T4_T5_mT6_T7_P12ihipStream_tbENKUlT_T0_E_clISt17integral_constantIbLb0EES10_EEDaSV_SW_EUlSV_E_NS1_11comp_targetILNS1_3genE10ELNS1_11target_archE1201ELNS1_3gpuE5ELNS1_3repE0EEENS1_30default_config_static_selectorELNS0_4arch9wavefront6targetE0EEEvT1_.has_dyn_sized_stack, 0
	.set _ZN7rocprim17ROCPRIM_400000_NS6detail17trampoline_kernelINS0_14default_configENS1_27scan_by_key_config_selectorIllEEZZNS1_16scan_by_key_implILNS1_25lookback_scan_determinismE0ELb0ES3_N6thrust23THRUST_200600_302600_NS16reverse_iteratorIPKlEESD_NSA_IPlEElN6hipcub16HIPCUB_304000_NS3MaxENSH_8EqualityElEE10hipError_tPvRmT2_T3_T4_T5_mT6_T7_P12ihipStream_tbENKUlT_T0_E_clISt17integral_constantIbLb0EES10_EEDaSV_SW_EUlSV_E_NS1_11comp_targetILNS1_3genE10ELNS1_11target_archE1201ELNS1_3gpuE5ELNS1_3repE0EEENS1_30default_config_static_selectorELNS0_4arch9wavefront6targetE0EEEvT1_.has_recursion, 0
	.set _ZN7rocprim17ROCPRIM_400000_NS6detail17trampoline_kernelINS0_14default_configENS1_27scan_by_key_config_selectorIllEEZZNS1_16scan_by_key_implILNS1_25lookback_scan_determinismE0ELb0ES3_N6thrust23THRUST_200600_302600_NS16reverse_iteratorIPKlEESD_NSA_IPlEElN6hipcub16HIPCUB_304000_NS3MaxENSH_8EqualityElEE10hipError_tPvRmT2_T3_T4_T5_mT6_T7_P12ihipStream_tbENKUlT_T0_E_clISt17integral_constantIbLb0EES10_EEDaSV_SW_EUlSV_E_NS1_11comp_targetILNS1_3genE10ELNS1_11target_archE1201ELNS1_3gpuE5ELNS1_3repE0EEENS1_30default_config_static_selectorELNS0_4arch9wavefront6targetE0EEEvT1_.has_indirect_call, 0
	.section	.AMDGPU.csdata,"",@progbits
; Kernel info:
; codeLenInByte = 0
; TotalNumSgprs: 0
; NumVgprs: 0
; ScratchSize: 0
; MemoryBound: 0
; FloatMode: 240
; IeeeMode: 1
; LDSByteSize: 0 bytes/workgroup (compile time only)
; SGPRBlocks: 0
; VGPRBlocks: 0
; NumSGPRsForWavesPerEU: 1
; NumVGPRsForWavesPerEU: 1
; NamedBarCnt: 0
; Occupancy: 16
; WaveLimiterHint : 0
; COMPUTE_PGM_RSRC2:SCRATCH_EN: 0
; COMPUTE_PGM_RSRC2:USER_SGPR: 2
; COMPUTE_PGM_RSRC2:TRAP_HANDLER: 0
; COMPUTE_PGM_RSRC2:TGID_X_EN: 1
; COMPUTE_PGM_RSRC2:TGID_Y_EN: 0
; COMPUTE_PGM_RSRC2:TGID_Z_EN: 0
; COMPUTE_PGM_RSRC2:TIDIG_COMP_CNT: 0
	.section	.text._ZN7rocprim17ROCPRIM_400000_NS6detail17trampoline_kernelINS0_14default_configENS1_27scan_by_key_config_selectorIllEEZZNS1_16scan_by_key_implILNS1_25lookback_scan_determinismE0ELb0ES3_N6thrust23THRUST_200600_302600_NS16reverse_iteratorIPKlEESD_NSA_IPlEElN6hipcub16HIPCUB_304000_NS3MaxENSH_8EqualityElEE10hipError_tPvRmT2_T3_T4_T5_mT6_T7_P12ihipStream_tbENKUlT_T0_E_clISt17integral_constantIbLb0EES10_EEDaSV_SW_EUlSV_E_NS1_11comp_targetILNS1_3genE5ELNS1_11target_archE942ELNS1_3gpuE9ELNS1_3repE0EEENS1_30default_config_static_selectorELNS0_4arch9wavefront6targetE0EEEvT1_,"axG",@progbits,_ZN7rocprim17ROCPRIM_400000_NS6detail17trampoline_kernelINS0_14default_configENS1_27scan_by_key_config_selectorIllEEZZNS1_16scan_by_key_implILNS1_25lookback_scan_determinismE0ELb0ES3_N6thrust23THRUST_200600_302600_NS16reverse_iteratorIPKlEESD_NSA_IPlEElN6hipcub16HIPCUB_304000_NS3MaxENSH_8EqualityElEE10hipError_tPvRmT2_T3_T4_T5_mT6_T7_P12ihipStream_tbENKUlT_T0_E_clISt17integral_constantIbLb0EES10_EEDaSV_SW_EUlSV_E_NS1_11comp_targetILNS1_3genE5ELNS1_11target_archE942ELNS1_3gpuE9ELNS1_3repE0EEENS1_30default_config_static_selectorELNS0_4arch9wavefront6targetE0EEEvT1_,comdat
	.protected	_ZN7rocprim17ROCPRIM_400000_NS6detail17trampoline_kernelINS0_14default_configENS1_27scan_by_key_config_selectorIllEEZZNS1_16scan_by_key_implILNS1_25lookback_scan_determinismE0ELb0ES3_N6thrust23THRUST_200600_302600_NS16reverse_iteratorIPKlEESD_NSA_IPlEElN6hipcub16HIPCUB_304000_NS3MaxENSH_8EqualityElEE10hipError_tPvRmT2_T3_T4_T5_mT6_T7_P12ihipStream_tbENKUlT_T0_E_clISt17integral_constantIbLb0EES10_EEDaSV_SW_EUlSV_E_NS1_11comp_targetILNS1_3genE5ELNS1_11target_archE942ELNS1_3gpuE9ELNS1_3repE0EEENS1_30default_config_static_selectorELNS0_4arch9wavefront6targetE0EEEvT1_ ; -- Begin function _ZN7rocprim17ROCPRIM_400000_NS6detail17trampoline_kernelINS0_14default_configENS1_27scan_by_key_config_selectorIllEEZZNS1_16scan_by_key_implILNS1_25lookback_scan_determinismE0ELb0ES3_N6thrust23THRUST_200600_302600_NS16reverse_iteratorIPKlEESD_NSA_IPlEElN6hipcub16HIPCUB_304000_NS3MaxENSH_8EqualityElEE10hipError_tPvRmT2_T3_T4_T5_mT6_T7_P12ihipStream_tbENKUlT_T0_E_clISt17integral_constantIbLb0EES10_EEDaSV_SW_EUlSV_E_NS1_11comp_targetILNS1_3genE5ELNS1_11target_archE942ELNS1_3gpuE9ELNS1_3repE0EEENS1_30default_config_static_selectorELNS0_4arch9wavefront6targetE0EEEvT1_
	.globl	_ZN7rocprim17ROCPRIM_400000_NS6detail17trampoline_kernelINS0_14default_configENS1_27scan_by_key_config_selectorIllEEZZNS1_16scan_by_key_implILNS1_25lookback_scan_determinismE0ELb0ES3_N6thrust23THRUST_200600_302600_NS16reverse_iteratorIPKlEESD_NSA_IPlEElN6hipcub16HIPCUB_304000_NS3MaxENSH_8EqualityElEE10hipError_tPvRmT2_T3_T4_T5_mT6_T7_P12ihipStream_tbENKUlT_T0_E_clISt17integral_constantIbLb0EES10_EEDaSV_SW_EUlSV_E_NS1_11comp_targetILNS1_3genE5ELNS1_11target_archE942ELNS1_3gpuE9ELNS1_3repE0EEENS1_30default_config_static_selectorELNS0_4arch9wavefront6targetE0EEEvT1_
	.p2align	8
	.type	_ZN7rocprim17ROCPRIM_400000_NS6detail17trampoline_kernelINS0_14default_configENS1_27scan_by_key_config_selectorIllEEZZNS1_16scan_by_key_implILNS1_25lookback_scan_determinismE0ELb0ES3_N6thrust23THRUST_200600_302600_NS16reverse_iteratorIPKlEESD_NSA_IPlEElN6hipcub16HIPCUB_304000_NS3MaxENSH_8EqualityElEE10hipError_tPvRmT2_T3_T4_T5_mT6_T7_P12ihipStream_tbENKUlT_T0_E_clISt17integral_constantIbLb0EES10_EEDaSV_SW_EUlSV_E_NS1_11comp_targetILNS1_3genE5ELNS1_11target_archE942ELNS1_3gpuE9ELNS1_3repE0EEENS1_30default_config_static_selectorELNS0_4arch9wavefront6targetE0EEEvT1_,@function
_ZN7rocprim17ROCPRIM_400000_NS6detail17trampoline_kernelINS0_14default_configENS1_27scan_by_key_config_selectorIllEEZZNS1_16scan_by_key_implILNS1_25lookback_scan_determinismE0ELb0ES3_N6thrust23THRUST_200600_302600_NS16reverse_iteratorIPKlEESD_NSA_IPlEElN6hipcub16HIPCUB_304000_NS3MaxENSH_8EqualityElEE10hipError_tPvRmT2_T3_T4_T5_mT6_T7_P12ihipStream_tbENKUlT_T0_E_clISt17integral_constantIbLb0EES10_EEDaSV_SW_EUlSV_E_NS1_11comp_targetILNS1_3genE5ELNS1_11target_archE942ELNS1_3gpuE9ELNS1_3repE0EEENS1_30default_config_static_selectorELNS0_4arch9wavefront6targetE0EEEvT1_: ; @_ZN7rocprim17ROCPRIM_400000_NS6detail17trampoline_kernelINS0_14default_configENS1_27scan_by_key_config_selectorIllEEZZNS1_16scan_by_key_implILNS1_25lookback_scan_determinismE0ELb0ES3_N6thrust23THRUST_200600_302600_NS16reverse_iteratorIPKlEESD_NSA_IPlEElN6hipcub16HIPCUB_304000_NS3MaxENSH_8EqualityElEE10hipError_tPvRmT2_T3_T4_T5_mT6_T7_P12ihipStream_tbENKUlT_T0_E_clISt17integral_constantIbLb0EES10_EEDaSV_SW_EUlSV_E_NS1_11comp_targetILNS1_3genE5ELNS1_11target_archE942ELNS1_3gpuE9ELNS1_3repE0EEENS1_30default_config_static_selectorELNS0_4arch9wavefront6targetE0EEEvT1_
; %bb.0:
	.section	.rodata,"a",@progbits
	.p2align	6, 0x0
	.amdhsa_kernel _ZN7rocprim17ROCPRIM_400000_NS6detail17trampoline_kernelINS0_14default_configENS1_27scan_by_key_config_selectorIllEEZZNS1_16scan_by_key_implILNS1_25lookback_scan_determinismE0ELb0ES3_N6thrust23THRUST_200600_302600_NS16reverse_iteratorIPKlEESD_NSA_IPlEElN6hipcub16HIPCUB_304000_NS3MaxENSH_8EqualityElEE10hipError_tPvRmT2_T3_T4_T5_mT6_T7_P12ihipStream_tbENKUlT_T0_E_clISt17integral_constantIbLb0EES10_EEDaSV_SW_EUlSV_E_NS1_11comp_targetILNS1_3genE5ELNS1_11target_archE942ELNS1_3gpuE9ELNS1_3repE0EEENS1_30default_config_static_selectorELNS0_4arch9wavefront6targetE0EEEvT1_
		.amdhsa_group_segment_fixed_size 0
		.amdhsa_private_segment_fixed_size 0
		.amdhsa_kernarg_size 136
		.amdhsa_user_sgpr_count 2
		.amdhsa_user_sgpr_dispatch_ptr 0
		.amdhsa_user_sgpr_queue_ptr 0
		.amdhsa_user_sgpr_kernarg_segment_ptr 1
		.amdhsa_user_sgpr_dispatch_id 0
		.amdhsa_user_sgpr_kernarg_preload_length 0
		.amdhsa_user_sgpr_kernarg_preload_offset 0
		.amdhsa_user_sgpr_private_segment_size 0
		.amdhsa_wavefront_size32 1
		.amdhsa_uses_dynamic_stack 0
		.amdhsa_enable_private_segment 0
		.amdhsa_system_sgpr_workgroup_id_x 1
		.amdhsa_system_sgpr_workgroup_id_y 0
		.amdhsa_system_sgpr_workgroup_id_z 0
		.amdhsa_system_sgpr_workgroup_info 0
		.amdhsa_system_vgpr_workitem_id 0
		.amdhsa_next_free_vgpr 1
		.amdhsa_next_free_sgpr 1
		.amdhsa_named_barrier_count 0
		.amdhsa_reserve_vcc 0
		.amdhsa_float_round_mode_32 0
		.amdhsa_float_round_mode_16_64 0
		.amdhsa_float_denorm_mode_32 3
		.amdhsa_float_denorm_mode_16_64 3
		.amdhsa_fp16_overflow 0
		.amdhsa_memory_ordered 1
		.amdhsa_forward_progress 1
		.amdhsa_inst_pref_size 0
		.amdhsa_round_robin_scheduling 0
		.amdhsa_exception_fp_ieee_invalid_op 0
		.amdhsa_exception_fp_denorm_src 0
		.amdhsa_exception_fp_ieee_div_zero 0
		.amdhsa_exception_fp_ieee_overflow 0
		.amdhsa_exception_fp_ieee_underflow 0
		.amdhsa_exception_fp_ieee_inexact 0
		.amdhsa_exception_int_div_zero 0
	.end_amdhsa_kernel
	.section	.text._ZN7rocprim17ROCPRIM_400000_NS6detail17trampoline_kernelINS0_14default_configENS1_27scan_by_key_config_selectorIllEEZZNS1_16scan_by_key_implILNS1_25lookback_scan_determinismE0ELb0ES3_N6thrust23THRUST_200600_302600_NS16reverse_iteratorIPKlEESD_NSA_IPlEElN6hipcub16HIPCUB_304000_NS3MaxENSH_8EqualityElEE10hipError_tPvRmT2_T3_T4_T5_mT6_T7_P12ihipStream_tbENKUlT_T0_E_clISt17integral_constantIbLb0EES10_EEDaSV_SW_EUlSV_E_NS1_11comp_targetILNS1_3genE5ELNS1_11target_archE942ELNS1_3gpuE9ELNS1_3repE0EEENS1_30default_config_static_selectorELNS0_4arch9wavefront6targetE0EEEvT1_,"axG",@progbits,_ZN7rocprim17ROCPRIM_400000_NS6detail17trampoline_kernelINS0_14default_configENS1_27scan_by_key_config_selectorIllEEZZNS1_16scan_by_key_implILNS1_25lookback_scan_determinismE0ELb0ES3_N6thrust23THRUST_200600_302600_NS16reverse_iteratorIPKlEESD_NSA_IPlEElN6hipcub16HIPCUB_304000_NS3MaxENSH_8EqualityElEE10hipError_tPvRmT2_T3_T4_T5_mT6_T7_P12ihipStream_tbENKUlT_T0_E_clISt17integral_constantIbLb0EES10_EEDaSV_SW_EUlSV_E_NS1_11comp_targetILNS1_3genE5ELNS1_11target_archE942ELNS1_3gpuE9ELNS1_3repE0EEENS1_30default_config_static_selectorELNS0_4arch9wavefront6targetE0EEEvT1_,comdat
.Lfunc_end139:
	.size	_ZN7rocprim17ROCPRIM_400000_NS6detail17trampoline_kernelINS0_14default_configENS1_27scan_by_key_config_selectorIllEEZZNS1_16scan_by_key_implILNS1_25lookback_scan_determinismE0ELb0ES3_N6thrust23THRUST_200600_302600_NS16reverse_iteratorIPKlEESD_NSA_IPlEElN6hipcub16HIPCUB_304000_NS3MaxENSH_8EqualityElEE10hipError_tPvRmT2_T3_T4_T5_mT6_T7_P12ihipStream_tbENKUlT_T0_E_clISt17integral_constantIbLb0EES10_EEDaSV_SW_EUlSV_E_NS1_11comp_targetILNS1_3genE5ELNS1_11target_archE942ELNS1_3gpuE9ELNS1_3repE0EEENS1_30default_config_static_selectorELNS0_4arch9wavefront6targetE0EEEvT1_, .Lfunc_end139-_ZN7rocprim17ROCPRIM_400000_NS6detail17trampoline_kernelINS0_14default_configENS1_27scan_by_key_config_selectorIllEEZZNS1_16scan_by_key_implILNS1_25lookback_scan_determinismE0ELb0ES3_N6thrust23THRUST_200600_302600_NS16reverse_iteratorIPKlEESD_NSA_IPlEElN6hipcub16HIPCUB_304000_NS3MaxENSH_8EqualityElEE10hipError_tPvRmT2_T3_T4_T5_mT6_T7_P12ihipStream_tbENKUlT_T0_E_clISt17integral_constantIbLb0EES10_EEDaSV_SW_EUlSV_E_NS1_11comp_targetILNS1_3genE5ELNS1_11target_archE942ELNS1_3gpuE9ELNS1_3repE0EEENS1_30default_config_static_selectorELNS0_4arch9wavefront6targetE0EEEvT1_
                                        ; -- End function
	.set _ZN7rocprim17ROCPRIM_400000_NS6detail17trampoline_kernelINS0_14default_configENS1_27scan_by_key_config_selectorIllEEZZNS1_16scan_by_key_implILNS1_25lookback_scan_determinismE0ELb0ES3_N6thrust23THRUST_200600_302600_NS16reverse_iteratorIPKlEESD_NSA_IPlEElN6hipcub16HIPCUB_304000_NS3MaxENSH_8EqualityElEE10hipError_tPvRmT2_T3_T4_T5_mT6_T7_P12ihipStream_tbENKUlT_T0_E_clISt17integral_constantIbLb0EES10_EEDaSV_SW_EUlSV_E_NS1_11comp_targetILNS1_3genE5ELNS1_11target_archE942ELNS1_3gpuE9ELNS1_3repE0EEENS1_30default_config_static_selectorELNS0_4arch9wavefront6targetE0EEEvT1_.num_vgpr, 0
	.set _ZN7rocprim17ROCPRIM_400000_NS6detail17trampoline_kernelINS0_14default_configENS1_27scan_by_key_config_selectorIllEEZZNS1_16scan_by_key_implILNS1_25lookback_scan_determinismE0ELb0ES3_N6thrust23THRUST_200600_302600_NS16reverse_iteratorIPKlEESD_NSA_IPlEElN6hipcub16HIPCUB_304000_NS3MaxENSH_8EqualityElEE10hipError_tPvRmT2_T3_T4_T5_mT6_T7_P12ihipStream_tbENKUlT_T0_E_clISt17integral_constantIbLb0EES10_EEDaSV_SW_EUlSV_E_NS1_11comp_targetILNS1_3genE5ELNS1_11target_archE942ELNS1_3gpuE9ELNS1_3repE0EEENS1_30default_config_static_selectorELNS0_4arch9wavefront6targetE0EEEvT1_.num_agpr, 0
	.set _ZN7rocprim17ROCPRIM_400000_NS6detail17trampoline_kernelINS0_14default_configENS1_27scan_by_key_config_selectorIllEEZZNS1_16scan_by_key_implILNS1_25lookback_scan_determinismE0ELb0ES3_N6thrust23THRUST_200600_302600_NS16reverse_iteratorIPKlEESD_NSA_IPlEElN6hipcub16HIPCUB_304000_NS3MaxENSH_8EqualityElEE10hipError_tPvRmT2_T3_T4_T5_mT6_T7_P12ihipStream_tbENKUlT_T0_E_clISt17integral_constantIbLb0EES10_EEDaSV_SW_EUlSV_E_NS1_11comp_targetILNS1_3genE5ELNS1_11target_archE942ELNS1_3gpuE9ELNS1_3repE0EEENS1_30default_config_static_selectorELNS0_4arch9wavefront6targetE0EEEvT1_.numbered_sgpr, 0
	.set _ZN7rocprim17ROCPRIM_400000_NS6detail17trampoline_kernelINS0_14default_configENS1_27scan_by_key_config_selectorIllEEZZNS1_16scan_by_key_implILNS1_25lookback_scan_determinismE0ELb0ES3_N6thrust23THRUST_200600_302600_NS16reverse_iteratorIPKlEESD_NSA_IPlEElN6hipcub16HIPCUB_304000_NS3MaxENSH_8EqualityElEE10hipError_tPvRmT2_T3_T4_T5_mT6_T7_P12ihipStream_tbENKUlT_T0_E_clISt17integral_constantIbLb0EES10_EEDaSV_SW_EUlSV_E_NS1_11comp_targetILNS1_3genE5ELNS1_11target_archE942ELNS1_3gpuE9ELNS1_3repE0EEENS1_30default_config_static_selectorELNS0_4arch9wavefront6targetE0EEEvT1_.num_named_barrier, 0
	.set _ZN7rocprim17ROCPRIM_400000_NS6detail17trampoline_kernelINS0_14default_configENS1_27scan_by_key_config_selectorIllEEZZNS1_16scan_by_key_implILNS1_25lookback_scan_determinismE0ELb0ES3_N6thrust23THRUST_200600_302600_NS16reverse_iteratorIPKlEESD_NSA_IPlEElN6hipcub16HIPCUB_304000_NS3MaxENSH_8EqualityElEE10hipError_tPvRmT2_T3_T4_T5_mT6_T7_P12ihipStream_tbENKUlT_T0_E_clISt17integral_constantIbLb0EES10_EEDaSV_SW_EUlSV_E_NS1_11comp_targetILNS1_3genE5ELNS1_11target_archE942ELNS1_3gpuE9ELNS1_3repE0EEENS1_30default_config_static_selectorELNS0_4arch9wavefront6targetE0EEEvT1_.private_seg_size, 0
	.set _ZN7rocprim17ROCPRIM_400000_NS6detail17trampoline_kernelINS0_14default_configENS1_27scan_by_key_config_selectorIllEEZZNS1_16scan_by_key_implILNS1_25lookback_scan_determinismE0ELb0ES3_N6thrust23THRUST_200600_302600_NS16reverse_iteratorIPKlEESD_NSA_IPlEElN6hipcub16HIPCUB_304000_NS3MaxENSH_8EqualityElEE10hipError_tPvRmT2_T3_T4_T5_mT6_T7_P12ihipStream_tbENKUlT_T0_E_clISt17integral_constantIbLb0EES10_EEDaSV_SW_EUlSV_E_NS1_11comp_targetILNS1_3genE5ELNS1_11target_archE942ELNS1_3gpuE9ELNS1_3repE0EEENS1_30default_config_static_selectorELNS0_4arch9wavefront6targetE0EEEvT1_.uses_vcc, 0
	.set _ZN7rocprim17ROCPRIM_400000_NS6detail17trampoline_kernelINS0_14default_configENS1_27scan_by_key_config_selectorIllEEZZNS1_16scan_by_key_implILNS1_25lookback_scan_determinismE0ELb0ES3_N6thrust23THRUST_200600_302600_NS16reverse_iteratorIPKlEESD_NSA_IPlEElN6hipcub16HIPCUB_304000_NS3MaxENSH_8EqualityElEE10hipError_tPvRmT2_T3_T4_T5_mT6_T7_P12ihipStream_tbENKUlT_T0_E_clISt17integral_constantIbLb0EES10_EEDaSV_SW_EUlSV_E_NS1_11comp_targetILNS1_3genE5ELNS1_11target_archE942ELNS1_3gpuE9ELNS1_3repE0EEENS1_30default_config_static_selectorELNS0_4arch9wavefront6targetE0EEEvT1_.uses_flat_scratch, 0
	.set _ZN7rocprim17ROCPRIM_400000_NS6detail17trampoline_kernelINS0_14default_configENS1_27scan_by_key_config_selectorIllEEZZNS1_16scan_by_key_implILNS1_25lookback_scan_determinismE0ELb0ES3_N6thrust23THRUST_200600_302600_NS16reverse_iteratorIPKlEESD_NSA_IPlEElN6hipcub16HIPCUB_304000_NS3MaxENSH_8EqualityElEE10hipError_tPvRmT2_T3_T4_T5_mT6_T7_P12ihipStream_tbENKUlT_T0_E_clISt17integral_constantIbLb0EES10_EEDaSV_SW_EUlSV_E_NS1_11comp_targetILNS1_3genE5ELNS1_11target_archE942ELNS1_3gpuE9ELNS1_3repE0EEENS1_30default_config_static_selectorELNS0_4arch9wavefront6targetE0EEEvT1_.has_dyn_sized_stack, 0
	.set _ZN7rocprim17ROCPRIM_400000_NS6detail17trampoline_kernelINS0_14default_configENS1_27scan_by_key_config_selectorIllEEZZNS1_16scan_by_key_implILNS1_25lookback_scan_determinismE0ELb0ES3_N6thrust23THRUST_200600_302600_NS16reverse_iteratorIPKlEESD_NSA_IPlEElN6hipcub16HIPCUB_304000_NS3MaxENSH_8EqualityElEE10hipError_tPvRmT2_T3_T4_T5_mT6_T7_P12ihipStream_tbENKUlT_T0_E_clISt17integral_constantIbLb0EES10_EEDaSV_SW_EUlSV_E_NS1_11comp_targetILNS1_3genE5ELNS1_11target_archE942ELNS1_3gpuE9ELNS1_3repE0EEENS1_30default_config_static_selectorELNS0_4arch9wavefront6targetE0EEEvT1_.has_recursion, 0
	.set _ZN7rocprim17ROCPRIM_400000_NS6detail17trampoline_kernelINS0_14default_configENS1_27scan_by_key_config_selectorIllEEZZNS1_16scan_by_key_implILNS1_25lookback_scan_determinismE0ELb0ES3_N6thrust23THRUST_200600_302600_NS16reverse_iteratorIPKlEESD_NSA_IPlEElN6hipcub16HIPCUB_304000_NS3MaxENSH_8EqualityElEE10hipError_tPvRmT2_T3_T4_T5_mT6_T7_P12ihipStream_tbENKUlT_T0_E_clISt17integral_constantIbLb0EES10_EEDaSV_SW_EUlSV_E_NS1_11comp_targetILNS1_3genE5ELNS1_11target_archE942ELNS1_3gpuE9ELNS1_3repE0EEENS1_30default_config_static_selectorELNS0_4arch9wavefront6targetE0EEEvT1_.has_indirect_call, 0
	.section	.AMDGPU.csdata,"",@progbits
; Kernel info:
; codeLenInByte = 0
; TotalNumSgprs: 0
; NumVgprs: 0
; ScratchSize: 0
; MemoryBound: 0
; FloatMode: 240
; IeeeMode: 1
; LDSByteSize: 0 bytes/workgroup (compile time only)
; SGPRBlocks: 0
; VGPRBlocks: 0
; NumSGPRsForWavesPerEU: 1
; NumVGPRsForWavesPerEU: 1
; NamedBarCnt: 0
; Occupancy: 16
; WaveLimiterHint : 0
; COMPUTE_PGM_RSRC2:SCRATCH_EN: 0
; COMPUTE_PGM_RSRC2:USER_SGPR: 2
; COMPUTE_PGM_RSRC2:TRAP_HANDLER: 0
; COMPUTE_PGM_RSRC2:TGID_X_EN: 1
; COMPUTE_PGM_RSRC2:TGID_Y_EN: 0
; COMPUTE_PGM_RSRC2:TGID_Z_EN: 0
; COMPUTE_PGM_RSRC2:TIDIG_COMP_CNT: 0
	.section	.text._ZN7rocprim17ROCPRIM_400000_NS6detail17trampoline_kernelINS0_14default_configENS1_27scan_by_key_config_selectorIllEEZZNS1_16scan_by_key_implILNS1_25lookback_scan_determinismE0ELb0ES3_N6thrust23THRUST_200600_302600_NS16reverse_iteratorIPKlEESD_NSA_IPlEElN6hipcub16HIPCUB_304000_NS3MaxENSH_8EqualityElEE10hipError_tPvRmT2_T3_T4_T5_mT6_T7_P12ihipStream_tbENKUlT_T0_E_clISt17integral_constantIbLb0EES10_EEDaSV_SW_EUlSV_E_NS1_11comp_targetILNS1_3genE4ELNS1_11target_archE910ELNS1_3gpuE8ELNS1_3repE0EEENS1_30default_config_static_selectorELNS0_4arch9wavefront6targetE0EEEvT1_,"axG",@progbits,_ZN7rocprim17ROCPRIM_400000_NS6detail17trampoline_kernelINS0_14default_configENS1_27scan_by_key_config_selectorIllEEZZNS1_16scan_by_key_implILNS1_25lookback_scan_determinismE0ELb0ES3_N6thrust23THRUST_200600_302600_NS16reverse_iteratorIPKlEESD_NSA_IPlEElN6hipcub16HIPCUB_304000_NS3MaxENSH_8EqualityElEE10hipError_tPvRmT2_T3_T4_T5_mT6_T7_P12ihipStream_tbENKUlT_T0_E_clISt17integral_constantIbLb0EES10_EEDaSV_SW_EUlSV_E_NS1_11comp_targetILNS1_3genE4ELNS1_11target_archE910ELNS1_3gpuE8ELNS1_3repE0EEENS1_30default_config_static_selectorELNS0_4arch9wavefront6targetE0EEEvT1_,comdat
	.protected	_ZN7rocprim17ROCPRIM_400000_NS6detail17trampoline_kernelINS0_14default_configENS1_27scan_by_key_config_selectorIllEEZZNS1_16scan_by_key_implILNS1_25lookback_scan_determinismE0ELb0ES3_N6thrust23THRUST_200600_302600_NS16reverse_iteratorIPKlEESD_NSA_IPlEElN6hipcub16HIPCUB_304000_NS3MaxENSH_8EqualityElEE10hipError_tPvRmT2_T3_T4_T5_mT6_T7_P12ihipStream_tbENKUlT_T0_E_clISt17integral_constantIbLb0EES10_EEDaSV_SW_EUlSV_E_NS1_11comp_targetILNS1_3genE4ELNS1_11target_archE910ELNS1_3gpuE8ELNS1_3repE0EEENS1_30default_config_static_selectorELNS0_4arch9wavefront6targetE0EEEvT1_ ; -- Begin function _ZN7rocprim17ROCPRIM_400000_NS6detail17trampoline_kernelINS0_14default_configENS1_27scan_by_key_config_selectorIllEEZZNS1_16scan_by_key_implILNS1_25lookback_scan_determinismE0ELb0ES3_N6thrust23THRUST_200600_302600_NS16reverse_iteratorIPKlEESD_NSA_IPlEElN6hipcub16HIPCUB_304000_NS3MaxENSH_8EqualityElEE10hipError_tPvRmT2_T3_T4_T5_mT6_T7_P12ihipStream_tbENKUlT_T0_E_clISt17integral_constantIbLb0EES10_EEDaSV_SW_EUlSV_E_NS1_11comp_targetILNS1_3genE4ELNS1_11target_archE910ELNS1_3gpuE8ELNS1_3repE0EEENS1_30default_config_static_selectorELNS0_4arch9wavefront6targetE0EEEvT1_
	.globl	_ZN7rocprim17ROCPRIM_400000_NS6detail17trampoline_kernelINS0_14default_configENS1_27scan_by_key_config_selectorIllEEZZNS1_16scan_by_key_implILNS1_25lookback_scan_determinismE0ELb0ES3_N6thrust23THRUST_200600_302600_NS16reverse_iteratorIPKlEESD_NSA_IPlEElN6hipcub16HIPCUB_304000_NS3MaxENSH_8EqualityElEE10hipError_tPvRmT2_T3_T4_T5_mT6_T7_P12ihipStream_tbENKUlT_T0_E_clISt17integral_constantIbLb0EES10_EEDaSV_SW_EUlSV_E_NS1_11comp_targetILNS1_3genE4ELNS1_11target_archE910ELNS1_3gpuE8ELNS1_3repE0EEENS1_30default_config_static_selectorELNS0_4arch9wavefront6targetE0EEEvT1_
	.p2align	8
	.type	_ZN7rocprim17ROCPRIM_400000_NS6detail17trampoline_kernelINS0_14default_configENS1_27scan_by_key_config_selectorIllEEZZNS1_16scan_by_key_implILNS1_25lookback_scan_determinismE0ELb0ES3_N6thrust23THRUST_200600_302600_NS16reverse_iteratorIPKlEESD_NSA_IPlEElN6hipcub16HIPCUB_304000_NS3MaxENSH_8EqualityElEE10hipError_tPvRmT2_T3_T4_T5_mT6_T7_P12ihipStream_tbENKUlT_T0_E_clISt17integral_constantIbLb0EES10_EEDaSV_SW_EUlSV_E_NS1_11comp_targetILNS1_3genE4ELNS1_11target_archE910ELNS1_3gpuE8ELNS1_3repE0EEENS1_30default_config_static_selectorELNS0_4arch9wavefront6targetE0EEEvT1_,@function
_ZN7rocprim17ROCPRIM_400000_NS6detail17trampoline_kernelINS0_14default_configENS1_27scan_by_key_config_selectorIllEEZZNS1_16scan_by_key_implILNS1_25lookback_scan_determinismE0ELb0ES3_N6thrust23THRUST_200600_302600_NS16reverse_iteratorIPKlEESD_NSA_IPlEElN6hipcub16HIPCUB_304000_NS3MaxENSH_8EqualityElEE10hipError_tPvRmT2_T3_T4_T5_mT6_T7_P12ihipStream_tbENKUlT_T0_E_clISt17integral_constantIbLb0EES10_EEDaSV_SW_EUlSV_E_NS1_11comp_targetILNS1_3genE4ELNS1_11target_archE910ELNS1_3gpuE8ELNS1_3repE0EEENS1_30default_config_static_selectorELNS0_4arch9wavefront6targetE0EEEvT1_: ; @_ZN7rocprim17ROCPRIM_400000_NS6detail17trampoline_kernelINS0_14default_configENS1_27scan_by_key_config_selectorIllEEZZNS1_16scan_by_key_implILNS1_25lookback_scan_determinismE0ELb0ES3_N6thrust23THRUST_200600_302600_NS16reverse_iteratorIPKlEESD_NSA_IPlEElN6hipcub16HIPCUB_304000_NS3MaxENSH_8EqualityElEE10hipError_tPvRmT2_T3_T4_T5_mT6_T7_P12ihipStream_tbENKUlT_T0_E_clISt17integral_constantIbLb0EES10_EEDaSV_SW_EUlSV_E_NS1_11comp_targetILNS1_3genE4ELNS1_11target_archE910ELNS1_3gpuE8ELNS1_3repE0EEENS1_30default_config_static_selectorELNS0_4arch9wavefront6targetE0EEEvT1_
; %bb.0:
	.section	.rodata,"a",@progbits
	.p2align	6, 0x0
	.amdhsa_kernel _ZN7rocprim17ROCPRIM_400000_NS6detail17trampoline_kernelINS0_14default_configENS1_27scan_by_key_config_selectorIllEEZZNS1_16scan_by_key_implILNS1_25lookback_scan_determinismE0ELb0ES3_N6thrust23THRUST_200600_302600_NS16reverse_iteratorIPKlEESD_NSA_IPlEElN6hipcub16HIPCUB_304000_NS3MaxENSH_8EqualityElEE10hipError_tPvRmT2_T3_T4_T5_mT6_T7_P12ihipStream_tbENKUlT_T0_E_clISt17integral_constantIbLb0EES10_EEDaSV_SW_EUlSV_E_NS1_11comp_targetILNS1_3genE4ELNS1_11target_archE910ELNS1_3gpuE8ELNS1_3repE0EEENS1_30default_config_static_selectorELNS0_4arch9wavefront6targetE0EEEvT1_
		.amdhsa_group_segment_fixed_size 0
		.amdhsa_private_segment_fixed_size 0
		.amdhsa_kernarg_size 136
		.amdhsa_user_sgpr_count 2
		.amdhsa_user_sgpr_dispatch_ptr 0
		.amdhsa_user_sgpr_queue_ptr 0
		.amdhsa_user_sgpr_kernarg_segment_ptr 1
		.amdhsa_user_sgpr_dispatch_id 0
		.amdhsa_user_sgpr_kernarg_preload_length 0
		.amdhsa_user_sgpr_kernarg_preload_offset 0
		.amdhsa_user_sgpr_private_segment_size 0
		.amdhsa_wavefront_size32 1
		.amdhsa_uses_dynamic_stack 0
		.amdhsa_enable_private_segment 0
		.amdhsa_system_sgpr_workgroup_id_x 1
		.amdhsa_system_sgpr_workgroup_id_y 0
		.amdhsa_system_sgpr_workgroup_id_z 0
		.amdhsa_system_sgpr_workgroup_info 0
		.amdhsa_system_vgpr_workitem_id 0
		.amdhsa_next_free_vgpr 1
		.amdhsa_next_free_sgpr 1
		.amdhsa_named_barrier_count 0
		.amdhsa_reserve_vcc 0
		.amdhsa_float_round_mode_32 0
		.amdhsa_float_round_mode_16_64 0
		.amdhsa_float_denorm_mode_32 3
		.amdhsa_float_denorm_mode_16_64 3
		.amdhsa_fp16_overflow 0
		.amdhsa_memory_ordered 1
		.amdhsa_forward_progress 1
		.amdhsa_inst_pref_size 0
		.amdhsa_round_robin_scheduling 0
		.amdhsa_exception_fp_ieee_invalid_op 0
		.amdhsa_exception_fp_denorm_src 0
		.amdhsa_exception_fp_ieee_div_zero 0
		.amdhsa_exception_fp_ieee_overflow 0
		.amdhsa_exception_fp_ieee_underflow 0
		.amdhsa_exception_fp_ieee_inexact 0
		.amdhsa_exception_int_div_zero 0
	.end_amdhsa_kernel
	.section	.text._ZN7rocprim17ROCPRIM_400000_NS6detail17trampoline_kernelINS0_14default_configENS1_27scan_by_key_config_selectorIllEEZZNS1_16scan_by_key_implILNS1_25lookback_scan_determinismE0ELb0ES3_N6thrust23THRUST_200600_302600_NS16reverse_iteratorIPKlEESD_NSA_IPlEElN6hipcub16HIPCUB_304000_NS3MaxENSH_8EqualityElEE10hipError_tPvRmT2_T3_T4_T5_mT6_T7_P12ihipStream_tbENKUlT_T0_E_clISt17integral_constantIbLb0EES10_EEDaSV_SW_EUlSV_E_NS1_11comp_targetILNS1_3genE4ELNS1_11target_archE910ELNS1_3gpuE8ELNS1_3repE0EEENS1_30default_config_static_selectorELNS0_4arch9wavefront6targetE0EEEvT1_,"axG",@progbits,_ZN7rocprim17ROCPRIM_400000_NS6detail17trampoline_kernelINS0_14default_configENS1_27scan_by_key_config_selectorIllEEZZNS1_16scan_by_key_implILNS1_25lookback_scan_determinismE0ELb0ES3_N6thrust23THRUST_200600_302600_NS16reverse_iteratorIPKlEESD_NSA_IPlEElN6hipcub16HIPCUB_304000_NS3MaxENSH_8EqualityElEE10hipError_tPvRmT2_T3_T4_T5_mT6_T7_P12ihipStream_tbENKUlT_T0_E_clISt17integral_constantIbLb0EES10_EEDaSV_SW_EUlSV_E_NS1_11comp_targetILNS1_3genE4ELNS1_11target_archE910ELNS1_3gpuE8ELNS1_3repE0EEENS1_30default_config_static_selectorELNS0_4arch9wavefront6targetE0EEEvT1_,comdat
.Lfunc_end140:
	.size	_ZN7rocprim17ROCPRIM_400000_NS6detail17trampoline_kernelINS0_14default_configENS1_27scan_by_key_config_selectorIllEEZZNS1_16scan_by_key_implILNS1_25lookback_scan_determinismE0ELb0ES3_N6thrust23THRUST_200600_302600_NS16reverse_iteratorIPKlEESD_NSA_IPlEElN6hipcub16HIPCUB_304000_NS3MaxENSH_8EqualityElEE10hipError_tPvRmT2_T3_T4_T5_mT6_T7_P12ihipStream_tbENKUlT_T0_E_clISt17integral_constantIbLb0EES10_EEDaSV_SW_EUlSV_E_NS1_11comp_targetILNS1_3genE4ELNS1_11target_archE910ELNS1_3gpuE8ELNS1_3repE0EEENS1_30default_config_static_selectorELNS0_4arch9wavefront6targetE0EEEvT1_, .Lfunc_end140-_ZN7rocprim17ROCPRIM_400000_NS6detail17trampoline_kernelINS0_14default_configENS1_27scan_by_key_config_selectorIllEEZZNS1_16scan_by_key_implILNS1_25lookback_scan_determinismE0ELb0ES3_N6thrust23THRUST_200600_302600_NS16reverse_iteratorIPKlEESD_NSA_IPlEElN6hipcub16HIPCUB_304000_NS3MaxENSH_8EqualityElEE10hipError_tPvRmT2_T3_T4_T5_mT6_T7_P12ihipStream_tbENKUlT_T0_E_clISt17integral_constantIbLb0EES10_EEDaSV_SW_EUlSV_E_NS1_11comp_targetILNS1_3genE4ELNS1_11target_archE910ELNS1_3gpuE8ELNS1_3repE0EEENS1_30default_config_static_selectorELNS0_4arch9wavefront6targetE0EEEvT1_
                                        ; -- End function
	.set _ZN7rocprim17ROCPRIM_400000_NS6detail17trampoline_kernelINS0_14default_configENS1_27scan_by_key_config_selectorIllEEZZNS1_16scan_by_key_implILNS1_25lookback_scan_determinismE0ELb0ES3_N6thrust23THRUST_200600_302600_NS16reverse_iteratorIPKlEESD_NSA_IPlEElN6hipcub16HIPCUB_304000_NS3MaxENSH_8EqualityElEE10hipError_tPvRmT2_T3_T4_T5_mT6_T7_P12ihipStream_tbENKUlT_T0_E_clISt17integral_constantIbLb0EES10_EEDaSV_SW_EUlSV_E_NS1_11comp_targetILNS1_3genE4ELNS1_11target_archE910ELNS1_3gpuE8ELNS1_3repE0EEENS1_30default_config_static_selectorELNS0_4arch9wavefront6targetE0EEEvT1_.num_vgpr, 0
	.set _ZN7rocprim17ROCPRIM_400000_NS6detail17trampoline_kernelINS0_14default_configENS1_27scan_by_key_config_selectorIllEEZZNS1_16scan_by_key_implILNS1_25lookback_scan_determinismE0ELb0ES3_N6thrust23THRUST_200600_302600_NS16reverse_iteratorIPKlEESD_NSA_IPlEElN6hipcub16HIPCUB_304000_NS3MaxENSH_8EqualityElEE10hipError_tPvRmT2_T3_T4_T5_mT6_T7_P12ihipStream_tbENKUlT_T0_E_clISt17integral_constantIbLb0EES10_EEDaSV_SW_EUlSV_E_NS1_11comp_targetILNS1_3genE4ELNS1_11target_archE910ELNS1_3gpuE8ELNS1_3repE0EEENS1_30default_config_static_selectorELNS0_4arch9wavefront6targetE0EEEvT1_.num_agpr, 0
	.set _ZN7rocprim17ROCPRIM_400000_NS6detail17trampoline_kernelINS0_14default_configENS1_27scan_by_key_config_selectorIllEEZZNS1_16scan_by_key_implILNS1_25lookback_scan_determinismE0ELb0ES3_N6thrust23THRUST_200600_302600_NS16reverse_iteratorIPKlEESD_NSA_IPlEElN6hipcub16HIPCUB_304000_NS3MaxENSH_8EqualityElEE10hipError_tPvRmT2_T3_T4_T5_mT6_T7_P12ihipStream_tbENKUlT_T0_E_clISt17integral_constantIbLb0EES10_EEDaSV_SW_EUlSV_E_NS1_11comp_targetILNS1_3genE4ELNS1_11target_archE910ELNS1_3gpuE8ELNS1_3repE0EEENS1_30default_config_static_selectorELNS0_4arch9wavefront6targetE0EEEvT1_.numbered_sgpr, 0
	.set _ZN7rocprim17ROCPRIM_400000_NS6detail17trampoline_kernelINS0_14default_configENS1_27scan_by_key_config_selectorIllEEZZNS1_16scan_by_key_implILNS1_25lookback_scan_determinismE0ELb0ES3_N6thrust23THRUST_200600_302600_NS16reverse_iteratorIPKlEESD_NSA_IPlEElN6hipcub16HIPCUB_304000_NS3MaxENSH_8EqualityElEE10hipError_tPvRmT2_T3_T4_T5_mT6_T7_P12ihipStream_tbENKUlT_T0_E_clISt17integral_constantIbLb0EES10_EEDaSV_SW_EUlSV_E_NS1_11comp_targetILNS1_3genE4ELNS1_11target_archE910ELNS1_3gpuE8ELNS1_3repE0EEENS1_30default_config_static_selectorELNS0_4arch9wavefront6targetE0EEEvT1_.num_named_barrier, 0
	.set _ZN7rocprim17ROCPRIM_400000_NS6detail17trampoline_kernelINS0_14default_configENS1_27scan_by_key_config_selectorIllEEZZNS1_16scan_by_key_implILNS1_25lookback_scan_determinismE0ELb0ES3_N6thrust23THRUST_200600_302600_NS16reverse_iteratorIPKlEESD_NSA_IPlEElN6hipcub16HIPCUB_304000_NS3MaxENSH_8EqualityElEE10hipError_tPvRmT2_T3_T4_T5_mT6_T7_P12ihipStream_tbENKUlT_T0_E_clISt17integral_constantIbLb0EES10_EEDaSV_SW_EUlSV_E_NS1_11comp_targetILNS1_3genE4ELNS1_11target_archE910ELNS1_3gpuE8ELNS1_3repE0EEENS1_30default_config_static_selectorELNS0_4arch9wavefront6targetE0EEEvT1_.private_seg_size, 0
	.set _ZN7rocprim17ROCPRIM_400000_NS6detail17trampoline_kernelINS0_14default_configENS1_27scan_by_key_config_selectorIllEEZZNS1_16scan_by_key_implILNS1_25lookback_scan_determinismE0ELb0ES3_N6thrust23THRUST_200600_302600_NS16reverse_iteratorIPKlEESD_NSA_IPlEElN6hipcub16HIPCUB_304000_NS3MaxENSH_8EqualityElEE10hipError_tPvRmT2_T3_T4_T5_mT6_T7_P12ihipStream_tbENKUlT_T0_E_clISt17integral_constantIbLb0EES10_EEDaSV_SW_EUlSV_E_NS1_11comp_targetILNS1_3genE4ELNS1_11target_archE910ELNS1_3gpuE8ELNS1_3repE0EEENS1_30default_config_static_selectorELNS0_4arch9wavefront6targetE0EEEvT1_.uses_vcc, 0
	.set _ZN7rocprim17ROCPRIM_400000_NS6detail17trampoline_kernelINS0_14default_configENS1_27scan_by_key_config_selectorIllEEZZNS1_16scan_by_key_implILNS1_25lookback_scan_determinismE0ELb0ES3_N6thrust23THRUST_200600_302600_NS16reverse_iteratorIPKlEESD_NSA_IPlEElN6hipcub16HIPCUB_304000_NS3MaxENSH_8EqualityElEE10hipError_tPvRmT2_T3_T4_T5_mT6_T7_P12ihipStream_tbENKUlT_T0_E_clISt17integral_constantIbLb0EES10_EEDaSV_SW_EUlSV_E_NS1_11comp_targetILNS1_3genE4ELNS1_11target_archE910ELNS1_3gpuE8ELNS1_3repE0EEENS1_30default_config_static_selectorELNS0_4arch9wavefront6targetE0EEEvT1_.uses_flat_scratch, 0
	.set _ZN7rocprim17ROCPRIM_400000_NS6detail17trampoline_kernelINS0_14default_configENS1_27scan_by_key_config_selectorIllEEZZNS1_16scan_by_key_implILNS1_25lookback_scan_determinismE0ELb0ES3_N6thrust23THRUST_200600_302600_NS16reverse_iteratorIPKlEESD_NSA_IPlEElN6hipcub16HIPCUB_304000_NS3MaxENSH_8EqualityElEE10hipError_tPvRmT2_T3_T4_T5_mT6_T7_P12ihipStream_tbENKUlT_T0_E_clISt17integral_constantIbLb0EES10_EEDaSV_SW_EUlSV_E_NS1_11comp_targetILNS1_3genE4ELNS1_11target_archE910ELNS1_3gpuE8ELNS1_3repE0EEENS1_30default_config_static_selectorELNS0_4arch9wavefront6targetE0EEEvT1_.has_dyn_sized_stack, 0
	.set _ZN7rocprim17ROCPRIM_400000_NS6detail17trampoline_kernelINS0_14default_configENS1_27scan_by_key_config_selectorIllEEZZNS1_16scan_by_key_implILNS1_25lookback_scan_determinismE0ELb0ES3_N6thrust23THRUST_200600_302600_NS16reverse_iteratorIPKlEESD_NSA_IPlEElN6hipcub16HIPCUB_304000_NS3MaxENSH_8EqualityElEE10hipError_tPvRmT2_T3_T4_T5_mT6_T7_P12ihipStream_tbENKUlT_T0_E_clISt17integral_constantIbLb0EES10_EEDaSV_SW_EUlSV_E_NS1_11comp_targetILNS1_3genE4ELNS1_11target_archE910ELNS1_3gpuE8ELNS1_3repE0EEENS1_30default_config_static_selectorELNS0_4arch9wavefront6targetE0EEEvT1_.has_recursion, 0
	.set _ZN7rocprim17ROCPRIM_400000_NS6detail17trampoline_kernelINS0_14default_configENS1_27scan_by_key_config_selectorIllEEZZNS1_16scan_by_key_implILNS1_25lookback_scan_determinismE0ELb0ES3_N6thrust23THRUST_200600_302600_NS16reverse_iteratorIPKlEESD_NSA_IPlEElN6hipcub16HIPCUB_304000_NS3MaxENSH_8EqualityElEE10hipError_tPvRmT2_T3_T4_T5_mT6_T7_P12ihipStream_tbENKUlT_T0_E_clISt17integral_constantIbLb0EES10_EEDaSV_SW_EUlSV_E_NS1_11comp_targetILNS1_3genE4ELNS1_11target_archE910ELNS1_3gpuE8ELNS1_3repE0EEENS1_30default_config_static_selectorELNS0_4arch9wavefront6targetE0EEEvT1_.has_indirect_call, 0
	.section	.AMDGPU.csdata,"",@progbits
; Kernel info:
; codeLenInByte = 0
; TotalNumSgprs: 0
; NumVgprs: 0
; ScratchSize: 0
; MemoryBound: 0
; FloatMode: 240
; IeeeMode: 1
; LDSByteSize: 0 bytes/workgroup (compile time only)
; SGPRBlocks: 0
; VGPRBlocks: 0
; NumSGPRsForWavesPerEU: 1
; NumVGPRsForWavesPerEU: 1
; NamedBarCnt: 0
; Occupancy: 16
; WaveLimiterHint : 0
; COMPUTE_PGM_RSRC2:SCRATCH_EN: 0
; COMPUTE_PGM_RSRC2:USER_SGPR: 2
; COMPUTE_PGM_RSRC2:TRAP_HANDLER: 0
; COMPUTE_PGM_RSRC2:TGID_X_EN: 1
; COMPUTE_PGM_RSRC2:TGID_Y_EN: 0
; COMPUTE_PGM_RSRC2:TGID_Z_EN: 0
; COMPUTE_PGM_RSRC2:TIDIG_COMP_CNT: 0
	.section	.text._ZN7rocprim17ROCPRIM_400000_NS6detail17trampoline_kernelINS0_14default_configENS1_27scan_by_key_config_selectorIllEEZZNS1_16scan_by_key_implILNS1_25lookback_scan_determinismE0ELb0ES3_N6thrust23THRUST_200600_302600_NS16reverse_iteratorIPKlEESD_NSA_IPlEElN6hipcub16HIPCUB_304000_NS3MaxENSH_8EqualityElEE10hipError_tPvRmT2_T3_T4_T5_mT6_T7_P12ihipStream_tbENKUlT_T0_E_clISt17integral_constantIbLb0EES10_EEDaSV_SW_EUlSV_E_NS1_11comp_targetILNS1_3genE3ELNS1_11target_archE908ELNS1_3gpuE7ELNS1_3repE0EEENS1_30default_config_static_selectorELNS0_4arch9wavefront6targetE0EEEvT1_,"axG",@progbits,_ZN7rocprim17ROCPRIM_400000_NS6detail17trampoline_kernelINS0_14default_configENS1_27scan_by_key_config_selectorIllEEZZNS1_16scan_by_key_implILNS1_25lookback_scan_determinismE0ELb0ES3_N6thrust23THRUST_200600_302600_NS16reverse_iteratorIPKlEESD_NSA_IPlEElN6hipcub16HIPCUB_304000_NS3MaxENSH_8EqualityElEE10hipError_tPvRmT2_T3_T4_T5_mT6_T7_P12ihipStream_tbENKUlT_T0_E_clISt17integral_constantIbLb0EES10_EEDaSV_SW_EUlSV_E_NS1_11comp_targetILNS1_3genE3ELNS1_11target_archE908ELNS1_3gpuE7ELNS1_3repE0EEENS1_30default_config_static_selectorELNS0_4arch9wavefront6targetE0EEEvT1_,comdat
	.protected	_ZN7rocprim17ROCPRIM_400000_NS6detail17trampoline_kernelINS0_14default_configENS1_27scan_by_key_config_selectorIllEEZZNS1_16scan_by_key_implILNS1_25lookback_scan_determinismE0ELb0ES3_N6thrust23THRUST_200600_302600_NS16reverse_iteratorIPKlEESD_NSA_IPlEElN6hipcub16HIPCUB_304000_NS3MaxENSH_8EqualityElEE10hipError_tPvRmT2_T3_T4_T5_mT6_T7_P12ihipStream_tbENKUlT_T0_E_clISt17integral_constantIbLb0EES10_EEDaSV_SW_EUlSV_E_NS1_11comp_targetILNS1_3genE3ELNS1_11target_archE908ELNS1_3gpuE7ELNS1_3repE0EEENS1_30default_config_static_selectorELNS0_4arch9wavefront6targetE0EEEvT1_ ; -- Begin function _ZN7rocprim17ROCPRIM_400000_NS6detail17trampoline_kernelINS0_14default_configENS1_27scan_by_key_config_selectorIllEEZZNS1_16scan_by_key_implILNS1_25lookback_scan_determinismE0ELb0ES3_N6thrust23THRUST_200600_302600_NS16reverse_iteratorIPKlEESD_NSA_IPlEElN6hipcub16HIPCUB_304000_NS3MaxENSH_8EqualityElEE10hipError_tPvRmT2_T3_T4_T5_mT6_T7_P12ihipStream_tbENKUlT_T0_E_clISt17integral_constantIbLb0EES10_EEDaSV_SW_EUlSV_E_NS1_11comp_targetILNS1_3genE3ELNS1_11target_archE908ELNS1_3gpuE7ELNS1_3repE0EEENS1_30default_config_static_selectorELNS0_4arch9wavefront6targetE0EEEvT1_
	.globl	_ZN7rocprim17ROCPRIM_400000_NS6detail17trampoline_kernelINS0_14default_configENS1_27scan_by_key_config_selectorIllEEZZNS1_16scan_by_key_implILNS1_25lookback_scan_determinismE0ELb0ES3_N6thrust23THRUST_200600_302600_NS16reverse_iteratorIPKlEESD_NSA_IPlEElN6hipcub16HIPCUB_304000_NS3MaxENSH_8EqualityElEE10hipError_tPvRmT2_T3_T4_T5_mT6_T7_P12ihipStream_tbENKUlT_T0_E_clISt17integral_constantIbLb0EES10_EEDaSV_SW_EUlSV_E_NS1_11comp_targetILNS1_3genE3ELNS1_11target_archE908ELNS1_3gpuE7ELNS1_3repE0EEENS1_30default_config_static_selectorELNS0_4arch9wavefront6targetE0EEEvT1_
	.p2align	8
	.type	_ZN7rocprim17ROCPRIM_400000_NS6detail17trampoline_kernelINS0_14default_configENS1_27scan_by_key_config_selectorIllEEZZNS1_16scan_by_key_implILNS1_25lookback_scan_determinismE0ELb0ES3_N6thrust23THRUST_200600_302600_NS16reverse_iteratorIPKlEESD_NSA_IPlEElN6hipcub16HIPCUB_304000_NS3MaxENSH_8EqualityElEE10hipError_tPvRmT2_T3_T4_T5_mT6_T7_P12ihipStream_tbENKUlT_T0_E_clISt17integral_constantIbLb0EES10_EEDaSV_SW_EUlSV_E_NS1_11comp_targetILNS1_3genE3ELNS1_11target_archE908ELNS1_3gpuE7ELNS1_3repE0EEENS1_30default_config_static_selectorELNS0_4arch9wavefront6targetE0EEEvT1_,@function
_ZN7rocprim17ROCPRIM_400000_NS6detail17trampoline_kernelINS0_14default_configENS1_27scan_by_key_config_selectorIllEEZZNS1_16scan_by_key_implILNS1_25lookback_scan_determinismE0ELb0ES3_N6thrust23THRUST_200600_302600_NS16reverse_iteratorIPKlEESD_NSA_IPlEElN6hipcub16HIPCUB_304000_NS3MaxENSH_8EqualityElEE10hipError_tPvRmT2_T3_T4_T5_mT6_T7_P12ihipStream_tbENKUlT_T0_E_clISt17integral_constantIbLb0EES10_EEDaSV_SW_EUlSV_E_NS1_11comp_targetILNS1_3genE3ELNS1_11target_archE908ELNS1_3gpuE7ELNS1_3repE0EEENS1_30default_config_static_selectorELNS0_4arch9wavefront6targetE0EEEvT1_: ; @_ZN7rocprim17ROCPRIM_400000_NS6detail17trampoline_kernelINS0_14default_configENS1_27scan_by_key_config_selectorIllEEZZNS1_16scan_by_key_implILNS1_25lookback_scan_determinismE0ELb0ES3_N6thrust23THRUST_200600_302600_NS16reverse_iteratorIPKlEESD_NSA_IPlEElN6hipcub16HIPCUB_304000_NS3MaxENSH_8EqualityElEE10hipError_tPvRmT2_T3_T4_T5_mT6_T7_P12ihipStream_tbENKUlT_T0_E_clISt17integral_constantIbLb0EES10_EEDaSV_SW_EUlSV_E_NS1_11comp_targetILNS1_3genE3ELNS1_11target_archE908ELNS1_3gpuE7ELNS1_3repE0EEENS1_30default_config_static_selectorELNS0_4arch9wavefront6targetE0EEEvT1_
; %bb.0:
	.section	.rodata,"a",@progbits
	.p2align	6, 0x0
	.amdhsa_kernel _ZN7rocprim17ROCPRIM_400000_NS6detail17trampoline_kernelINS0_14default_configENS1_27scan_by_key_config_selectorIllEEZZNS1_16scan_by_key_implILNS1_25lookback_scan_determinismE0ELb0ES3_N6thrust23THRUST_200600_302600_NS16reverse_iteratorIPKlEESD_NSA_IPlEElN6hipcub16HIPCUB_304000_NS3MaxENSH_8EqualityElEE10hipError_tPvRmT2_T3_T4_T5_mT6_T7_P12ihipStream_tbENKUlT_T0_E_clISt17integral_constantIbLb0EES10_EEDaSV_SW_EUlSV_E_NS1_11comp_targetILNS1_3genE3ELNS1_11target_archE908ELNS1_3gpuE7ELNS1_3repE0EEENS1_30default_config_static_selectorELNS0_4arch9wavefront6targetE0EEEvT1_
		.amdhsa_group_segment_fixed_size 0
		.amdhsa_private_segment_fixed_size 0
		.amdhsa_kernarg_size 136
		.amdhsa_user_sgpr_count 2
		.amdhsa_user_sgpr_dispatch_ptr 0
		.amdhsa_user_sgpr_queue_ptr 0
		.amdhsa_user_sgpr_kernarg_segment_ptr 1
		.amdhsa_user_sgpr_dispatch_id 0
		.amdhsa_user_sgpr_kernarg_preload_length 0
		.amdhsa_user_sgpr_kernarg_preload_offset 0
		.amdhsa_user_sgpr_private_segment_size 0
		.amdhsa_wavefront_size32 1
		.amdhsa_uses_dynamic_stack 0
		.amdhsa_enable_private_segment 0
		.amdhsa_system_sgpr_workgroup_id_x 1
		.amdhsa_system_sgpr_workgroup_id_y 0
		.amdhsa_system_sgpr_workgroup_id_z 0
		.amdhsa_system_sgpr_workgroup_info 0
		.amdhsa_system_vgpr_workitem_id 0
		.amdhsa_next_free_vgpr 1
		.amdhsa_next_free_sgpr 1
		.amdhsa_named_barrier_count 0
		.amdhsa_reserve_vcc 0
		.amdhsa_float_round_mode_32 0
		.amdhsa_float_round_mode_16_64 0
		.amdhsa_float_denorm_mode_32 3
		.amdhsa_float_denorm_mode_16_64 3
		.amdhsa_fp16_overflow 0
		.amdhsa_memory_ordered 1
		.amdhsa_forward_progress 1
		.amdhsa_inst_pref_size 0
		.amdhsa_round_robin_scheduling 0
		.amdhsa_exception_fp_ieee_invalid_op 0
		.amdhsa_exception_fp_denorm_src 0
		.amdhsa_exception_fp_ieee_div_zero 0
		.amdhsa_exception_fp_ieee_overflow 0
		.amdhsa_exception_fp_ieee_underflow 0
		.amdhsa_exception_fp_ieee_inexact 0
		.amdhsa_exception_int_div_zero 0
	.end_amdhsa_kernel
	.section	.text._ZN7rocprim17ROCPRIM_400000_NS6detail17trampoline_kernelINS0_14default_configENS1_27scan_by_key_config_selectorIllEEZZNS1_16scan_by_key_implILNS1_25lookback_scan_determinismE0ELb0ES3_N6thrust23THRUST_200600_302600_NS16reverse_iteratorIPKlEESD_NSA_IPlEElN6hipcub16HIPCUB_304000_NS3MaxENSH_8EqualityElEE10hipError_tPvRmT2_T3_T4_T5_mT6_T7_P12ihipStream_tbENKUlT_T0_E_clISt17integral_constantIbLb0EES10_EEDaSV_SW_EUlSV_E_NS1_11comp_targetILNS1_3genE3ELNS1_11target_archE908ELNS1_3gpuE7ELNS1_3repE0EEENS1_30default_config_static_selectorELNS0_4arch9wavefront6targetE0EEEvT1_,"axG",@progbits,_ZN7rocprim17ROCPRIM_400000_NS6detail17trampoline_kernelINS0_14default_configENS1_27scan_by_key_config_selectorIllEEZZNS1_16scan_by_key_implILNS1_25lookback_scan_determinismE0ELb0ES3_N6thrust23THRUST_200600_302600_NS16reverse_iteratorIPKlEESD_NSA_IPlEElN6hipcub16HIPCUB_304000_NS3MaxENSH_8EqualityElEE10hipError_tPvRmT2_T3_T4_T5_mT6_T7_P12ihipStream_tbENKUlT_T0_E_clISt17integral_constantIbLb0EES10_EEDaSV_SW_EUlSV_E_NS1_11comp_targetILNS1_3genE3ELNS1_11target_archE908ELNS1_3gpuE7ELNS1_3repE0EEENS1_30default_config_static_selectorELNS0_4arch9wavefront6targetE0EEEvT1_,comdat
.Lfunc_end141:
	.size	_ZN7rocprim17ROCPRIM_400000_NS6detail17trampoline_kernelINS0_14default_configENS1_27scan_by_key_config_selectorIllEEZZNS1_16scan_by_key_implILNS1_25lookback_scan_determinismE0ELb0ES3_N6thrust23THRUST_200600_302600_NS16reverse_iteratorIPKlEESD_NSA_IPlEElN6hipcub16HIPCUB_304000_NS3MaxENSH_8EqualityElEE10hipError_tPvRmT2_T3_T4_T5_mT6_T7_P12ihipStream_tbENKUlT_T0_E_clISt17integral_constantIbLb0EES10_EEDaSV_SW_EUlSV_E_NS1_11comp_targetILNS1_3genE3ELNS1_11target_archE908ELNS1_3gpuE7ELNS1_3repE0EEENS1_30default_config_static_selectorELNS0_4arch9wavefront6targetE0EEEvT1_, .Lfunc_end141-_ZN7rocprim17ROCPRIM_400000_NS6detail17trampoline_kernelINS0_14default_configENS1_27scan_by_key_config_selectorIllEEZZNS1_16scan_by_key_implILNS1_25lookback_scan_determinismE0ELb0ES3_N6thrust23THRUST_200600_302600_NS16reverse_iteratorIPKlEESD_NSA_IPlEElN6hipcub16HIPCUB_304000_NS3MaxENSH_8EqualityElEE10hipError_tPvRmT2_T3_T4_T5_mT6_T7_P12ihipStream_tbENKUlT_T0_E_clISt17integral_constantIbLb0EES10_EEDaSV_SW_EUlSV_E_NS1_11comp_targetILNS1_3genE3ELNS1_11target_archE908ELNS1_3gpuE7ELNS1_3repE0EEENS1_30default_config_static_selectorELNS0_4arch9wavefront6targetE0EEEvT1_
                                        ; -- End function
	.set _ZN7rocprim17ROCPRIM_400000_NS6detail17trampoline_kernelINS0_14default_configENS1_27scan_by_key_config_selectorIllEEZZNS1_16scan_by_key_implILNS1_25lookback_scan_determinismE0ELb0ES3_N6thrust23THRUST_200600_302600_NS16reverse_iteratorIPKlEESD_NSA_IPlEElN6hipcub16HIPCUB_304000_NS3MaxENSH_8EqualityElEE10hipError_tPvRmT2_T3_T4_T5_mT6_T7_P12ihipStream_tbENKUlT_T0_E_clISt17integral_constantIbLb0EES10_EEDaSV_SW_EUlSV_E_NS1_11comp_targetILNS1_3genE3ELNS1_11target_archE908ELNS1_3gpuE7ELNS1_3repE0EEENS1_30default_config_static_selectorELNS0_4arch9wavefront6targetE0EEEvT1_.num_vgpr, 0
	.set _ZN7rocprim17ROCPRIM_400000_NS6detail17trampoline_kernelINS0_14default_configENS1_27scan_by_key_config_selectorIllEEZZNS1_16scan_by_key_implILNS1_25lookback_scan_determinismE0ELb0ES3_N6thrust23THRUST_200600_302600_NS16reverse_iteratorIPKlEESD_NSA_IPlEElN6hipcub16HIPCUB_304000_NS3MaxENSH_8EqualityElEE10hipError_tPvRmT2_T3_T4_T5_mT6_T7_P12ihipStream_tbENKUlT_T0_E_clISt17integral_constantIbLb0EES10_EEDaSV_SW_EUlSV_E_NS1_11comp_targetILNS1_3genE3ELNS1_11target_archE908ELNS1_3gpuE7ELNS1_3repE0EEENS1_30default_config_static_selectorELNS0_4arch9wavefront6targetE0EEEvT1_.num_agpr, 0
	.set _ZN7rocprim17ROCPRIM_400000_NS6detail17trampoline_kernelINS0_14default_configENS1_27scan_by_key_config_selectorIllEEZZNS1_16scan_by_key_implILNS1_25lookback_scan_determinismE0ELb0ES3_N6thrust23THRUST_200600_302600_NS16reverse_iteratorIPKlEESD_NSA_IPlEElN6hipcub16HIPCUB_304000_NS3MaxENSH_8EqualityElEE10hipError_tPvRmT2_T3_T4_T5_mT6_T7_P12ihipStream_tbENKUlT_T0_E_clISt17integral_constantIbLb0EES10_EEDaSV_SW_EUlSV_E_NS1_11comp_targetILNS1_3genE3ELNS1_11target_archE908ELNS1_3gpuE7ELNS1_3repE0EEENS1_30default_config_static_selectorELNS0_4arch9wavefront6targetE0EEEvT1_.numbered_sgpr, 0
	.set _ZN7rocprim17ROCPRIM_400000_NS6detail17trampoline_kernelINS0_14default_configENS1_27scan_by_key_config_selectorIllEEZZNS1_16scan_by_key_implILNS1_25lookback_scan_determinismE0ELb0ES3_N6thrust23THRUST_200600_302600_NS16reverse_iteratorIPKlEESD_NSA_IPlEElN6hipcub16HIPCUB_304000_NS3MaxENSH_8EqualityElEE10hipError_tPvRmT2_T3_T4_T5_mT6_T7_P12ihipStream_tbENKUlT_T0_E_clISt17integral_constantIbLb0EES10_EEDaSV_SW_EUlSV_E_NS1_11comp_targetILNS1_3genE3ELNS1_11target_archE908ELNS1_3gpuE7ELNS1_3repE0EEENS1_30default_config_static_selectorELNS0_4arch9wavefront6targetE0EEEvT1_.num_named_barrier, 0
	.set _ZN7rocprim17ROCPRIM_400000_NS6detail17trampoline_kernelINS0_14default_configENS1_27scan_by_key_config_selectorIllEEZZNS1_16scan_by_key_implILNS1_25lookback_scan_determinismE0ELb0ES3_N6thrust23THRUST_200600_302600_NS16reverse_iteratorIPKlEESD_NSA_IPlEElN6hipcub16HIPCUB_304000_NS3MaxENSH_8EqualityElEE10hipError_tPvRmT2_T3_T4_T5_mT6_T7_P12ihipStream_tbENKUlT_T0_E_clISt17integral_constantIbLb0EES10_EEDaSV_SW_EUlSV_E_NS1_11comp_targetILNS1_3genE3ELNS1_11target_archE908ELNS1_3gpuE7ELNS1_3repE0EEENS1_30default_config_static_selectorELNS0_4arch9wavefront6targetE0EEEvT1_.private_seg_size, 0
	.set _ZN7rocprim17ROCPRIM_400000_NS6detail17trampoline_kernelINS0_14default_configENS1_27scan_by_key_config_selectorIllEEZZNS1_16scan_by_key_implILNS1_25lookback_scan_determinismE0ELb0ES3_N6thrust23THRUST_200600_302600_NS16reverse_iteratorIPKlEESD_NSA_IPlEElN6hipcub16HIPCUB_304000_NS3MaxENSH_8EqualityElEE10hipError_tPvRmT2_T3_T4_T5_mT6_T7_P12ihipStream_tbENKUlT_T0_E_clISt17integral_constantIbLb0EES10_EEDaSV_SW_EUlSV_E_NS1_11comp_targetILNS1_3genE3ELNS1_11target_archE908ELNS1_3gpuE7ELNS1_3repE0EEENS1_30default_config_static_selectorELNS0_4arch9wavefront6targetE0EEEvT1_.uses_vcc, 0
	.set _ZN7rocprim17ROCPRIM_400000_NS6detail17trampoline_kernelINS0_14default_configENS1_27scan_by_key_config_selectorIllEEZZNS1_16scan_by_key_implILNS1_25lookback_scan_determinismE0ELb0ES3_N6thrust23THRUST_200600_302600_NS16reverse_iteratorIPKlEESD_NSA_IPlEElN6hipcub16HIPCUB_304000_NS3MaxENSH_8EqualityElEE10hipError_tPvRmT2_T3_T4_T5_mT6_T7_P12ihipStream_tbENKUlT_T0_E_clISt17integral_constantIbLb0EES10_EEDaSV_SW_EUlSV_E_NS1_11comp_targetILNS1_3genE3ELNS1_11target_archE908ELNS1_3gpuE7ELNS1_3repE0EEENS1_30default_config_static_selectorELNS0_4arch9wavefront6targetE0EEEvT1_.uses_flat_scratch, 0
	.set _ZN7rocprim17ROCPRIM_400000_NS6detail17trampoline_kernelINS0_14default_configENS1_27scan_by_key_config_selectorIllEEZZNS1_16scan_by_key_implILNS1_25lookback_scan_determinismE0ELb0ES3_N6thrust23THRUST_200600_302600_NS16reverse_iteratorIPKlEESD_NSA_IPlEElN6hipcub16HIPCUB_304000_NS3MaxENSH_8EqualityElEE10hipError_tPvRmT2_T3_T4_T5_mT6_T7_P12ihipStream_tbENKUlT_T0_E_clISt17integral_constantIbLb0EES10_EEDaSV_SW_EUlSV_E_NS1_11comp_targetILNS1_3genE3ELNS1_11target_archE908ELNS1_3gpuE7ELNS1_3repE0EEENS1_30default_config_static_selectorELNS0_4arch9wavefront6targetE0EEEvT1_.has_dyn_sized_stack, 0
	.set _ZN7rocprim17ROCPRIM_400000_NS6detail17trampoline_kernelINS0_14default_configENS1_27scan_by_key_config_selectorIllEEZZNS1_16scan_by_key_implILNS1_25lookback_scan_determinismE0ELb0ES3_N6thrust23THRUST_200600_302600_NS16reverse_iteratorIPKlEESD_NSA_IPlEElN6hipcub16HIPCUB_304000_NS3MaxENSH_8EqualityElEE10hipError_tPvRmT2_T3_T4_T5_mT6_T7_P12ihipStream_tbENKUlT_T0_E_clISt17integral_constantIbLb0EES10_EEDaSV_SW_EUlSV_E_NS1_11comp_targetILNS1_3genE3ELNS1_11target_archE908ELNS1_3gpuE7ELNS1_3repE0EEENS1_30default_config_static_selectorELNS0_4arch9wavefront6targetE0EEEvT1_.has_recursion, 0
	.set _ZN7rocprim17ROCPRIM_400000_NS6detail17trampoline_kernelINS0_14default_configENS1_27scan_by_key_config_selectorIllEEZZNS1_16scan_by_key_implILNS1_25lookback_scan_determinismE0ELb0ES3_N6thrust23THRUST_200600_302600_NS16reverse_iteratorIPKlEESD_NSA_IPlEElN6hipcub16HIPCUB_304000_NS3MaxENSH_8EqualityElEE10hipError_tPvRmT2_T3_T4_T5_mT6_T7_P12ihipStream_tbENKUlT_T0_E_clISt17integral_constantIbLb0EES10_EEDaSV_SW_EUlSV_E_NS1_11comp_targetILNS1_3genE3ELNS1_11target_archE908ELNS1_3gpuE7ELNS1_3repE0EEENS1_30default_config_static_selectorELNS0_4arch9wavefront6targetE0EEEvT1_.has_indirect_call, 0
	.section	.AMDGPU.csdata,"",@progbits
; Kernel info:
; codeLenInByte = 0
; TotalNumSgprs: 0
; NumVgprs: 0
; ScratchSize: 0
; MemoryBound: 0
; FloatMode: 240
; IeeeMode: 1
; LDSByteSize: 0 bytes/workgroup (compile time only)
; SGPRBlocks: 0
; VGPRBlocks: 0
; NumSGPRsForWavesPerEU: 1
; NumVGPRsForWavesPerEU: 1
; NamedBarCnt: 0
; Occupancy: 16
; WaveLimiterHint : 0
; COMPUTE_PGM_RSRC2:SCRATCH_EN: 0
; COMPUTE_PGM_RSRC2:USER_SGPR: 2
; COMPUTE_PGM_RSRC2:TRAP_HANDLER: 0
; COMPUTE_PGM_RSRC2:TGID_X_EN: 1
; COMPUTE_PGM_RSRC2:TGID_Y_EN: 0
; COMPUTE_PGM_RSRC2:TGID_Z_EN: 0
; COMPUTE_PGM_RSRC2:TIDIG_COMP_CNT: 0
	.section	.text._ZN7rocprim17ROCPRIM_400000_NS6detail17trampoline_kernelINS0_14default_configENS1_27scan_by_key_config_selectorIllEEZZNS1_16scan_by_key_implILNS1_25lookback_scan_determinismE0ELb0ES3_N6thrust23THRUST_200600_302600_NS16reverse_iteratorIPKlEESD_NSA_IPlEElN6hipcub16HIPCUB_304000_NS3MaxENSH_8EqualityElEE10hipError_tPvRmT2_T3_T4_T5_mT6_T7_P12ihipStream_tbENKUlT_T0_E_clISt17integral_constantIbLb0EES10_EEDaSV_SW_EUlSV_E_NS1_11comp_targetILNS1_3genE2ELNS1_11target_archE906ELNS1_3gpuE6ELNS1_3repE0EEENS1_30default_config_static_selectorELNS0_4arch9wavefront6targetE0EEEvT1_,"axG",@progbits,_ZN7rocprim17ROCPRIM_400000_NS6detail17trampoline_kernelINS0_14default_configENS1_27scan_by_key_config_selectorIllEEZZNS1_16scan_by_key_implILNS1_25lookback_scan_determinismE0ELb0ES3_N6thrust23THRUST_200600_302600_NS16reverse_iteratorIPKlEESD_NSA_IPlEElN6hipcub16HIPCUB_304000_NS3MaxENSH_8EqualityElEE10hipError_tPvRmT2_T3_T4_T5_mT6_T7_P12ihipStream_tbENKUlT_T0_E_clISt17integral_constantIbLb0EES10_EEDaSV_SW_EUlSV_E_NS1_11comp_targetILNS1_3genE2ELNS1_11target_archE906ELNS1_3gpuE6ELNS1_3repE0EEENS1_30default_config_static_selectorELNS0_4arch9wavefront6targetE0EEEvT1_,comdat
	.protected	_ZN7rocprim17ROCPRIM_400000_NS6detail17trampoline_kernelINS0_14default_configENS1_27scan_by_key_config_selectorIllEEZZNS1_16scan_by_key_implILNS1_25lookback_scan_determinismE0ELb0ES3_N6thrust23THRUST_200600_302600_NS16reverse_iteratorIPKlEESD_NSA_IPlEElN6hipcub16HIPCUB_304000_NS3MaxENSH_8EqualityElEE10hipError_tPvRmT2_T3_T4_T5_mT6_T7_P12ihipStream_tbENKUlT_T0_E_clISt17integral_constantIbLb0EES10_EEDaSV_SW_EUlSV_E_NS1_11comp_targetILNS1_3genE2ELNS1_11target_archE906ELNS1_3gpuE6ELNS1_3repE0EEENS1_30default_config_static_selectorELNS0_4arch9wavefront6targetE0EEEvT1_ ; -- Begin function _ZN7rocprim17ROCPRIM_400000_NS6detail17trampoline_kernelINS0_14default_configENS1_27scan_by_key_config_selectorIllEEZZNS1_16scan_by_key_implILNS1_25lookback_scan_determinismE0ELb0ES3_N6thrust23THRUST_200600_302600_NS16reverse_iteratorIPKlEESD_NSA_IPlEElN6hipcub16HIPCUB_304000_NS3MaxENSH_8EqualityElEE10hipError_tPvRmT2_T3_T4_T5_mT6_T7_P12ihipStream_tbENKUlT_T0_E_clISt17integral_constantIbLb0EES10_EEDaSV_SW_EUlSV_E_NS1_11comp_targetILNS1_3genE2ELNS1_11target_archE906ELNS1_3gpuE6ELNS1_3repE0EEENS1_30default_config_static_selectorELNS0_4arch9wavefront6targetE0EEEvT1_
	.globl	_ZN7rocprim17ROCPRIM_400000_NS6detail17trampoline_kernelINS0_14default_configENS1_27scan_by_key_config_selectorIllEEZZNS1_16scan_by_key_implILNS1_25lookback_scan_determinismE0ELb0ES3_N6thrust23THRUST_200600_302600_NS16reverse_iteratorIPKlEESD_NSA_IPlEElN6hipcub16HIPCUB_304000_NS3MaxENSH_8EqualityElEE10hipError_tPvRmT2_T3_T4_T5_mT6_T7_P12ihipStream_tbENKUlT_T0_E_clISt17integral_constantIbLb0EES10_EEDaSV_SW_EUlSV_E_NS1_11comp_targetILNS1_3genE2ELNS1_11target_archE906ELNS1_3gpuE6ELNS1_3repE0EEENS1_30default_config_static_selectorELNS0_4arch9wavefront6targetE0EEEvT1_
	.p2align	8
	.type	_ZN7rocprim17ROCPRIM_400000_NS6detail17trampoline_kernelINS0_14default_configENS1_27scan_by_key_config_selectorIllEEZZNS1_16scan_by_key_implILNS1_25lookback_scan_determinismE0ELb0ES3_N6thrust23THRUST_200600_302600_NS16reverse_iteratorIPKlEESD_NSA_IPlEElN6hipcub16HIPCUB_304000_NS3MaxENSH_8EqualityElEE10hipError_tPvRmT2_T3_T4_T5_mT6_T7_P12ihipStream_tbENKUlT_T0_E_clISt17integral_constantIbLb0EES10_EEDaSV_SW_EUlSV_E_NS1_11comp_targetILNS1_3genE2ELNS1_11target_archE906ELNS1_3gpuE6ELNS1_3repE0EEENS1_30default_config_static_selectorELNS0_4arch9wavefront6targetE0EEEvT1_,@function
_ZN7rocprim17ROCPRIM_400000_NS6detail17trampoline_kernelINS0_14default_configENS1_27scan_by_key_config_selectorIllEEZZNS1_16scan_by_key_implILNS1_25lookback_scan_determinismE0ELb0ES3_N6thrust23THRUST_200600_302600_NS16reverse_iteratorIPKlEESD_NSA_IPlEElN6hipcub16HIPCUB_304000_NS3MaxENSH_8EqualityElEE10hipError_tPvRmT2_T3_T4_T5_mT6_T7_P12ihipStream_tbENKUlT_T0_E_clISt17integral_constantIbLb0EES10_EEDaSV_SW_EUlSV_E_NS1_11comp_targetILNS1_3genE2ELNS1_11target_archE906ELNS1_3gpuE6ELNS1_3repE0EEENS1_30default_config_static_selectorELNS0_4arch9wavefront6targetE0EEEvT1_: ; @_ZN7rocprim17ROCPRIM_400000_NS6detail17trampoline_kernelINS0_14default_configENS1_27scan_by_key_config_selectorIllEEZZNS1_16scan_by_key_implILNS1_25lookback_scan_determinismE0ELb0ES3_N6thrust23THRUST_200600_302600_NS16reverse_iteratorIPKlEESD_NSA_IPlEElN6hipcub16HIPCUB_304000_NS3MaxENSH_8EqualityElEE10hipError_tPvRmT2_T3_T4_T5_mT6_T7_P12ihipStream_tbENKUlT_T0_E_clISt17integral_constantIbLb0EES10_EEDaSV_SW_EUlSV_E_NS1_11comp_targetILNS1_3genE2ELNS1_11target_archE906ELNS1_3gpuE6ELNS1_3repE0EEENS1_30default_config_static_selectorELNS0_4arch9wavefront6targetE0EEEvT1_
; %bb.0:
	.section	.rodata,"a",@progbits
	.p2align	6, 0x0
	.amdhsa_kernel _ZN7rocprim17ROCPRIM_400000_NS6detail17trampoline_kernelINS0_14default_configENS1_27scan_by_key_config_selectorIllEEZZNS1_16scan_by_key_implILNS1_25lookback_scan_determinismE0ELb0ES3_N6thrust23THRUST_200600_302600_NS16reverse_iteratorIPKlEESD_NSA_IPlEElN6hipcub16HIPCUB_304000_NS3MaxENSH_8EqualityElEE10hipError_tPvRmT2_T3_T4_T5_mT6_T7_P12ihipStream_tbENKUlT_T0_E_clISt17integral_constantIbLb0EES10_EEDaSV_SW_EUlSV_E_NS1_11comp_targetILNS1_3genE2ELNS1_11target_archE906ELNS1_3gpuE6ELNS1_3repE0EEENS1_30default_config_static_selectorELNS0_4arch9wavefront6targetE0EEEvT1_
		.amdhsa_group_segment_fixed_size 0
		.amdhsa_private_segment_fixed_size 0
		.amdhsa_kernarg_size 136
		.amdhsa_user_sgpr_count 2
		.amdhsa_user_sgpr_dispatch_ptr 0
		.amdhsa_user_sgpr_queue_ptr 0
		.amdhsa_user_sgpr_kernarg_segment_ptr 1
		.amdhsa_user_sgpr_dispatch_id 0
		.amdhsa_user_sgpr_kernarg_preload_length 0
		.amdhsa_user_sgpr_kernarg_preload_offset 0
		.amdhsa_user_sgpr_private_segment_size 0
		.amdhsa_wavefront_size32 1
		.amdhsa_uses_dynamic_stack 0
		.amdhsa_enable_private_segment 0
		.amdhsa_system_sgpr_workgroup_id_x 1
		.amdhsa_system_sgpr_workgroup_id_y 0
		.amdhsa_system_sgpr_workgroup_id_z 0
		.amdhsa_system_sgpr_workgroup_info 0
		.amdhsa_system_vgpr_workitem_id 0
		.amdhsa_next_free_vgpr 1
		.amdhsa_next_free_sgpr 1
		.amdhsa_named_barrier_count 0
		.amdhsa_reserve_vcc 0
		.amdhsa_float_round_mode_32 0
		.amdhsa_float_round_mode_16_64 0
		.amdhsa_float_denorm_mode_32 3
		.amdhsa_float_denorm_mode_16_64 3
		.amdhsa_fp16_overflow 0
		.amdhsa_memory_ordered 1
		.amdhsa_forward_progress 1
		.amdhsa_inst_pref_size 0
		.amdhsa_round_robin_scheduling 0
		.amdhsa_exception_fp_ieee_invalid_op 0
		.amdhsa_exception_fp_denorm_src 0
		.amdhsa_exception_fp_ieee_div_zero 0
		.amdhsa_exception_fp_ieee_overflow 0
		.amdhsa_exception_fp_ieee_underflow 0
		.amdhsa_exception_fp_ieee_inexact 0
		.amdhsa_exception_int_div_zero 0
	.end_amdhsa_kernel
	.section	.text._ZN7rocprim17ROCPRIM_400000_NS6detail17trampoline_kernelINS0_14default_configENS1_27scan_by_key_config_selectorIllEEZZNS1_16scan_by_key_implILNS1_25lookback_scan_determinismE0ELb0ES3_N6thrust23THRUST_200600_302600_NS16reverse_iteratorIPKlEESD_NSA_IPlEElN6hipcub16HIPCUB_304000_NS3MaxENSH_8EqualityElEE10hipError_tPvRmT2_T3_T4_T5_mT6_T7_P12ihipStream_tbENKUlT_T0_E_clISt17integral_constantIbLb0EES10_EEDaSV_SW_EUlSV_E_NS1_11comp_targetILNS1_3genE2ELNS1_11target_archE906ELNS1_3gpuE6ELNS1_3repE0EEENS1_30default_config_static_selectorELNS0_4arch9wavefront6targetE0EEEvT1_,"axG",@progbits,_ZN7rocprim17ROCPRIM_400000_NS6detail17trampoline_kernelINS0_14default_configENS1_27scan_by_key_config_selectorIllEEZZNS1_16scan_by_key_implILNS1_25lookback_scan_determinismE0ELb0ES3_N6thrust23THRUST_200600_302600_NS16reverse_iteratorIPKlEESD_NSA_IPlEElN6hipcub16HIPCUB_304000_NS3MaxENSH_8EqualityElEE10hipError_tPvRmT2_T3_T4_T5_mT6_T7_P12ihipStream_tbENKUlT_T0_E_clISt17integral_constantIbLb0EES10_EEDaSV_SW_EUlSV_E_NS1_11comp_targetILNS1_3genE2ELNS1_11target_archE906ELNS1_3gpuE6ELNS1_3repE0EEENS1_30default_config_static_selectorELNS0_4arch9wavefront6targetE0EEEvT1_,comdat
.Lfunc_end142:
	.size	_ZN7rocprim17ROCPRIM_400000_NS6detail17trampoline_kernelINS0_14default_configENS1_27scan_by_key_config_selectorIllEEZZNS1_16scan_by_key_implILNS1_25lookback_scan_determinismE0ELb0ES3_N6thrust23THRUST_200600_302600_NS16reverse_iteratorIPKlEESD_NSA_IPlEElN6hipcub16HIPCUB_304000_NS3MaxENSH_8EqualityElEE10hipError_tPvRmT2_T3_T4_T5_mT6_T7_P12ihipStream_tbENKUlT_T0_E_clISt17integral_constantIbLb0EES10_EEDaSV_SW_EUlSV_E_NS1_11comp_targetILNS1_3genE2ELNS1_11target_archE906ELNS1_3gpuE6ELNS1_3repE0EEENS1_30default_config_static_selectorELNS0_4arch9wavefront6targetE0EEEvT1_, .Lfunc_end142-_ZN7rocprim17ROCPRIM_400000_NS6detail17trampoline_kernelINS0_14default_configENS1_27scan_by_key_config_selectorIllEEZZNS1_16scan_by_key_implILNS1_25lookback_scan_determinismE0ELb0ES3_N6thrust23THRUST_200600_302600_NS16reverse_iteratorIPKlEESD_NSA_IPlEElN6hipcub16HIPCUB_304000_NS3MaxENSH_8EqualityElEE10hipError_tPvRmT2_T3_T4_T5_mT6_T7_P12ihipStream_tbENKUlT_T0_E_clISt17integral_constantIbLb0EES10_EEDaSV_SW_EUlSV_E_NS1_11comp_targetILNS1_3genE2ELNS1_11target_archE906ELNS1_3gpuE6ELNS1_3repE0EEENS1_30default_config_static_selectorELNS0_4arch9wavefront6targetE0EEEvT1_
                                        ; -- End function
	.set _ZN7rocprim17ROCPRIM_400000_NS6detail17trampoline_kernelINS0_14default_configENS1_27scan_by_key_config_selectorIllEEZZNS1_16scan_by_key_implILNS1_25lookback_scan_determinismE0ELb0ES3_N6thrust23THRUST_200600_302600_NS16reverse_iteratorIPKlEESD_NSA_IPlEElN6hipcub16HIPCUB_304000_NS3MaxENSH_8EqualityElEE10hipError_tPvRmT2_T3_T4_T5_mT6_T7_P12ihipStream_tbENKUlT_T0_E_clISt17integral_constantIbLb0EES10_EEDaSV_SW_EUlSV_E_NS1_11comp_targetILNS1_3genE2ELNS1_11target_archE906ELNS1_3gpuE6ELNS1_3repE0EEENS1_30default_config_static_selectorELNS0_4arch9wavefront6targetE0EEEvT1_.num_vgpr, 0
	.set _ZN7rocprim17ROCPRIM_400000_NS6detail17trampoline_kernelINS0_14default_configENS1_27scan_by_key_config_selectorIllEEZZNS1_16scan_by_key_implILNS1_25lookback_scan_determinismE0ELb0ES3_N6thrust23THRUST_200600_302600_NS16reverse_iteratorIPKlEESD_NSA_IPlEElN6hipcub16HIPCUB_304000_NS3MaxENSH_8EqualityElEE10hipError_tPvRmT2_T3_T4_T5_mT6_T7_P12ihipStream_tbENKUlT_T0_E_clISt17integral_constantIbLb0EES10_EEDaSV_SW_EUlSV_E_NS1_11comp_targetILNS1_3genE2ELNS1_11target_archE906ELNS1_3gpuE6ELNS1_3repE0EEENS1_30default_config_static_selectorELNS0_4arch9wavefront6targetE0EEEvT1_.num_agpr, 0
	.set _ZN7rocprim17ROCPRIM_400000_NS6detail17trampoline_kernelINS0_14default_configENS1_27scan_by_key_config_selectorIllEEZZNS1_16scan_by_key_implILNS1_25lookback_scan_determinismE0ELb0ES3_N6thrust23THRUST_200600_302600_NS16reverse_iteratorIPKlEESD_NSA_IPlEElN6hipcub16HIPCUB_304000_NS3MaxENSH_8EqualityElEE10hipError_tPvRmT2_T3_T4_T5_mT6_T7_P12ihipStream_tbENKUlT_T0_E_clISt17integral_constantIbLb0EES10_EEDaSV_SW_EUlSV_E_NS1_11comp_targetILNS1_3genE2ELNS1_11target_archE906ELNS1_3gpuE6ELNS1_3repE0EEENS1_30default_config_static_selectorELNS0_4arch9wavefront6targetE0EEEvT1_.numbered_sgpr, 0
	.set _ZN7rocprim17ROCPRIM_400000_NS6detail17trampoline_kernelINS0_14default_configENS1_27scan_by_key_config_selectorIllEEZZNS1_16scan_by_key_implILNS1_25lookback_scan_determinismE0ELb0ES3_N6thrust23THRUST_200600_302600_NS16reverse_iteratorIPKlEESD_NSA_IPlEElN6hipcub16HIPCUB_304000_NS3MaxENSH_8EqualityElEE10hipError_tPvRmT2_T3_T4_T5_mT6_T7_P12ihipStream_tbENKUlT_T0_E_clISt17integral_constantIbLb0EES10_EEDaSV_SW_EUlSV_E_NS1_11comp_targetILNS1_3genE2ELNS1_11target_archE906ELNS1_3gpuE6ELNS1_3repE0EEENS1_30default_config_static_selectorELNS0_4arch9wavefront6targetE0EEEvT1_.num_named_barrier, 0
	.set _ZN7rocprim17ROCPRIM_400000_NS6detail17trampoline_kernelINS0_14default_configENS1_27scan_by_key_config_selectorIllEEZZNS1_16scan_by_key_implILNS1_25lookback_scan_determinismE0ELb0ES3_N6thrust23THRUST_200600_302600_NS16reverse_iteratorIPKlEESD_NSA_IPlEElN6hipcub16HIPCUB_304000_NS3MaxENSH_8EqualityElEE10hipError_tPvRmT2_T3_T4_T5_mT6_T7_P12ihipStream_tbENKUlT_T0_E_clISt17integral_constantIbLb0EES10_EEDaSV_SW_EUlSV_E_NS1_11comp_targetILNS1_3genE2ELNS1_11target_archE906ELNS1_3gpuE6ELNS1_3repE0EEENS1_30default_config_static_selectorELNS0_4arch9wavefront6targetE0EEEvT1_.private_seg_size, 0
	.set _ZN7rocprim17ROCPRIM_400000_NS6detail17trampoline_kernelINS0_14default_configENS1_27scan_by_key_config_selectorIllEEZZNS1_16scan_by_key_implILNS1_25lookback_scan_determinismE0ELb0ES3_N6thrust23THRUST_200600_302600_NS16reverse_iteratorIPKlEESD_NSA_IPlEElN6hipcub16HIPCUB_304000_NS3MaxENSH_8EqualityElEE10hipError_tPvRmT2_T3_T4_T5_mT6_T7_P12ihipStream_tbENKUlT_T0_E_clISt17integral_constantIbLb0EES10_EEDaSV_SW_EUlSV_E_NS1_11comp_targetILNS1_3genE2ELNS1_11target_archE906ELNS1_3gpuE6ELNS1_3repE0EEENS1_30default_config_static_selectorELNS0_4arch9wavefront6targetE0EEEvT1_.uses_vcc, 0
	.set _ZN7rocprim17ROCPRIM_400000_NS6detail17trampoline_kernelINS0_14default_configENS1_27scan_by_key_config_selectorIllEEZZNS1_16scan_by_key_implILNS1_25lookback_scan_determinismE0ELb0ES3_N6thrust23THRUST_200600_302600_NS16reverse_iteratorIPKlEESD_NSA_IPlEElN6hipcub16HIPCUB_304000_NS3MaxENSH_8EqualityElEE10hipError_tPvRmT2_T3_T4_T5_mT6_T7_P12ihipStream_tbENKUlT_T0_E_clISt17integral_constantIbLb0EES10_EEDaSV_SW_EUlSV_E_NS1_11comp_targetILNS1_3genE2ELNS1_11target_archE906ELNS1_3gpuE6ELNS1_3repE0EEENS1_30default_config_static_selectorELNS0_4arch9wavefront6targetE0EEEvT1_.uses_flat_scratch, 0
	.set _ZN7rocprim17ROCPRIM_400000_NS6detail17trampoline_kernelINS0_14default_configENS1_27scan_by_key_config_selectorIllEEZZNS1_16scan_by_key_implILNS1_25lookback_scan_determinismE0ELb0ES3_N6thrust23THRUST_200600_302600_NS16reverse_iteratorIPKlEESD_NSA_IPlEElN6hipcub16HIPCUB_304000_NS3MaxENSH_8EqualityElEE10hipError_tPvRmT2_T3_T4_T5_mT6_T7_P12ihipStream_tbENKUlT_T0_E_clISt17integral_constantIbLb0EES10_EEDaSV_SW_EUlSV_E_NS1_11comp_targetILNS1_3genE2ELNS1_11target_archE906ELNS1_3gpuE6ELNS1_3repE0EEENS1_30default_config_static_selectorELNS0_4arch9wavefront6targetE0EEEvT1_.has_dyn_sized_stack, 0
	.set _ZN7rocprim17ROCPRIM_400000_NS6detail17trampoline_kernelINS0_14default_configENS1_27scan_by_key_config_selectorIllEEZZNS1_16scan_by_key_implILNS1_25lookback_scan_determinismE0ELb0ES3_N6thrust23THRUST_200600_302600_NS16reverse_iteratorIPKlEESD_NSA_IPlEElN6hipcub16HIPCUB_304000_NS3MaxENSH_8EqualityElEE10hipError_tPvRmT2_T3_T4_T5_mT6_T7_P12ihipStream_tbENKUlT_T0_E_clISt17integral_constantIbLb0EES10_EEDaSV_SW_EUlSV_E_NS1_11comp_targetILNS1_3genE2ELNS1_11target_archE906ELNS1_3gpuE6ELNS1_3repE0EEENS1_30default_config_static_selectorELNS0_4arch9wavefront6targetE0EEEvT1_.has_recursion, 0
	.set _ZN7rocprim17ROCPRIM_400000_NS6detail17trampoline_kernelINS0_14default_configENS1_27scan_by_key_config_selectorIllEEZZNS1_16scan_by_key_implILNS1_25lookback_scan_determinismE0ELb0ES3_N6thrust23THRUST_200600_302600_NS16reverse_iteratorIPKlEESD_NSA_IPlEElN6hipcub16HIPCUB_304000_NS3MaxENSH_8EqualityElEE10hipError_tPvRmT2_T3_T4_T5_mT6_T7_P12ihipStream_tbENKUlT_T0_E_clISt17integral_constantIbLb0EES10_EEDaSV_SW_EUlSV_E_NS1_11comp_targetILNS1_3genE2ELNS1_11target_archE906ELNS1_3gpuE6ELNS1_3repE0EEENS1_30default_config_static_selectorELNS0_4arch9wavefront6targetE0EEEvT1_.has_indirect_call, 0
	.section	.AMDGPU.csdata,"",@progbits
; Kernel info:
; codeLenInByte = 0
; TotalNumSgprs: 0
; NumVgprs: 0
; ScratchSize: 0
; MemoryBound: 0
; FloatMode: 240
; IeeeMode: 1
; LDSByteSize: 0 bytes/workgroup (compile time only)
; SGPRBlocks: 0
; VGPRBlocks: 0
; NumSGPRsForWavesPerEU: 1
; NumVGPRsForWavesPerEU: 1
; NamedBarCnt: 0
; Occupancy: 16
; WaveLimiterHint : 0
; COMPUTE_PGM_RSRC2:SCRATCH_EN: 0
; COMPUTE_PGM_RSRC2:USER_SGPR: 2
; COMPUTE_PGM_RSRC2:TRAP_HANDLER: 0
; COMPUTE_PGM_RSRC2:TGID_X_EN: 1
; COMPUTE_PGM_RSRC2:TGID_Y_EN: 0
; COMPUTE_PGM_RSRC2:TGID_Z_EN: 0
; COMPUTE_PGM_RSRC2:TIDIG_COMP_CNT: 0
	.section	.text._ZN7rocprim17ROCPRIM_400000_NS6detail17trampoline_kernelINS0_14default_configENS1_27scan_by_key_config_selectorIllEEZZNS1_16scan_by_key_implILNS1_25lookback_scan_determinismE0ELb0ES3_N6thrust23THRUST_200600_302600_NS16reverse_iteratorIPKlEESD_NSA_IPlEElN6hipcub16HIPCUB_304000_NS3MaxENSH_8EqualityElEE10hipError_tPvRmT2_T3_T4_T5_mT6_T7_P12ihipStream_tbENKUlT_T0_E_clISt17integral_constantIbLb0EES10_EEDaSV_SW_EUlSV_E_NS1_11comp_targetILNS1_3genE10ELNS1_11target_archE1200ELNS1_3gpuE4ELNS1_3repE0EEENS1_30default_config_static_selectorELNS0_4arch9wavefront6targetE0EEEvT1_,"axG",@progbits,_ZN7rocprim17ROCPRIM_400000_NS6detail17trampoline_kernelINS0_14default_configENS1_27scan_by_key_config_selectorIllEEZZNS1_16scan_by_key_implILNS1_25lookback_scan_determinismE0ELb0ES3_N6thrust23THRUST_200600_302600_NS16reverse_iteratorIPKlEESD_NSA_IPlEElN6hipcub16HIPCUB_304000_NS3MaxENSH_8EqualityElEE10hipError_tPvRmT2_T3_T4_T5_mT6_T7_P12ihipStream_tbENKUlT_T0_E_clISt17integral_constantIbLb0EES10_EEDaSV_SW_EUlSV_E_NS1_11comp_targetILNS1_3genE10ELNS1_11target_archE1200ELNS1_3gpuE4ELNS1_3repE0EEENS1_30default_config_static_selectorELNS0_4arch9wavefront6targetE0EEEvT1_,comdat
	.protected	_ZN7rocprim17ROCPRIM_400000_NS6detail17trampoline_kernelINS0_14default_configENS1_27scan_by_key_config_selectorIllEEZZNS1_16scan_by_key_implILNS1_25lookback_scan_determinismE0ELb0ES3_N6thrust23THRUST_200600_302600_NS16reverse_iteratorIPKlEESD_NSA_IPlEElN6hipcub16HIPCUB_304000_NS3MaxENSH_8EqualityElEE10hipError_tPvRmT2_T3_T4_T5_mT6_T7_P12ihipStream_tbENKUlT_T0_E_clISt17integral_constantIbLb0EES10_EEDaSV_SW_EUlSV_E_NS1_11comp_targetILNS1_3genE10ELNS1_11target_archE1200ELNS1_3gpuE4ELNS1_3repE0EEENS1_30default_config_static_selectorELNS0_4arch9wavefront6targetE0EEEvT1_ ; -- Begin function _ZN7rocprim17ROCPRIM_400000_NS6detail17trampoline_kernelINS0_14default_configENS1_27scan_by_key_config_selectorIllEEZZNS1_16scan_by_key_implILNS1_25lookback_scan_determinismE0ELb0ES3_N6thrust23THRUST_200600_302600_NS16reverse_iteratorIPKlEESD_NSA_IPlEElN6hipcub16HIPCUB_304000_NS3MaxENSH_8EqualityElEE10hipError_tPvRmT2_T3_T4_T5_mT6_T7_P12ihipStream_tbENKUlT_T0_E_clISt17integral_constantIbLb0EES10_EEDaSV_SW_EUlSV_E_NS1_11comp_targetILNS1_3genE10ELNS1_11target_archE1200ELNS1_3gpuE4ELNS1_3repE0EEENS1_30default_config_static_selectorELNS0_4arch9wavefront6targetE0EEEvT1_
	.globl	_ZN7rocprim17ROCPRIM_400000_NS6detail17trampoline_kernelINS0_14default_configENS1_27scan_by_key_config_selectorIllEEZZNS1_16scan_by_key_implILNS1_25lookback_scan_determinismE0ELb0ES3_N6thrust23THRUST_200600_302600_NS16reverse_iteratorIPKlEESD_NSA_IPlEElN6hipcub16HIPCUB_304000_NS3MaxENSH_8EqualityElEE10hipError_tPvRmT2_T3_T4_T5_mT6_T7_P12ihipStream_tbENKUlT_T0_E_clISt17integral_constantIbLb0EES10_EEDaSV_SW_EUlSV_E_NS1_11comp_targetILNS1_3genE10ELNS1_11target_archE1200ELNS1_3gpuE4ELNS1_3repE0EEENS1_30default_config_static_selectorELNS0_4arch9wavefront6targetE0EEEvT1_
	.p2align	8
	.type	_ZN7rocprim17ROCPRIM_400000_NS6detail17trampoline_kernelINS0_14default_configENS1_27scan_by_key_config_selectorIllEEZZNS1_16scan_by_key_implILNS1_25lookback_scan_determinismE0ELb0ES3_N6thrust23THRUST_200600_302600_NS16reverse_iteratorIPKlEESD_NSA_IPlEElN6hipcub16HIPCUB_304000_NS3MaxENSH_8EqualityElEE10hipError_tPvRmT2_T3_T4_T5_mT6_T7_P12ihipStream_tbENKUlT_T0_E_clISt17integral_constantIbLb0EES10_EEDaSV_SW_EUlSV_E_NS1_11comp_targetILNS1_3genE10ELNS1_11target_archE1200ELNS1_3gpuE4ELNS1_3repE0EEENS1_30default_config_static_selectorELNS0_4arch9wavefront6targetE0EEEvT1_,@function
_ZN7rocprim17ROCPRIM_400000_NS6detail17trampoline_kernelINS0_14default_configENS1_27scan_by_key_config_selectorIllEEZZNS1_16scan_by_key_implILNS1_25lookback_scan_determinismE0ELb0ES3_N6thrust23THRUST_200600_302600_NS16reverse_iteratorIPKlEESD_NSA_IPlEElN6hipcub16HIPCUB_304000_NS3MaxENSH_8EqualityElEE10hipError_tPvRmT2_T3_T4_T5_mT6_T7_P12ihipStream_tbENKUlT_T0_E_clISt17integral_constantIbLb0EES10_EEDaSV_SW_EUlSV_E_NS1_11comp_targetILNS1_3genE10ELNS1_11target_archE1200ELNS1_3gpuE4ELNS1_3repE0EEENS1_30default_config_static_selectorELNS0_4arch9wavefront6targetE0EEEvT1_: ; @_ZN7rocprim17ROCPRIM_400000_NS6detail17trampoline_kernelINS0_14default_configENS1_27scan_by_key_config_selectorIllEEZZNS1_16scan_by_key_implILNS1_25lookback_scan_determinismE0ELb0ES3_N6thrust23THRUST_200600_302600_NS16reverse_iteratorIPKlEESD_NSA_IPlEElN6hipcub16HIPCUB_304000_NS3MaxENSH_8EqualityElEE10hipError_tPvRmT2_T3_T4_T5_mT6_T7_P12ihipStream_tbENKUlT_T0_E_clISt17integral_constantIbLb0EES10_EEDaSV_SW_EUlSV_E_NS1_11comp_targetILNS1_3genE10ELNS1_11target_archE1200ELNS1_3gpuE4ELNS1_3repE0EEENS1_30default_config_static_selectorELNS0_4arch9wavefront6targetE0EEEvT1_
; %bb.0:
	.section	.rodata,"a",@progbits
	.p2align	6, 0x0
	.amdhsa_kernel _ZN7rocprim17ROCPRIM_400000_NS6detail17trampoline_kernelINS0_14default_configENS1_27scan_by_key_config_selectorIllEEZZNS1_16scan_by_key_implILNS1_25lookback_scan_determinismE0ELb0ES3_N6thrust23THRUST_200600_302600_NS16reverse_iteratorIPKlEESD_NSA_IPlEElN6hipcub16HIPCUB_304000_NS3MaxENSH_8EqualityElEE10hipError_tPvRmT2_T3_T4_T5_mT6_T7_P12ihipStream_tbENKUlT_T0_E_clISt17integral_constantIbLb0EES10_EEDaSV_SW_EUlSV_E_NS1_11comp_targetILNS1_3genE10ELNS1_11target_archE1200ELNS1_3gpuE4ELNS1_3repE0EEENS1_30default_config_static_selectorELNS0_4arch9wavefront6targetE0EEEvT1_
		.amdhsa_group_segment_fixed_size 0
		.amdhsa_private_segment_fixed_size 0
		.amdhsa_kernarg_size 136
		.amdhsa_user_sgpr_count 2
		.amdhsa_user_sgpr_dispatch_ptr 0
		.amdhsa_user_sgpr_queue_ptr 0
		.amdhsa_user_sgpr_kernarg_segment_ptr 1
		.amdhsa_user_sgpr_dispatch_id 0
		.amdhsa_user_sgpr_kernarg_preload_length 0
		.amdhsa_user_sgpr_kernarg_preload_offset 0
		.amdhsa_user_sgpr_private_segment_size 0
		.amdhsa_wavefront_size32 1
		.amdhsa_uses_dynamic_stack 0
		.amdhsa_enable_private_segment 0
		.amdhsa_system_sgpr_workgroup_id_x 1
		.amdhsa_system_sgpr_workgroup_id_y 0
		.amdhsa_system_sgpr_workgroup_id_z 0
		.amdhsa_system_sgpr_workgroup_info 0
		.amdhsa_system_vgpr_workitem_id 0
		.amdhsa_next_free_vgpr 1
		.amdhsa_next_free_sgpr 1
		.amdhsa_named_barrier_count 0
		.amdhsa_reserve_vcc 0
		.amdhsa_float_round_mode_32 0
		.amdhsa_float_round_mode_16_64 0
		.amdhsa_float_denorm_mode_32 3
		.amdhsa_float_denorm_mode_16_64 3
		.amdhsa_fp16_overflow 0
		.amdhsa_memory_ordered 1
		.amdhsa_forward_progress 1
		.amdhsa_inst_pref_size 0
		.amdhsa_round_robin_scheduling 0
		.amdhsa_exception_fp_ieee_invalid_op 0
		.amdhsa_exception_fp_denorm_src 0
		.amdhsa_exception_fp_ieee_div_zero 0
		.amdhsa_exception_fp_ieee_overflow 0
		.amdhsa_exception_fp_ieee_underflow 0
		.amdhsa_exception_fp_ieee_inexact 0
		.amdhsa_exception_int_div_zero 0
	.end_amdhsa_kernel
	.section	.text._ZN7rocprim17ROCPRIM_400000_NS6detail17trampoline_kernelINS0_14default_configENS1_27scan_by_key_config_selectorIllEEZZNS1_16scan_by_key_implILNS1_25lookback_scan_determinismE0ELb0ES3_N6thrust23THRUST_200600_302600_NS16reverse_iteratorIPKlEESD_NSA_IPlEElN6hipcub16HIPCUB_304000_NS3MaxENSH_8EqualityElEE10hipError_tPvRmT2_T3_T4_T5_mT6_T7_P12ihipStream_tbENKUlT_T0_E_clISt17integral_constantIbLb0EES10_EEDaSV_SW_EUlSV_E_NS1_11comp_targetILNS1_3genE10ELNS1_11target_archE1200ELNS1_3gpuE4ELNS1_3repE0EEENS1_30default_config_static_selectorELNS0_4arch9wavefront6targetE0EEEvT1_,"axG",@progbits,_ZN7rocprim17ROCPRIM_400000_NS6detail17trampoline_kernelINS0_14default_configENS1_27scan_by_key_config_selectorIllEEZZNS1_16scan_by_key_implILNS1_25lookback_scan_determinismE0ELb0ES3_N6thrust23THRUST_200600_302600_NS16reverse_iteratorIPKlEESD_NSA_IPlEElN6hipcub16HIPCUB_304000_NS3MaxENSH_8EqualityElEE10hipError_tPvRmT2_T3_T4_T5_mT6_T7_P12ihipStream_tbENKUlT_T0_E_clISt17integral_constantIbLb0EES10_EEDaSV_SW_EUlSV_E_NS1_11comp_targetILNS1_3genE10ELNS1_11target_archE1200ELNS1_3gpuE4ELNS1_3repE0EEENS1_30default_config_static_selectorELNS0_4arch9wavefront6targetE0EEEvT1_,comdat
.Lfunc_end143:
	.size	_ZN7rocprim17ROCPRIM_400000_NS6detail17trampoline_kernelINS0_14default_configENS1_27scan_by_key_config_selectorIllEEZZNS1_16scan_by_key_implILNS1_25lookback_scan_determinismE0ELb0ES3_N6thrust23THRUST_200600_302600_NS16reverse_iteratorIPKlEESD_NSA_IPlEElN6hipcub16HIPCUB_304000_NS3MaxENSH_8EqualityElEE10hipError_tPvRmT2_T3_T4_T5_mT6_T7_P12ihipStream_tbENKUlT_T0_E_clISt17integral_constantIbLb0EES10_EEDaSV_SW_EUlSV_E_NS1_11comp_targetILNS1_3genE10ELNS1_11target_archE1200ELNS1_3gpuE4ELNS1_3repE0EEENS1_30default_config_static_selectorELNS0_4arch9wavefront6targetE0EEEvT1_, .Lfunc_end143-_ZN7rocprim17ROCPRIM_400000_NS6detail17trampoline_kernelINS0_14default_configENS1_27scan_by_key_config_selectorIllEEZZNS1_16scan_by_key_implILNS1_25lookback_scan_determinismE0ELb0ES3_N6thrust23THRUST_200600_302600_NS16reverse_iteratorIPKlEESD_NSA_IPlEElN6hipcub16HIPCUB_304000_NS3MaxENSH_8EqualityElEE10hipError_tPvRmT2_T3_T4_T5_mT6_T7_P12ihipStream_tbENKUlT_T0_E_clISt17integral_constantIbLb0EES10_EEDaSV_SW_EUlSV_E_NS1_11comp_targetILNS1_3genE10ELNS1_11target_archE1200ELNS1_3gpuE4ELNS1_3repE0EEENS1_30default_config_static_selectorELNS0_4arch9wavefront6targetE0EEEvT1_
                                        ; -- End function
	.set _ZN7rocprim17ROCPRIM_400000_NS6detail17trampoline_kernelINS0_14default_configENS1_27scan_by_key_config_selectorIllEEZZNS1_16scan_by_key_implILNS1_25lookback_scan_determinismE0ELb0ES3_N6thrust23THRUST_200600_302600_NS16reverse_iteratorIPKlEESD_NSA_IPlEElN6hipcub16HIPCUB_304000_NS3MaxENSH_8EqualityElEE10hipError_tPvRmT2_T3_T4_T5_mT6_T7_P12ihipStream_tbENKUlT_T0_E_clISt17integral_constantIbLb0EES10_EEDaSV_SW_EUlSV_E_NS1_11comp_targetILNS1_3genE10ELNS1_11target_archE1200ELNS1_3gpuE4ELNS1_3repE0EEENS1_30default_config_static_selectorELNS0_4arch9wavefront6targetE0EEEvT1_.num_vgpr, 0
	.set _ZN7rocprim17ROCPRIM_400000_NS6detail17trampoline_kernelINS0_14default_configENS1_27scan_by_key_config_selectorIllEEZZNS1_16scan_by_key_implILNS1_25lookback_scan_determinismE0ELb0ES3_N6thrust23THRUST_200600_302600_NS16reverse_iteratorIPKlEESD_NSA_IPlEElN6hipcub16HIPCUB_304000_NS3MaxENSH_8EqualityElEE10hipError_tPvRmT2_T3_T4_T5_mT6_T7_P12ihipStream_tbENKUlT_T0_E_clISt17integral_constantIbLb0EES10_EEDaSV_SW_EUlSV_E_NS1_11comp_targetILNS1_3genE10ELNS1_11target_archE1200ELNS1_3gpuE4ELNS1_3repE0EEENS1_30default_config_static_selectorELNS0_4arch9wavefront6targetE0EEEvT1_.num_agpr, 0
	.set _ZN7rocprim17ROCPRIM_400000_NS6detail17trampoline_kernelINS0_14default_configENS1_27scan_by_key_config_selectorIllEEZZNS1_16scan_by_key_implILNS1_25lookback_scan_determinismE0ELb0ES3_N6thrust23THRUST_200600_302600_NS16reverse_iteratorIPKlEESD_NSA_IPlEElN6hipcub16HIPCUB_304000_NS3MaxENSH_8EqualityElEE10hipError_tPvRmT2_T3_T4_T5_mT6_T7_P12ihipStream_tbENKUlT_T0_E_clISt17integral_constantIbLb0EES10_EEDaSV_SW_EUlSV_E_NS1_11comp_targetILNS1_3genE10ELNS1_11target_archE1200ELNS1_3gpuE4ELNS1_3repE0EEENS1_30default_config_static_selectorELNS0_4arch9wavefront6targetE0EEEvT1_.numbered_sgpr, 0
	.set _ZN7rocprim17ROCPRIM_400000_NS6detail17trampoline_kernelINS0_14default_configENS1_27scan_by_key_config_selectorIllEEZZNS1_16scan_by_key_implILNS1_25lookback_scan_determinismE0ELb0ES3_N6thrust23THRUST_200600_302600_NS16reverse_iteratorIPKlEESD_NSA_IPlEElN6hipcub16HIPCUB_304000_NS3MaxENSH_8EqualityElEE10hipError_tPvRmT2_T3_T4_T5_mT6_T7_P12ihipStream_tbENKUlT_T0_E_clISt17integral_constantIbLb0EES10_EEDaSV_SW_EUlSV_E_NS1_11comp_targetILNS1_3genE10ELNS1_11target_archE1200ELNS1_3gpuE4ELNS1_3repE0EEENS1_30default_config_static_selectorELNS0_4arch9wavefront6targetE0EEEvT1_.num_named_barrier, 0
	.set _ZN7rocprim17ROCPRIM_400000_NS6detail17trampoline_kernelINS0_14default_configENS1_27scan_by_key_config_selectorIllEEZZNS1_16scan_by_key_implILNS1_25lookback_scan_determinismE0ELb0ES3_N6thrust23THRUST_200600_302600_NS16reverse_iteratorIPKlEESD_NSA_IPlEElN6hipcub16HIPCUB_304000_NS3MaxENSH_8EqualityElEE10hipError_tPvRmT2_T3_T4_T5_mT6_T7_P12ihipStream_tbENKUlT_T0_E_clISt17integral_constantIbLb0EES10_EEDaSV_SW_EUlSV_E_NS1_11comp_targetILNS1_3genE10ELNS1_11target_archE1200ELNS1_3gpuE4ELNS1_3repE0EEENS1_30default_config_static_selectorELNS0_4arch9wavefront6targetE0EEEvT1_.private_seg_size, 0
	.set _ZN7rocprim17ROCPRIM_400000_NS6detail17trampoline_kernelINS0_14default_configENS1_27scan_by_key_config_selectorIllEEZZNS1_16scan_by_key_implILNS1_25lookback_scan_determinismE0ELb0ES3_N6thrust23THRUST_200600_302600_NS16reverse_iteratorIPKlEESD_NSA_IPlEElN6hipcub16HIPCUB_304000_NS3MaxENSH_8EqualityElEE10hipError_tPvRmT2_T3_T4_T5_mT6_T7_P12ihipStream_tbENKUlT_T0_E_clISt17integral_constantIbLb0EES10_EEDaSV_SW_EUlSV_E_NS1_11comp_targetILNS1_3genE10ELNS1_11target_archE1200ELNS1_3gpuE4ELNS1_3repE0EEENS1_30default_config_static_selectorELNS0_4arch9wavefront6targetE0EEEvT1_.uses_vcc, 0
	.set _ZN7rocprim17ROCPRIM_400000_NS6detail17trampoline_kernelINS0_14default_configENS1_27scan_by_key_config_selectorIllEEZZNS1_16scan_by_key_implILNS1_25lookback_scan_determinismE0ELb0ES3_N6thrust23THRUST_200600_302600_NS16reverse_iteratorIPKlEESD_NSA_IPlEElN6hipcub16HIPCUB_304000_NS3MaxENSH_8EqualityElEE10hipError_tPvRmT2_T3_T4_T5_mT6_T7_P12ihipStream_tbENKUlT_T0_E_clISt17integral_constantIbLb0EES10_EEDaSV_SW_EUlSV_E_NS1_11comp_targetILNS1_3genE10ELNS1_11target_archE1200ELNS1_3gpuE4ELNS1_3repE0EEENS1_30default_config_static_selectorELNS0_4arch9wavefront6targetE0EEEvT1_.uses_flat_scratch, 0
	.set _ZN7rocprim17ROCPRIM_400000_NS6detail17trampoline_kernelINS0_14default_configENS1_27scan_by_key_config_selectorIllEEZZNS1_16scan_by_key_implILNS1_25lookback_scan_determinismE0ELb0ES3_N6thrust23THRUST_200600_302600_NS16reverse_iteratorIPKlEESD_NSA_IPlEElN6hipcub16HIPCUB_304000_NS3MaxENSH_8EqualityElEE10hipError_tPvRmT2_T3_T4_T5_mT6_T7_P12ihipStream_tbENKUlT_T0_E_clISt17integral_constantIbLb0EES10_EEDaSV_SW_EUlSV_E_NS1_11comp_targetILNS1_3genE10ELNS1_11target_archE1200ELNS1_3gpuE4ELNS1_3repE0EEENS1_30default_config_static_selectorELNS0_4arch9wavefront6targetE0EEEvT1_.has_dyn_sized_stack, 0
	.set _ZN7rocprim17ROCPRIM_400000_NS6detail17trampoline_kernelINS0_14default_configENS1_27scan_by_key_config_selectorIllEEZZNS1_16scan_by_key_implILNS1_25lookback_scan_determinismE0ELb0ES3_N6thrust23THRUST_200600_302600_NS16reverse_iteratorIPKlEESD_NSA_IPlEElN6hipcub16HIPCUB_304000_NS3MaxENSH_8EqualityElEE10hipError_tPvRmT2_T3_T4_T5_mT6_T7_P12ihipStream_tbENKUlT_T0_E_clISt17integral_constantIbLb0EES10_EEDaSV_SW_EUlSV_E_NS1_11comp_targetILNS1_3genE10ELNS1_11target_archE1200ELNS1_3gpuE4ELNS1_3repE0EEENS1_30default_config_static_selectorELNS0_4arch9wavefront6targetE0EEEvT1_.has_recursion, 0
	.set _ZN7rocprim17ROCPRIM_400000_NS6detail17trampoline_kernelINS0_14default_configENS1_27scan_by_key_config_selectorIllEEZZNS1_16scan_by_key_implILNS1_25lookback_scan_determinismE0ELb0ES3_N6thrust23THRUST_200600_302600_NS16reverse_iteratorIPKlEESD_NSA_IPlEElN6hipcub16HIPCUB_304000_NS3MaxENSH_8EqualityElEE10hipError_tPvRmT2_T3_T4_T5_mT6_T7_P12ihipStream_tbENKUlT_T0_E_clISt17integral_constantIbLb0EES10_EEDaSV_SW_EUlSV_E_NS1_11comp_targetILNS1_3genE10ELNS1_11target_archE1200ELNS1_3gpuE4ELNS1_3repE0EEENS1_30default_config_static_selectorELNS0_4arch9wavefront6targetE0EEEvT1_.has_indirect_call, 0
	.section	.AMDGPU.csdata,"",@progbits
; Kernel info:
; codeLenInByte = 0
; TotalNumSgprs: 0
; NumVgprs: 0
; ScratchSize: 0
; MemoryBound: 0
; FloatMode: 240
; IeeeMode: 1
; LDSByteSize: 0 bytes/workgroup (compile time only)
; SGPRBlocks: 0
; VGPRBlocks: 0
; NumSGPRsForWavesPerEU: 1
; NumVGPRsForWavesPerEU: 1
; NamedBarCnt: 0
; Occupancy: 16
; WaveLimiterHint : 0
; COMPUTE_PGM_RSRC2:SCRATCH_EN: 0
; COMPUTE_PGM_RSRC2:USER_SGPR: 2
; COMPUTE_PGM_RSRC2:TRAP_HANDLER: 0
; COMPUTE_PGM_RSRC2:TGID_X_EN: 1
; COMPUTE_PGM_RSRC2:TGID_Y_EN: 0
; COMPUTE_PGM_RSRC2:TGID_Z_EN: 0
; COMPUTE_PGM_RSRC2:TIDIG_COMP_CNT: 0
	.section	.text._ZN7rocprim17ROCPRIM_400000_NS6detail17trampoline_kernelINS0_14default_configENS1_27scan_by_key_config_selectorIllEEZZNS1_16scan_by_key_implILNS1_25lookback_scan_determinismE0ELb0ES3_N6thrust23THRUST_200600_302600_NS16reverse_iteratorIPKlEESD_NSA_IPlEElN6hipcub16HIPCUB_304000_NS3MaxENSH_8EqualityElEE10hipError_tPvRmT2_T3_T4_T5_mT6_T7_P12ihipStream_tbENKUlT_T0_E_clISt17integral_constantIbLb0EES10_EEDaSV_SW_EUlSV_E_NS1_11comp_targetILNS1_3genE9ELNS1_11target_archE1100ELNS1_3gpuE3ELNS1_3repE0EEENS1_30default_config_static_selectorELNS0_4arch9wavefront6targetE0EEEvT1_,"axG",@progbits,_ZN7rocprim17ROCPRIM_400000_NS6detail17trampoline_kernelINS0_14default_configENS1_27scan_by_key_config_selectorIllEEZZNS1_16scan_by_key_implILNS1_25lookback_scan_determinismE0ELb0ES3_N6thrust23THRUST_200600_302600_NS16reverse_iteratorIPKlEESD_NSA_IPlEElN6hipcub16HIPCUB_304000_NS3MaxENSH_8EqualityElEE10hipError_tPvRmT2_T3_T4_T5_mT6_T7_P12ihipStream_tbENKUlT_T0_E_clISt17integral_constantIbLb0EES10_EEDaSV_SW_EUlSV_E_NS1_11comp_targetILNS1_3genE9ELNS1_11target_archE1100ELNS1_3gpuE3ELNS1_3repE0EEENS1_30default_config_static_selectorELNS0_4arch9wavefront6targetE0EEEvT1_,comdat
	.protected	_ZN7rocprim17ROCPRIM_400000_NS6detail17trampoline_kernelINS0_14default_configENS1_27scan_by_key_config_selectorIllEEZZNS1_16scan_by_key_implILNS1_25lookback_scan_determinismE0ELb0ES3_N6thrust23THRUST_200600_302600_NS16reverse_iteratorIPKlEESD_NSA_IPlEElN6hipcub16HIPCUB_304000_NS3MaxENSH_8EqualityElEE10hipError_tPvRmT2_T3_T4_T5_mT6_T7_P12ihipStream_tbENKUlT_T0_E_clISt17integral_constantIbLb0EES10_EEDaSV_SW_EUlSV_E_NS1_11comp_targetILNS1_3genE9ELNS1_11target_archE1100ELNS1_3gpuE3ELNS1_3repE0EEENS1_30default_config_static_selectorELNS0_4arch9wavefront6targetE0EEEvT1_ ; -- Begin function _ZN7rocprim17ROCPRIM_400000_NS6detail17trampoline_kernelINS0_14default_configENS1_27scan_by_key_config_selectorIllEEZZNS1_16scan_by_key_implILNS1_25lookback_scan_determinismE0ELb0ES3_N6thrust23THRUST_200600_302600_NS16reverse_iteratorIPKlEESD_NSA_IPlEElN6hipcub16HIPCUB_304000_NS3MaxENSH_8EqualityElEE10hipError_tPvRmT2_T3_T4_T5_mT6_T7_P12ihipStream_tbENKUlT_T0_E_clISt17integral_constantIbLb0EES10_EEDaSV_SW_EUlSV_E_NS1_11comp_targetILNS1_3genE9ELNS1_11target_archE1100ELNS1_3gpuE3ELNS1_3repE0EEENS1_30default_config_static_selectorELNS0_4arch9wavefront6targetE0EEEvT1_
	.globl	_ZN7rocprim17ROCPRIM_400000_NS6detail17trampoline_kernelINS0_14default_configENS1_27scan_by_key_config_selectorIllEEZZNS1_16scan_by_key_implILNS1_25lookback_scan_determinismE0ELb0ES3_N6thrust23THRUST_200600_302600_NS16reverse_iteratorIPKlEESD_NSA_IPlEElN6hipcub16HIPCUB_304000_NS3MaxENSH_8EqualityElEE10hipError_tPvRmT2_T3_T4_T5_mT6_T7_P12ihipStream_tbENKUlT_T0_E_clISt17integral_constantIbLb0EES10_EEDaSV_SW_EUlSV_E_NS1_11comp_targetILNS1_3genE9ELNS1_11target_archE1100ELNS1_3gpuE3ELNS1_3repE0EEENS1_30default_config_static_selectorELNS0_4arch9wavefront6targetE0EEEvT1_
	.p2align	8
	.type	_ZN7rocprim17ROCPRIM_400000_NS6detail17trampoline_kernelINS0_14default_configENS1_27scan_by_key_config_selectorIllEEZZNS1_16scan_by_key_implILNS1_25lookback_scan_determinismE0ELb0ES3_N6thrust23THRUST_200600_302600_NS16reverse_iteratorIPKlEESD_NSA_IPlEElN6hipcub16HIPCUB_304000_NS3MaxENSH_8EqualityElEE10hipError_tPvRmT2_T3_T4_T5_mT6_T7_P12ihipStream_tbENKUlT_T0_E_clISt17integral_constantIbLb0EES10_EEDaSV_SW_EUlSV_E_NS1_11comp_targetILNS1_3genE9ELNS1_11target_archE1100ELNS1_3gpuE3ELNS1_3repE0EEENS1_30default_config_static_selectorELNS0_4arch9wavefront6targetE0EEEvT1_,@function
_ZN7rocprim17ROCPRIM_400000_NS6detail17trampoline_kernelINS0_14default_configENS1_27scan_by_key_config_selectorIllEEZZNS1_16scan_by_key_implILNS1_25lookback_scan_determinismE0ELb0ES3_N6thrust23THRUST_200600_302600_NS16reverse_iteratorIPKlEESD_NSA_IPlEElN6hipcub16HIPCUB_304000_NS3MaxENSH_8EqualityElEE10hipError_tPvRmT2_T3_T4_T5_mT6_T7_P12ihipStream_tbENKUlT_T0_E_clISt17integral_constantIbLb0EES10_EEDaSV_SW_EUlSV_E_NS1_11comp_targetILNS1_3genE9ELNS1_11target_archE1100ELNS1_3gpuE3ELNS1_3repE0EEENS1_30default_config_static_selectorELNS0_4arch9wavefront6targetE0EEEvT1_: ; @_ZN7rocprim17ROCPRIM_400000_NS6detail17trampoline_kernelINS0_14default_configENS1_27scan_by_key_config_selectorIllEEZZNS1_16scan_by_key_implILNS1_25lookback_scan_determinismE0ELb0ES3_N6thrust23THRUST_200600_302600_NS16reverse_iteratorIPKlEESD_NSA_IPlEElN6hipcub16HIPCUB_304000_NS3MaxENSH_8EqualityElEE10hipError_tPvRmT2_T3_T4_T5_mT6_T7_P12ihipStream_tbENKUlT_T0_E_clISt17integral_constantIbLb0EES10_EEDaSV_SW_EUlSV_E_NS1_11comp_targetILNS1_3genE9ELNS1_11target_archE1100ELNS1_3gpuE3ELNS1_3repE0EEENS1_30default_config_static_selectorELNS0_4arch9wavefront6targetE0EEEvT1_
; %bb.0:
	.section	.rodata,"a",@progbits
	.p2align	6, 0x0
	.amdhsa_kernel _ZN7rocprim17ROCPRIM_400000_NS6detail17trampoline_kernelINS0_14default_configENS1_27scan_by_key_config_selectorIllEEZZNS1_16scan_by_key_implILNS1_25lookback_scan_determinismE0ELb0ES3_N6thrust23THRUST_200600_302600_NS16reverse_iteratorIPKlEESD_NSA_IPlEElN6hipcub16HIPCUB_304000_NS3MaxENSH_8EqualityElEE10hipError_tPvRmT2_T3_T4_T5_mT6_T7_P12ihipStream_tbENKUlT_T0_E_clISt17integral_constantIbLb0EES10_EEDaSV_SW_EUlSV_E_NS1_11comp_targetILNS1_3genE9ELNS1_11target_archE1100ELNS1_3gpuE3ELNS1_3repE0EEENS1_30default_config_static_selectorELNS0_4arch9wavefront6targetE0EEEvT1_
		.amdhsa_group_segment_fixed_size 0
		.amdhsa_private_segment_fixed_size 0
		.amdhsa_kernarg_size 136
		.amdhsa_user_sgpr_count 2
		.amdhsa_user_sgpr_dispatch_ptr 0
		.amdhsa_user_sgpr_queue_ptr 0
		.amdhsa_user_sgpr_kernarg_segment_ptr 1
		.amdhsa_user_sgpr_dispatch_id 0
		.amdhsa_user_sgpr_kernarg_preload_length 0
		.amdhsa_user_sgpr_kernarg_preload_offset 0
		.amdhsa_user_sgpr_private_segment_size 0
		.amdhsa_wavefront_size32 1
		.amdhsa_uses_dynamic_stack 0
		.amdhsa_enable_private_segment 0
		.amdhsa_system_sgpr_workgroup_id_x 1
		.amdhsa_system_sgpr_workgroup_id_y 0
		.amdhsa_system_sgpr_workgroup_id_z 0
		.amdhsa_system_sgpr_workgroup_info 0
		.amdhsa_system_vgpr_workitem_id 0
		.amdhsa_next_free_vgpr 1
		.amdhsa_next_free_sgpr 1
		.amdhsa_named_barrier_count 0
		.amdhsa_reserve_vcc 0
		.amdhsa_float_round_mode_32 0
		.amdhsa_float_round_mode_16_64 0
		.amdhsa_float_denorm_mode_32 3
		.amdhsa_float_denorm_mode_16_64 3
		.amdhsa_fp16_overflow 0
		.amdhsa_memory_ordered 1
		.amdhsa_forward_progress 1
		.amdhsa_inst_pref_size 0
		.amdhsa_round_robin_scheduling 0
		.amdhsa_exception_fp_ieee_invalid_op 0
		.amdhsa_exception_fp_denorm_src 0
		.amdhsa_exception_fp_ieee_div_zero 0
		.amdhsa_exception_fp_ieee_overflow 0
		.amdhsa_exception_fp_ieee_underflow 0
		.amdhsa_exception_fp_ieee_inexact 0
		.amdhsa_exception_int_div_zero 0
	.end_amdhsa_kernel
	.section	.text._ZN7rocprim17ROCPRIM_400000_NS6detail17trampoline_kernelINS0_14default_configENS1_27scan_by_key_config_selectorIllEEZZNS1_16scan_by_key_implILNS1_25lookback_scan_determinismE0ELb0ES3_N6thrust23THRUST_200600_302600_NS16reverse_iteratorIPKlEESD_NSA_IPlEElN6hipcub16HIPCUB_304000_NS3MaxENSH_8EqualityElEE10hipError_tPvRmT2_T3_T4_T5_mT6_T7_P12ihipStream_tbENKUlT_T0_E_clISt17integral_constantIbLb0EES10_EEDaSV_SW_EUlSV_E_NS1_11comp_targetILNS1_3genE9ELNS1_11target_archE1100ELNS1_3gpuE3ELNS1_3repE0EEENS1_30default_config_static_selectorELNS0_4arch9wavefront6targetE0EEEvT1_,"axG",@progbits,_ZN7rocprim17ROCPRIM_400000_NS6detail17trampoline_kernelINS0_14default_configENS1_27scan_by_key_config_selectorIllEEZZNS1_16scan_by_key_implILNS1_25lookback_scan_determinismE0ELb0ES3_N6thrust23THRUST_200600_302600_NS16reverse_iteratorIPKlEESD_NSA_IPlEElN6hipcub16HIPCUB_304000_NS3MaxENSH_8EqualityElEE10hipError_tPvRmT2_T3_T4_T5_mT6_T7_P12ihipStream_tbENKUlT_T0_E_clISt17integral_constantIbLb0EES10_EEDaSV_SW_EUlSV_E_NS1_11comp_targetILNS1_3genE9ELNS1_11target_archE1100ELNS1_3gpuE3ELNS1_3repE0EEENS1_30default_config_static_selectorELNS0_4arch9wavefront6targetE0EEEvT1_,comdat
.Lfunc_end144:
	.size	_ZN7rocprim17ROCPRIM_400000_NS6detail17trampoline_kernelINS0_14default_configENS1_27scan_by_key_config_selectorIllEEZZNS1_16scan_by_key_implILNS1_25lookback_scan_determinismE0ELb0ES3_N6thrust23THRUST_200600_302600_NS16reverse_iteratorIPKlEESD_NSA_IPlEElN6hipcub16HIPCUB_304000_NS3MaxENSH_8EqualityElEE10hipError_tPvRmT2_T3_T4_T5_mT6_T7_P12ihipStream_tbENKUlT_T0_E_clISt17integral_constantIbLb0EES10_EEDaSV_SW_EUlSV_E_NS1_11comp_targetILNS1_3genE9ELNS1_11target_archE1100ELNS1_3gpuE3ELNS1_3repE0EEENS1_30default_config_static_selectorELNS0_4arch9wavefront6targetE0EEEvT1_, .Lfunc_end144-_ZN7rocprim17ROCPRIM_400000_NS6detail17trampoline_kernelINS0_14default_configENS1_27scan_by_key_config_selectorIllEEZZNS1_16scan_by_key_implILNS1_25lookback_scan_determinismE0ELb0ES3_N6thrust23THRUST_200600_302600_NS16reverse_iteratorIPKlEESD_NSA_IPlEElN6hipcub16HIPCUB_304000_NS3MaxENSH_8EqualityElEE10hipError_tPvRmT2_T3_T4_T5_mT6_T7_P12ihipStream_tbENKUlT_T0_E_clISt17integral_constantIbLb0EES10_EEDaSV_SW_EUlSV_E_NS1_11comp_targetILNS1_3genE9ELNS1_11target_archE1100ELNS1_3gpuE3ELNS1_3repE0EEENS1_30default_config_static_selectorELNS0_4arch9wavefront6targetE0EEEvT1_
                                        ; -- End function
	.set _ZN7rocprim17ROCPRIM_400000_NS6detail17trampoline_kernelINS0_14default_configENS1_27scan_by_key_config_selectorIllEEZZNS1_16scan_by_key_implILNS1_25lookback_scan_determinismE0ELb0ES3_N6thrust23THRUST_200600_302600_NS16reverse_iteratorIPKlEESD_NSA_IPlEElN6hipcub16HIPCUB_304000_NS3MaxENSH_8EqualityElEE10hipError_tPvRmT2_T3_T4_T5_mT6_T7_P12ihipStream_tbENKUlT_T0_E_clISt17integral_constantIbLb0EES10_EEDaSV_SW_EUlSV_E_NS1_11comp_targetILNS1_3genE9ELNS1_11target_archE1100ELNS1_3gpuE3ELNS1_3repE0EEENS1_30default_config_static_selectorELNS0_4arch9wavefront6targetE0EEEvT1_.num_vgpr, 0
	.set _ZN7rocprim17ROCPRIM_400000_NS6detail17trampoline_kernelINS0_14default_configENS1_27scan_by_key_config_selectorIllEEZZNS1_16scan_by_key_implILNS1_25lookback_scan_determinismE0ELb0ES3_N6thrust23THRUST_200600_302600_NS16reverse_iteratorIPKlEESD_NSA_IPlEElN6hipcub16HIPCUB_304000_NS3MaxENSH_8EqualityElEE10hipError_tPvRmT2_T3_T4_T5_mT6_T7_P12ihipStream_tbENKUlT_T0_E_clISt17integral_constantIbLb0EES10_EEDaSV_SW_EUlSV_E_NS1_11comp_targetILNS1_3genE9ELNS1_11target_archE1100ELNS1_3gpuE3ELNS1_3repE0EEENS1_30default_config_static_selectorELNS0_4arch9wavefront6targetE0EEEvT1_.num_agpr, 0
	.set _ZN7rocprim17ROCPRIM_400000_NS6detail17trampoline_kernelINS0_14default_configENS1_27scan_by_key_config_selectorIllEEZZNS1_16scan_by_key_implILNS1_25lookback_scan_determinismE0ELb0ES3_N6thrust23THRUST_200600_302600_NS16reverse_iteratorIPKlEESD_NSA_IPlEElN6hipcub16HIPCUB_304000_NS3MaxENSH_8EqualityElEE10hipError_tPvRmT2_T3_T4_T5_mT6_T7_P12ihipStream_tbENKUlT_T0_E_clISt17integral_constantIbLb0EES10_EEDaSV_SW_EUlSV_E_NS1_11comp_targetILNS1_3genE9ELNS1_11target_archE1100ELNS1_3gpuE3ELNS1_3repE0EEENS1_30default_config_static_selectorELNS0_4arch9wavefront6targetE0EEEvT1_.numbered_sgpr, 0
	.set _ZN7rocprim17ROCPRIM_400000_NS6detail17trampoline_kernelINS0_14default_configENS1_27scan_by_key_config_selectorIllEEZZNS1_16scan_by_key_implILNS1_25lookback_scan_determinismE0ELb0ES3_N6thrust23THRUST_200600_302600_NS16reverse_iteratorIPKlEESD_NSA_IPlEElN6hipcub16HIPCUB_304000_NS3MaxENSH_8EqualityElEE10hipError_tPvRmT2_T3_T4_T5_mT6_T7_P12ihipStream_tbENKUlT_T0_E_clISt17integral_constantIbLb0EES10_EEDaSV_SW_EUlSV_E_NS1_11comp_targetILNS1_3genE9ELNS1_11target_archE1100ELNS1_3gpuE3ELNS1_3repE0EEENS1_30default_config_static_selectorELNS0_4arch9wavefront6targetE0EEEvT1_.num_named_barrier, 0
	.set _ZN7rocprim17ROCPRIM_400000_NS6detail17trampoline_kernelINS0_14default_configENS1_27scan_by_key_config_selectorIllEEZZNS1_16scan_by_key_implILNS1_25lookback_scan_determinismE0ELb0ES3_N6thrust23THRUST_200600_302600_NS16reverse_iteratorIPKlEESD_NSA_IPlEElN6hipcub16HIPCUB_304000_NS3MaxENSH_8EqualityElEE10hipError_tPvRmT2_T3_T4_T5_mT6_T7_P12ihipStream_tbENKUlT_T0_E_clISt17integral_constantIbLb0EES10_EEDaSV_SW_EUlSV_E_NS1_11comp_targetILNS1_3genE9ELNS1_11target_archE1100ELNS1_3gpuE3ELNS1_3repE0EEENS1_30default_config_static_selectorELNS0_4arch9wavefront6targetE0EEEvT1_.private_seg_size, 0
	.set _ZN7rocprim17ROCPRIM_400000_NS6detail17trampoline_kernelINS0_14default_configENS1_27scan_by_key_config_selectorIllEEZZNS1_16scan_by_key_implILNS1_25lookback_scan_determinismE0ELb0ES3_N6thrust23THRUST_200600_302600_NS16reverse_iteratorIPKlEESD_NSA_IPlEElN6hipcub16HIPCUB_304000_NS3MaxENSH_8EqualityElEE10hipError_tPvRmT2_T3_T4_T5_mT6_T7_P12ihipStream_tbENKUlT_T0_E_clISt17integral_constantIbLb0EES10_EEDaSV_SW_EUlSV_E_NS1_11comp_targetILNS1_3genE9ELNS1_11target_archE1100ELNS1_3gpuE3ELNS1_3repE0EEENS1_30default_config_static_selectorELNS0_4arch9wavefront6targetE0EEEvT1_.uses_vcc, 0
	.set _ZN7rocprim17ROCPRIM_400000_NS6detail17trampoline_kernelINS0_14default_configENS1_27scan_by_key_config_selectorIllEEZZNS1_16scan_by_key_implILNS1_25lookback_scan_determinismE0ELb0ES3_N6thrust23THRUST_200600_302600_NS16reverse_iteratorIPKlEESD_NSA_IPlEElN6hipcub16HIPCUB_304000_NS3MaxENSH_8EqualityElEE10hipError_tPvRmT2_T3_T4_T5_mT6_T7_P12ihipStream_tbENKUlT_T0_E_clISt17integral_constantIbLb0EES10_EEDaSV_SW_EUlSV_E_NS1_11comp_targetILNS1_3genE9ELNS1_11target_archE1100ELNS1_3gpuE3ELNS1_3repE0EEENS1_30default_config_static_selectorELNS0_4arch9wavefront6targetE0EEEvT1_.uses_flat_scratch, 0
	.set _ZN7rocprim17ROCPRIM_400000_NS6detail17trampoline_kernelINS0_14default_configENS1_27scan_by_key_config_selectorIllEEZZNS1_16scan_by_key_implILNS1_25lookback_scan_determinismE0ELb0ES3_N6thrust23THRUST_200600_302600_NS16reverse_iteratorIPKlEESD_NSA_IPlEElN6hipcub16HIPCUB_304000_NS3MaxENSH_8EqualityElEE10hipError_tPvRmT2_T3_T4_T5_mT6_T7_P12ihipStream_tbENKUlT_T0_E_clISt17integral_constantIbLb0EES10_EEDaSV_SW_EUlSV_E_NS1_11comp_targetILNS1_3genE9ELNS1_11target_archE1100ELNS1_3gpuE3ELNS1_3repE0EEENS1_30default_config_static_selectorELNS0_4arch9wavefront6targetE0EEEvT1_.has_dyn_sized_stack, 0
	.set _ZN7rocprim17ROCPRIM_400000_NS6detail17trampoline_kernelINS0_14default_configENS1_27scan_by_key_config_selectorIllEEZZNS1_16scan_by_key_implILNS1_25lookback_scan_determinismE0ELb0ES3_N6thrust23THRUST_200600_302600_NS16reverse_iteratorIPKlEESD_NSA_IPlEElN6hipcub16HIPCUB_304000_NS3MaxENSH_8EqualityElEE10hipError_tPvRmT2_T3_T4_T5_mT6_T7_P12ihipStream_tbENKUlT_T0_E_clISt17integral_constantIbLb0EES10_EEDaSV_SW_EUlSV_E_NS1_11comp_targetILNS1_3genE9ELNS1_11target_archE1100ELNS1_3gpuE3ELNS1_3repE0EEENS1_30default_config_static_selectorELNS0_4arch9wavefront6targetE0EEEvT1_.has_recursion, 0
	.set _ZN7rocprim17ROCPRIM_400000_NS6detail17trampoline_kernelINS0_14default_configENS1_27scan_by_key_config_selectorIllEEZZNS1_16scan_by_key_implILNS1_25lookback_scan_determinismE0ELb0ES3_N6thrust23THRUST_200600_302600_NS16reverse_iteratorIPKlEESD_NSA_IPlEElN6hipcub16HIPCUB_304000_NS3MaxENSH_8EqualityElEE10hipError_tPvRmT2_T3_T4_T5_mT6_T7_P12ihipStream_tbENKUlT_T0_E_clISt17integral_constantIbLb0EES10_EEDaSV_SW_EUlSV_E_NS1_11comp_targetILNS1_3genE9ELNS1_11target_archE1100ELNS1_3gpuE3ELNS1_3repE0EEENS1_30default_config_static_selectorELNS0_4arch9wavefront6targetE0EEEvT1_.has_indirect_call, 0
	.section	.AMDGPU.csdata,"",@progbits
; Kernel info:
; codeLenInByte = 0
; TotalNumSgprs: 0
; NumVgprs: 0
; ScratchSize: 0
; MemoryBound: 0
; FloatMode: 240
; IeeeMode: 1
; LDSByteSize: 0 bytes/workgroup (compile time only)
; SGPRBlocks: 0
; VGPRBlocks: 0
; NumSGPRsForWavesPerEU: 1
; NumVGPRsForWavesPerEU: 1
; NamedBarCnt: 0
; Occupancy: 16
; WaveLimiterHint : 0
; COMPUTE_PGM_RSRC2:SCRATCH_EN: 0
; COMPUTE_PGM_RSRC2:USER_SGPR: 2
; COMPUTE_PGM_RSRC2:TRAP_HANDLER: 0
; COMPUTE_PGM_RSRC2:TGID_X_EN: 1
; COMPUTE_PGM_RSRC2:TGID_Y_EN: 0
; COMPUTE_PGM_RSRC2:TGID_Z_EN: 0
; COMPUTE_PGM_RSRC2:TIDIG_COMP_CNT: 0
	.section	.text._ZN7rocprim17ROCPRIM_400000_NS6detail17trampoline_kernelINS0_14default_configENS1_27scan_by_key_config_selectorIllEEZZNS1_16scan_by_key_implILNS1_25lookback_scan_determinismE0ELb0ES3_N6thrust23THRUST_200600_302600_NS16reverse_iteratorIPKlEESD_NSA_IPlEElN6hipcub16HIPCUB_304000_NS3MaxENSH_8EqualityElEE10hipError_tPvRmT2_T3_T4_T5_mT6_T7_P12ihipStream_tbENKUlT_T0_E_clISt17integral_constantIbLb0EES10_EEDaSV_SW_EUlSV_E_NS1_11comp_targetILNS1_3genE8ELNS1_11target_archE1030ELNS1_3gpuE2ELNS1_3repE0EEENS1_30default_config_static_selectorELNS0_4arch9wavefront6targetE0EEEvT1_,"axG",@progbits,_ZN7rocprim17ROCPRIM_400000_NS6detail17trampoline_kernelINS0_14default_configENS1_27scan_by_key_config_selectorIllEEZZNS1_16scan_by_key_implILNS1_25lookback_scan_determinismE0ELb0ES3_N6thrust23THRUST_200600_302600_NS16reverse_iteratorIPKlEESD_NSA_IPlEElN6hipcub16HIPCUB_304000_NS3MaxENSH_8EqualityElEE10hipError_tPvRmT2_T3_T4_T5_mT6_T7_P12ihipStream_tbENKUlT_T0_E_clISt17integral_constantIbLb0EES10_EEDaSV_SW_EUlSV_E_NS1_11comp_targetILNS1_3genE8ELNS1_11target_archE1030ELNS1_3gpuE2ELNS1_3repE0EEENS1_30default_config_static_selectorELNS0_4arch9wavefront6targetE0EEEvT1_,comdat
	.protected	_ZN7rocprim17ROCPRIM_400000_NS6detail17trampoline_kernelINS0_14default_configENS1_27scan_by_key_config_selectorIllEEZZNS1_16scan_by_key_implILNS1_25lookback_scan_determinismE0ELb0ES3_N6thrust23THRUST_200600_302600_NS16reverse_iteratorIPKlEESD_NSA_IPlEElN6hipcub16HIPCUB_304000_NS3MaxENSH_8EqualityElEE10hipError_tPvRmT2_T3_T4_T5_mT6_T7_P12ihipStream_tbENKUlT_T0_E_clISt17integral_constantIbLb0EES10_EEDaSV_SW_EUlSV_E_NS1_11comp_targetILNS1_3genE8ELNS1_11target_archE1030ELNS1_3gpuE2ELNS1_3repE0EEENS1_30default_config_static_selectorELNS0_4arch9wavefront6targetE0EEEvT1_ ; -- Begin function _ZN7rocprim17ROCPRIM_400000_NS6detail17trampoline_kernelINS0_14default_configENS1_27scan_by_key_config_selectorIllEEZZNS1_16scan_by_key_implILNS1_25lookback_scan_determinismE0ELb0ES3_N6thrust23THRUST_200600_302600_NS16reverse_iteratorIPKlEESD_NSA_IPlEElN6hipcub16HIPCUB_304000_NS3MaxENSH_8EqualityElEE10hipError_tPvRmT2_T3_T4_T5_mT6_T7_P12ihipStream_tbENKUlT_T0_E_clISt17integral_constantIbLb0EES10_EEDaSV_SW_EUlSV_E_NS1_11comp_targetILNS1_3genE8ELNS1_11target_archE1030ELNS1_3gpuE2ELNS1_3repE0EEENS1_30default_config_static_selectorELNS0_4arch9wavefront6targetE0EEEvT1_
	.globl	_ZN7rocprim17ROCPRIM_400000_NS6detail17trampoline_kernelINS0_14default_configENS1_27scan_by_key_config_selectorIllEEZZNS1_16scan_by_key_implILNS1_25lookback_scan_determinismE0ELb0ES3_N6thrust23THRUST_200600_302600_NS16reverse_iteratorIPKlEESD_NSA_IPlEElN6hipcub16HIPCUB_304000_NS3MaxENSH_8EqualityElEE10hipError_tPvRmT2_T3_T4_T5_mT6_T7_P12ihipStream_tbENKUlT_T0_E_clISt17integral_constantIbLb0EES10_EEDaSV_SW_EUlSV_E_NS1_11comp_targetILNS1_3genE8ELNS1_11target_archE1030ELNS1_3gpuE2ELNS1_3repE0EEENS1_30default_config_static_selectorELNS0_4arch9wavefront6targetE0EEEvT1_
	.p2align	8
	.type	_ZN7rocprim17ROCPRIM_400000_NS6detail17trampoline_kernelINS0_14default_configENS1_27scan_by_key_config_selectorIllEEZZNS1_16scan_by_key_implILNS1_25lookback_scan_determinismE0ELb0ES3_N6thrust23THRUST_200600_302600_NS16reverse_iteratorIPKlEESD_NSA_IPlEElN6hipcub16HIPCUB_304000_NS3MaxENSH_8EqualityElEE10hipError_tPvRmT2_T3_T4_T5_mT6_T7_P12ihipStream_tbENKUlT_T0_E_clISt17integral_constantIbLb0EES10_EEDaSV_SW_EUlSV_E_NS1_11comp_targetILNS1_3genE8ELNS1_11target_archE1030ELNS1_3gpuE2ELNS1_3repE0EEENS1_30default_config_static_selectorELNS0_4arch9wavefront6targetE0EEEvT1_,@function
_ZN7rocprim17ROCPRIM_400000_NS6detail17trampoline_kernelINS0_14default_configENS1_27scan_by_key_config_selectorIllEEZZNS1_16scan_by_key_implILNS1_25lookback_scan_determinismE0ELb0ES3_N6thrust23THRUST_200600_302600_NS16reverse_iteratorIPKlEESD_NSA_IPlEElN6hipcub16HIPCUB_304000_NS3MaxENSH_8EqualityElEE10hipError_tPvRmT2_T3_T4_T5_mT6_T7_P12ihipStream_tbENKUlT_T0_E_clISt17integral_constantIbLb0EES10_EEDaSV_SW_EUlSV_E_NS1_11comp_targetILNS1_3genE8ELNS1_11target_archE1030ELNS1_3gpuE2ELNS1_3repE0EEENS1_30default_config_static_selectorELNS0_4arch9wavefront6targetE0EEEvT1_: ; @_ZN7rocprim17ROCPRIM_400000_NS6detail17trampoline_kernelINS0_14default_configENS1_27scan_by_key_config_selectorIllEEZZNS1_16scan_by_key_implILNS1_25lookback_scan_determinismE0ELb0ES3_N6thrust23THRUST_200600_302600_NS16reverse_iteratorIPKlEESD_NSA_IPlEElN6hipcub16HIPCUB_304000_NS3MaxENSH_8EqualityElEE10hipError_tPvRmT2_T3_T4_T5_mT6_T7_P12ihipStream_tbENKUlT_T0_E_clISt17integral_constantIbLb0EES10_EEDaSV_SW_EUlSV_E_NS1_11comp_targetILNS1_3genE8ELNS1_11target_archE1030ELNS1_3gpuE2ELNS1_3repE0EEENS1_30default_config_static_selectorELNS0_4arch9wavefront6targetE0EEEvT1_
; %bb.0:
	.section	.rodata,"a",@progbits
	.p2align	6, 0x0
	.amdhsa_kernel _ZN7rocprim17ROCPRIM_400000_NS6detail17trampoline_kernelINS0_14default_configENS1_27scan_by_key_config_selectorIllEEZZNS1_16scan_by_key_implILNS1_25lookback_scan_determinismE0ELb0ES3_N6thrust23THRUST_200600_302600_NS16reverse_iteratorIPKlEESD_NSA_IPlEElN6hipcub16HIPCUB_304000_NS3MaxENSH_8EqualityElEE10hipError_tPvRmT2_T3_T4_T5_mT6_T7_P12ihipStream_tbENKUlT_T0_E_clISt17integral_constantIbLb0EES10_EEDaSV_SW_EUlSV_E_NS1_11comp_targetILNS1_3genE8ELNS1_11target_archE1030ELNS1_3gpuE2ELNS1_3repE0EEENS1_30default_config_static_selectorELNS0_4arch9wavefront6targetE0EEEvT1_
		.amdhsa_group_segment_fixed_size 0
		.amdhsa_private_segment_fixed_size 0
		.amdhsa_kernarg_size 136
		.amdhsa_user_sgpr_count 2
		.amdhsa_user_sgpr_dispatch_ptr 0
		.amdhsa_user_sgpr_queue_ptr 0
		.amdhsa_user_sgpr_kernarg_segment_ptr 1
		.amdhsa_user_sgpr_dispatch_id 0
		.amdhsa_user_sgpr_kernarg_preload_length 0
		.amdhsa_user_sgpr_kernarg_preload_offset 0
		.amdhsa_user_sgpr_private_segment_size 0
		.amdhsa_wavefront_size32 1
		.amdhsa_uses_dynamic_stack 0
		.amdhsa_enable_private_segment 0
		.amdhsa_system_sgpr_workgroup_id_x 1
		.amdhsa_system_sgpr_workgroup_id_y 0
		.amdhsa_system_sgpr_workgroup_id_z 0
		.amdhsa_system_sgpr_workgroup_info 0
		.amdhsa_system_vgpr_workitem_id 0
		.amdhsa_next_free_vgpr 1
		.amdhsa_next_free_sgpr 1
		.amdhsa_named_barrier_count 0
		.amdhsa_reserve_vcc 0
		.amdhsa_float_round_mode_32 0
		.amdhsa_float_round_mode_16_64 0
		.amdhsa_float_denorm_mode_32 3
		.amdhsa_float_denorm_mode_16_64 3
		.amdhsa_fp16_overflow 0
		.amdhsa_memory_ordered 1
		.amdhsa_forward_progress 1
		.amdhsa_inst_pref_size 0
		.amdhsa_round_robin_scheduling 0
		.amdhsa_exception_fp_ieee_invalid_op 0
		.amdhsa_exception_fp_denorm_src 0
		.amdhsa_exception_fp_ieee_div_zero 0
		.amdhsa_exception_fp_ieee_overflow 0
		.amdhsa_exception_fp_ieee_underflow 0
		.amdhsa_exception_fp_ieee_inexact 0
		.amdhsa_exception_int_div_zero 0
	.end_amdhsa_kernel
	.section	.text._ZN7rocprim17ROCPRIM_400000_NS6detail17trampoline_kernelINS0_14default_configENS1_27scan_by_key_config_selectorIllEEZZNS1_16scan_by_key_implILNS1_25lookback_scan_determinismE0ELb0ES3_N6thrust23THRUST_200600_302600_NS16reverse_iteratorIPKlEESD_NSA_IPlEElN6hipcub16HIPCUB_304000_NS3MaxENSH_8EqualityElEE10hipError_tPvRmT2_T3_T4_T5_mT6_T7_P12ihipStream_tbENKUlT_T0_E_clISt17integral_constantIbLb0EES10_EEDaSV_SW_EUlSV_E_NS1_11comp_targetILNS1_3genE8ELNS1_11target_archE1030ELNS1_3gpuE2ELNS1_3repE0EEENS1_30default_config_static_selectorELNS0_4arch9wavefront6targetE0EEEvT1_,"axG",@progbits,_ZN7rocprim17ROCPRIM_400000_NS6detail17trampoline_kernelINS0_14default_configENS1_27scan_by_key_config_selectorIllEEZZNS1_16scan_by_key_implILNS1_25lookback_scan_determinismE0ELb0ES3_N6thrust23THRUST_200600_302600_NS16reverse_iteratorIPKlEESD_NSA_IPlEElN6hipcub16HIPCUB_304000_NS3MaxENSH_8EqualityElEE10hipError_tPvRmT2_T3_T4_T5_mT6_T7_P12ihipStream_tbENKUlT_T0_E_clISt17integral_constantIbLb0EES10_EEDaSV_SW_EUlSV_E_NS1_11comp_targetILNS1_3genE8ELNS1_11target_archE1030ELNS1_3gpuE2ELNS1_3repE0EEENS1_30default_config_static_selectorELNS0_4arch9wavefront6targetE0EEEvT1_,comdat
.Lfunc_end145:
	.size	_ZN7rocprim17ROCPRIM_400000_NS6detail17trampoline_kernelINS0_14default_configENS1_27scan_by_key_config_selectorIllEEZZNS1_16scan_by_key_implILNS1_25lookback_scan_determinismE0ELb0ES3_N6thrust23THRUST_200600_302600_NS16reverse_iteratorIPKlEESD_NSA_IPlEElN6hipcub16HIPCUB_304000_NS3MaxENSH_8EqualityElEE10hipError_tPvRmT2_T3_T4_T5_mT6_T7_P12ihipStream_tbENKUlT_T0_E_clISt17integral_constantIbLb0EES10_EEDaSV_SW_EUlSV_E_NS1_11comp_targetILNS1_3genE8ELNS1_11target_archE1030ELNS1_3gpuE2ELNS1_3repE0EEENS1_30default_config_static_selectorELNS0_4arch9wavefront6targetE0EEEvT1_, .Lfunc_end145-_ZN7rocprim17ROCPRIM_400000_NS6detail17trampoline_kernelINS0_14default_configENS1_27scan_by_key_config_selectorIllEEZZNS1_16scan_by_key_implILNS1_25lookback_scan_determinismE0ELb0ES3_N6thrust23THRUST_200600_302600_NS16reverse_iteratorIPKlEESD_NSA_IPlEElN6hipcub16HIPCUB_304000_NS3MaxENSH_8EqualityElEE10hipError_tPvRmT2_T3_T4_T5_mT6_T7_P12ihipStream_tbENKUlT_T0_E_clISt17integral_constantIbLb0EES10_EEDaSV_SW_EUlSV_E_NS1_11comp_targetILNS1_3genE8ELNS1_11target_archE1030ELNS1_3gpuE2ELNS1_3repE0EEENS1_30default_config_static_selectorELNS0_4arch9wavefront6targetE0EEEvT1_
                                        ; -- End function
	.set _ZN7rocprim17ROCPRIM_400000_NS6detail17trampoline_kernelINS0_14default_configENS1_27scan_by_key_config_selectorIllEEZZNS1_16scan_by_key_implILNS1_25lookback_scan_determinismE0ELb0ES3_N6thrust23THRUST_200600_302600_NS16reverse_iteratorIPKlEESD_NSA_IPlEElN6hipcub16HIPCUB_304000_NS3MaxENSH_8EqualityElEE10hipError_tPvRmT2_T3_T4_T5_mT6_T7_P12ihipStream_tbENKUlT_T0_E_clISt17integral_constantIbLb0EES10_EEDaSV_SW_EUlSV_E_NS1_11comp_targetILNS1_3genE8ELNS1_11target_archE1030ELNS1_3gpuE2ELNS1_3repE0EEENS1_30default_config_static_selectorELNS0_4arch9wavefront6targetE0EEEvT1_.num_vgpr, 0
	.set _ZN7rocprim17ROCPRIM_400000_NS6detail17trampoline_kernelINS0_14default_configENS1_27scan_by_key_config_selectorIllEEZZNS1_16scan_by_key_implILNS1_25lookback_scan_determinismE0ELb0ES3_N6thrust23THRUST_200600_302600_NS16reverse_iteratorIPKlEESD_NSA_IPlEElN6hipcub16HIPCUB_304000_NS3MaxENSH_8EqualityElEE10hipError_tPvRmT2_T3_T4_T5_mT6_T7_P12ihipStream_tbENKUlT_T0_E_clISt17integral_constantIbLb0EES10_EEDaSV_SW_EUlSV_E_NS1_11comp_targetILNS1_3genE8ELNS1_11target_archE1030ELNS1_3gpuE2ELNS1_3repE0EEENS1_30default_config_static_selectorELNS0_4arch9wavefront6targetE0EEEvT1_.num_agpr, 0
	.set _ZN7rocprim17ROCPRIM_400000_NS6detail17trampoline_kernelINS0_14default_configENS1_27scan_by_key_config_selectorIllEEZZNS1_16scan_by_key_implILNS1_25lookback_scan_determinismE0ELb0ES3_N6thrust23THRUST_200600_302600_NS16reverse_iteratorIPKlEESD_NSA_IPlEElN6hipcub16HIPCUB_304000_NS3MaxENSH_8EqualityElEE10hipError_tPvRmT2_T3_T4_T5_mT6_T7_P12ihipStream_tbENKUlT_T0_E_clISt17integral_constantIbLb0EES10_EEDaSV_SW_EUlSV_E_NS1_11comp_targetILNS1_3genE8ELNS1_11target_archE1030ELNS1_3gpuE2ELNS1_3repE0EEENS1_30default_config_static_selectorELNS0_4arch9wavefront6targetE0EEEvT1_.numbered_sgpr, 0
	.set _ZN7rocprim17ROCPRIM_400000_NS6detail17trampoline_kernelINS0_14default_configENS1_27scan_by_key_config_selectorIllEEZZNS1_16scan_by_key_implILNS1_25lookback_scan_determinismE0ELb0ES3_N6thrust23THRUST_200600_302600_NS16reverse_iteratorIPKlEESD_NSA_IPlEElN6hipcub16HIPCUB_304000_NS3MaxENSH_8EqualityElEE10hipError_tPvRmT2_T3_T4_T5_mT6_T7_P12ihipStream_tbENKUlT_T0_E_clISt17integral_constantIbLb0EES10_EEDaSV_SW_EUlSV_E_NS1_11comp_targetILNS1_3genE8ELNS1_11target_archE1030ELNS1_3gpuE2ELNS1_3repE0EEENS1_30default_config_static_selectorELNS0_4arch9wavefront6targetE0EEEvT1_.num_named_barrier, 0
	.set _ZN7rocprim17ROCPRIM_400000_NS6detail17trampoline_kernelINS0_14default_configENS1_27scan_by_key_config_selectorIllEEZZNS1_16scan_by_key_implILNS1_25lookback_scan_determinismE0ELb0ES3_N6thrust23THRUST_200600_302600_NS16reverse_iteratorIPKlEESD_NSA_IPlEElN6hipcub16HIPCUB_304000_NS3MaxENSH_8EqualityElEE10hipError_tPvRmT2_T3_T4_T5_mT6_T7_P12ihipStream_tbENKUlT_T0_E_clISt17integral_constantIbLb0EES10_EEDaSV_SW_EUlSV_E_NS1_11comp_targetILNS1_3genE8ELNS1_11target_archE1030ELNS1_3gpuE2ELNS1_3repE0EEENS1_30default_config_static_selectorELNS0_4arch9wavefront6targetE0EEEvT1_.private_seg_size, 0
	.set _ZN7rocprim17ROCPRIM_400000_NS6detail17trampoline_kernelINS0_14default_configENS1_27scan_by_key_config_selectorIllEEZZNS1_16scan_by_key_implILNS1_25lookback_scan_determinismE0ELb0ES3_N6thrust23THRUST_200600_302600_NS16reverse_iteratorIPKlEESD_NSA_IPlEElN6hipcub16HIPCUB_304000_NS3MaxENSH_8EqualityElEE10hipError_tPvRmT2_T3_T4_T5_mT6_T7_P12ihipStream_tbENKUlT_T0_E_clISt17integral_constantIbLb0EES10_EEDaSV_SW_EUlSV_E_NS1_11comp_targetILNS1_3genE8ELNS1_11target_archE1030ELNS1_3gpuE2ELNS1_3repE0EEENS1_30default_config_static_selectorELNS0_4arch9wavefront6targetE0EEEvT1_.uses_vcc, 0
	.set _ZN7rocprim17ROCPRIM_400000_NS6detail17trampoline_kernelINS0_14default_configENS1_27scan_by_key_config_selectorIllEEZZNS1_16scan_by_key_implILNS1_25lookback_scan_determinismE0ELb0ES3_N6thrust23THRUST_200600_302600_NS16reverse_iteratorIPKlEESD_NSA_IPlEElN6hipcub16HIPCUB_304000_NS3MaxENSH_8EqualityElEE10hipError_tPvRmT2_T3_T4_T5_mT6_T7_P12ihipStream_tbENKUlT_T0_E_clISt17integral_constantIbLb0EES10_EEDaSV_SW_EUlSV_E_NS1_11comp_targetILNS1_3genE8ELNS1_11target_archE1030ELNS1_3gpuE2ELNS1_3repE0EEENS1_30default_config_static_selectorELNS0_4arch9wavefront6targetE0EEEvT1_.uses_flat_scratch, 0
	.set _ZN7rocprim17ROCPRIM_400000_NS6detail17trampoline_kernelINS0_14default_configENS1_27scan_by_key_config_selectorIllEEZZNS1_16scan_by_key_implILNS1_25lookback_scan_determinismE0ELb0ES3_N6thrust23THRUST_200600_302600_NS16reverse_iteratorIPKlEESD_NSA_IPlEElN6hipcub16HIPCUB_304000_NS3MaxENSH_8EqualityElEE10hipError_tPvRmT2_T3_T4_T5_mT6_T7_P12ihipStream_tbENKUlT_T0_E_clISt17integral_constantIbLb0EES10_EEDaSV_SW_EUlSV_E_NS1_11comp_targetILNS1_3genE8ELNS1_11target_archE1030ELNS1_3gpuE2ELNS1_3repE0EEENS1_30default_config_static_selectorELNS0_4arch9wavefront6targetE0EEEvT1_.has_dyn_sized_stack, 0
	.set _ZN7rocprim17ROCPRIM_400000_NS6detail17trampoline_kernelINS0_14default_configENS1_27scan_by_key_config_selectorIllEEZZNS1_16scan_by_key_implILNS1_25lookback_scan_determinismE0ELb0ES3_N6thrust23THRUST_200600_302600_NS16reverse_iteratorIPKlEESD_NSA_IPlEElN6hipcub16HIPCUB_304000_NS3MaxENSH_8EqualityElEE10hipError_tPvRmT2_T3_T4_T5_mT6_T7_P12ihipStream_tbENKUlT_T0_E_clISt17integral_constantIbLb0EES10_EEDaSV_SW_EUlSV_E_NS1_11comp_targetILNS1_3genE8ELNS1_11target_archE1030ELNS1_3gpuE2ELNS1_3repE0EEENS1_30default_config_static_selectorELNS0_4arch9wavefront6targetE0EEEvT1_.has_recursion, 0
	.set _ZN7rocprim17ROCPRIM_400000_NS6detail17trampoline_kernelINS0_14default_configENS1_27scan_by_key_config_selectorIllEEZZNS1_16scan_by_key_implILNS1_25lookback_scan_determinismE0ELb0ES3_N6thrust23THRUST_200600_302600_NS16reverse_iteratorIPKlEESD_NSA_IPlEElN6hipcub16HIPCUB_304000_NS3MaxENSH_8EqualityElEE10hipError_tPvRmT2_T3_T4_T5_mT6_T7_P12ihipStream_tbENKUlT_T0_E_clISt17integral_constantIbLb0EES10_EEDaSV_SW_EUlSV_E_NS1_11comp_targetILNS1_3genE8ELNS1_11target_archE1030ELNS1_3gpuE2ELNS1_3repE0EEENS1_30default_config_static_selectorELNS0_4arch9wavefront6targetE0EEEvT1_.has_indirect_call, 0
	.section	.AMDGPU.csdata,"",@progbits
; Kernel info:
; codeLenInByte = 0
; TotalNumSgprs: 0
; NumVgprs: 0
; ScratchSize: 0
; MemoryBound: 0
; FloatMode: 240
; IeeeMode: 1
; LDSByteSize: 0 bytes/workgroup (compile time only)
; SGPRBlocks: 0
; VGPRBlocks: 0
; NumSGPRsForWavesPerEU: 1
; NumVGPRsForWavesPerEU: 1
; NamedBarCnt: 0
; Occupancy: 16
; WaveLimiterHint : 0
; COMPUTE_PGM_RSRC2:SCRATCH_EN: 0
; COMPUTE_PGM_RSRC2:USER_SGPR: 2
; COMPUTE_PGM_RSRC2:TRAP_HANDLER: 0
; COMPUTE_PGM_RSRC2:TGID_X_EN: 1
; COMPUTE_PGM_RSRC2:TGID_Y_EN: 0
; COMPUTE_PGM_RSRC2:TGID_Z_EN: 0
; COMPUTE_PGM_RSRC2:TIDIG_COMP_CNT: 0
	.section	.text._ZN7rocprim17ROCPRIM_400000_NS6detail30init_device_scan_by_key_kernelINS1_19lookback_scan_stateINS0_5tupleIJlbEEELb1ELb0EEEN6thrust23THRUST_200600_302600_NS16reverse_iteratorIPKlEEjNS1_16block_id_wrapperIjLb1EEEEEvT_jjPNSF_10value_typeET0_PNSt15iterator_traitsISI_E10value_typeEmT1_T2_,"axG",@progbits,_ZN7rocprim17ROCPRIM_400000_NS6detail30init_device_scan_by_key_kernelINS1_19lookback_scan_stateINS0_5tupleIJlbEEELb1ELb0EEEN6thrust23THRUST_200600_302600_NS16reverse_iteratorIPKlEEjNS1_16block_id_wrapperIjLb1EEEEEvT_jjPNSF_10value_typeET0_PNSt15iterator_traitsISI_E10value_typeEmT1_T2_,comdat
	.protected	_ZN7rocprim17ROCPRIM_400000_NS6detail30init_device_scan_by_key_kernelINS1_19lookback_scan_stateINS0_5tupleIJlbEEELb1ELb0EEEN6thrust23THRUST_200600_302600_NS16reverse_iteratorIPKlEEjNS1_16block_id_wrapperIjLb1EEEEEvT_jjPNSF_10value_typeET0_PNSt15iterator_traitsISI_E10value_typeEmT1_T2_ ; -- Begin function _ZN7rocprim17ROCPRIM_400000_NS6detail30init_device_scan_by_key_kernelINS1_19lookback_scan_stateINS0_5tupleIJlbEEELb1ELb0EEEN6thrust23THRUST_200600_302600_NS16reverse_iteratorIPKlEEjNS1_16block_id_wrapperIjLb1EEEEEvT_jjPNSF_10value_typeET0_PNSt15iterator_traitsISI_E10value_typeEmT1_T2_
	.globl	_ZN7rocprim17ROCPRIM_400000_NS6detail30init_device_scan_by_key_kernelINS1_19lookback_scan_stateINS0_5tupleIJlbEEELb1ELb0EEEN6thrust23THRUST_200600_302600_NS16reverse_iteratorIPKlEEjNS1_16block_id_wrapperIjLb1EEEEEvT_jjPNSF_10value_typeET0_PNSt15iterator_traitsISI_E10value_typeEmT1_T2_
	.p2align	8
	.type	_ZN7rocprim17ROCPRIM_400000_NS6detail30init_device_scan_by_key_kernelINS1_19lookback_scan_stateINS0_5tupleIJlbEEELb1ELb0EEEN6thrust23THRUST_200600_302600_NS16reverse_iteratorIPKlEEjNS1_16block_id_wrapperIjLb1EEEEEvT_jjPNSF_10value_typeET0_PNSt15iterator_traitsISI_E10value_typeEmT1_T2_,@function
_ZN7rocprim17ROCPRIM_400000_NS6detail30init_device_scan_by_key_kernelINS1_19lookback_scan_stateINS0_5tupleIJlbEEELb1ELb0EEEN6thrust23THRUST_200600_302600_NS16reverse_iteratorIPKlEEjNS1_16block_id_wrapperIjLb1EEEEEvT_jjPNSF_10value_typeET0_PNSt15iterator_traitsISI_E10value_typeEmT1_T2_: ; @_ZN7rocprim17ROCPRIM_400000_NS6detail30init_device_scan_by_key_kernelINS1_19lookback_scan_stateINS0_5tupleIJlbEEELb1ELb0EEEN6thrust23THRUST_200600_302600_NS16reverse_iteratorIPKlEEjNS1_16block_id_wrapperIjLb1EEEEEvT_jjPNSF_10value_typeET0_PNSt15iterator_traitsISI_E10value_typeEmT1_T2_
; %bb.0:
	s_clause 0x2
	s_load_b32 s2, s[0:1], 0x5c
	s_load_b32 s18, s[0:1], 0x50
	s_load_b256 s[4:11], s[0:1], 0x10
	s_bfe_u32 s3, ttmp6, 0x4000c
	s_and_b32 s12, ttmp6, 15
	s_add_co_i32 s3, s3, 1
	s_getreg_b32 s13, hwreg(HW_REG_IB_STS2, 6, 4)
	s_mul_i32 s3, ttmp9, s3
	s_delay_alu instid0(SALU_CYCLE_1)
	s_add_co_i32 s12, s12, s3
	s_wait_kmcnt 0x0
	s_and_b32 s19, s2, 0xffff
	s_cmp_eq_u32 s13, 0
	s_cselect_b32 s2, ttmp9, s12
	s_cmp_eq_u64 s[8:9], 0
	v_mad_u32 v0, s2, s19, v0
	s_cbranch_scc1 .LBB146_9
; %bb.1:
	s_cmp_lt_u32 s7, s6
	s_mov_b32 s20, exec_lo
	s_cselect_b32 s2, s7, 0
	s_delay_alu instid0(VALU_DEP_1) | instid1(SALU_CYCLE_1)
	v_cmpx_eq_u32_e64 s2, v0
	s_cbranch_execz .LBB146_8
; %bb.2:
	s_add_co_i32 s2, s7, 32
	s_load_b128 s[12:15], s[0:1], 0x0
	v_mov_b32_e32 v1, s2
	s_mov_b32 s3, 0
	global_load_u8 v1, v1, s[4:5] scope:SCOPE_DEV
	s_wait_loadcnt 0x0
	v_and_b32_e32 v2, 0xffff, v1
	v_readfirstlane_b32 s21, v1
	s_delay_alu instid0(VALU_DEP_2)
	v_cmp_ne_u32_e32 vcc_lo, 0, v2
	s_cbranch_vccnz .LBB146_7
; %bb.3:
	v_mov_b32_e32 v1, 0
	s_add_nc_u64 s[16:17], s[4:5], s[2:3]
	s_mov_b32 s7, 1
.LBB146_4:                              ; =>This Loop Header: Depth=1
                                        ;     Child Loop BB146_5 Depth 2
	s_delay_alu instid0(SALU_CYCLE_1)
	s_mov_b32 s21, s7
.LBB146_5:                              ;   Parent Loop BB146_4 Depth=1
                                        ; =>  This Inner Loop Header: Depth=2
	s_delay_alu instid0(SALU_CYCLE_1)
	s_add_co_i32 s21, s21, -1
	s_sleep 1
	s_cmp_eq_u32 s21, 0
	s_cbranch_scc0 .LBB146_5
; %bb.6:                                ;   in Loop: Header=BB146_4 Depth=1
	global_load_u8 v2, v1, s[16:17] scope:SCOPE_DEV
	s_cmp_lt_u32 s7, 32
	s_cselect_b32 s21, -1, 0
	s_delay_alu instid0(SALU_CYCLE_1) | instskip(SKIP_4) | instid1(VALU_DEP_2)
	s_cmp_lg_u32 s21, 0
	s_add_co_ci_u32 s7, s7, 0
	s_wait_loadcnt 0x0
	v_and_b32_e32 v3, 0xffff, v2
	v_readfirstlane_b32 s21, v2
	v_cmp_ne_u32_e32 vcc_lo, 0, v3
	s_cbranch_vccz .LBB146_4
.LBB146_7:
	s_and_b32 s7, 0xffff, s21
	v_mov_b32_e32 v1, 0
	s_cmp_eq_u32 s7, 1
	global_wb scope:SCOPE_DEV
	s_wait_storecnt 0x0
	global_inv scope:SCOPE_DEV
	s_wait_kmcnt 0x0
	s_cselect_b32 s13, s13, s15
	s_cselect_b32 s12, s12, s14
	s_lshl_b64 s[2:3], s[2:3], 4
	s_delay_alu instid0(SALU_CYCLE_1)
	s_add_nc_u64 s[2:3], s[12:13], s[2:3]
	s_clause 0x1
	global_load_b64 v[2:3], v1, s[2:3]
	global_load_u8 v4, v1, s[2:3] offset:8
	s_wait_loadcnt 0x1
	global_store_b64 v1, v[2:3], s[8:9]
	s_wait_loadcnt 0x0
	global_store_b8 v1, v4, s[8:9] offset:8
.LBB146_8:
	s_wait_xcnt 0x0
	s_or_b32 exec_lo, exec_lo, s20
.LBB146_9:
	s_delay_alu instid0(SALU_CYCLE_1) | instskip(NEXT) | instid1(VALU_DEP_1)
	s_mov_b32 s2, exec_lo
	v_cmpx_eq_u32_e32 0, v0
	s_cbranch_execz .LBB146_11
; %bb.10:
	s_load_b64 s[8:9], s[0:1], 0x48
	v_mov_b32_e32 v1, 0
	s_wait_kmcnt 0x0
	global_store_b32 v1, v1, s[8:9]
.LBB146_11:
	s_wait_xcnt 0x0
	s_or_b32 exec_lo, exec_lo, s2
	s_delay_alu instid0(SALU_CYCLE_1)
	s_mov_b32 s2, exec_lo
	v_cmpx_gt_u32_e64 s6, v0
	s_cbranch_execz .LBB146_13
; %bb.12:
	v_dual_mov_b32 v2, 0 :: v_dual_add_nc_u32 v1, 32, v0
	global_store_b8 v1, v2, s[4:5]
.LBB146_13:
	s_wait_xcnt 0x0
	s_or_b32 exec_lo, exec_lo, s2
	v_mov_b32_e32 v1, 0
	s_mov_b32 s2, exec_lo
	v_cmpx_gt_u32_e32 32, v0
	s_cbranch_execz .LBB146_15
; %bb.14:
	s_delay_alu instid0(VALU_DEP_2)
	v_add_nc_u64_e32 v[2:3], s[4:5], v[0:1]
	v_mov_b32_e32 v4, 0xff
	global_store_b8 v[2:3], v4, off
.LBB146_15:
	s_wait_xcnt 0x0
	s_or_b32 exec_lo, exec_lo, s2
	s_load_b64 s[2:3], s[0:1], 0x38
	s_mov_b32 s4, exec_lo
	s_wait_kmcnt 0x0
	v_cmpx_gt_u64_e64 s[2:3], v[0:1]
	s_cbranch_execz .LBB146_18
; %bb.16:
	s_clause 0x1
	s_load_b32 s4, s[0:1], 0x40
	s_load_b64 s[6:7], s[0:1], 0x30
	s_mov_b32 s5, 0
	s_wait_xcnt 0x0
	s_mov_b32 s1, s5
	s_wait_kmcnt 0x0
	s_add_co_i32 s0, s4, -1
	v_lshl_add_u64 v[4:5], v[0:1], 3, s[6:7]
	v_mad_nc_u64_u32 v[2:3], s4, v0, s[0:1]
	s_mul_i32 s0, s18, s19
	s_delay_alu instid0(SALU_CYCLE_1) | instskip(NEXT) | instid1(SALU_CYCLE_1)
	s_mul_u64 s[8:9], s[4:5], s[0:1]
	s_lshl_b64 s[8:9], s[8:9], 3
	s_delay_alu instid0(SALU_CYCLE_1) | instskip(SKIP_1) | instid1(VALU_DEP_1)
	s_sub_nc_u64 s[6:7], 0, s[8:9]
	s_lshl_b64 s[8:9], s[0:1], 3
	v_not_b32_e32 v3, v3
	s_delay_alu instid0(VALU_DEP_2) | instskip(NEXT) | instid1(VALU_DEP_1)
	v_not_b32_e32 v2, v2
	v_lshl_add_u64 v[2:3], v[2:3], 3, s[10:11]
.LBB146_17:                             ; =>This Inner Loop Header: Depth=1
	global_load_b64 v[6:7], v[2:3], off
	v_add_nc_u64_e32 v[0:1], s[0:1], v[0:1]
	s_wait_xcnt 0x0
	v_add_nc_u64_e32 v[2:3], s[6:7], v[2:3]
	s_delay_alu instid0(VALU_DEP_2)
	v_cmp_le_u64_e32 vcc_lo, s[2:3], v[0:1]
	s_or_b32 s5, vcc_lo, s5
	s_wait_loadcnt 0x0
	global_store_b64 v[4:5], v[6:7], off
	s_wait_xcnt 0x0
	v_add_nc_u64_e32 v[4:5], s[8:9], v[4:5]
	s_and_not1_b32 exec_lo, exec_lo, s5
	s_cbranch_execnz .LBB146_17
.LBB146_18:
	s_endpgm
	.section	.rodata,"a",@progbits
	.p2align	6, 0x0
	.amdhsa_kernel _ZN7rocprim17ROCPRIM_400000_NS6detail30init_device_scan_by_key_kernelINS1_19lookback_scan_stateINS0_5tupleIJlbEEELb1ELb0EEEN6thrust23THRUST_200600_302600_NS16reverse_iteratorIPKlEEjNS1_16block_id_wrapperIjLb1EEEEEvT_jjPNSF_10value_typeET0_PNSt15iterator_traitsISI_E10value_typeEmT1_T2_
		.amdhsa_group_segment_fixed_size 0
		.amdhsa_private_segment_fixed_size 0
		.amdhsa_kernarg_size 336
		.amdhsa_user_sgpr_count 2
		.amdhsa_user_sgpr_dispatch_ptr 0
		.amdhsa_user_sgpr_queue_ptr 0
		.amdhsa_user_sgpr_kernarg_segment_ptr 1
		.amdhsa_user_sgpr_dispatch_id 0
		.amdhsa_user_sgpr_kernarg_preload_length 0
		.amdhsa_user_sgpr_kernarg_preload_offset 0
		.amdhsa_user_sgpr_private_segment_size 0
		.amdhsa_wavefront_size32 1
		.amdhsa_uses_dynamic_stack 0
		.amdhsa_enable_private_segment 0
		.amdhsa_system_sgpr_workgroup_id_x 1
		.amdhsa_system_sgpr_workgroup_id_y 0
		.amdhsa_system_sgpr_workgroup_id_z 0
		.amdhsa_system_sgpr_workgroup_info 0
		.amdhsa_system_vgpr_workitem_id 0
		.amdhsa_next_free_vgpr 8
		.amdhsa_next_free_sgpr 22
		.amdhsa_named_barrier_count 0
		.amdhsa_reserve_vcc 1
		.amdhsa_float_round_mode_32 0
		.amdhsa_float_round_mode_16_64 0
		.amdhsa_float_denorm_mode_32 3
		.amdhsa_float_denorm_mode_16_64 3
		.amdhsa_fp16_overflow 0
		.amdhsa_memory_ordered 1
		.amdhsa_forward_progress 1
		.amdhsa_inst_pref_size 7
		.amdhsa_round_robin_scheduling 0
		.amdhsa_exception_fp_ieee_invalid_op 0
		.amdhsa_exception_fp_denorm_src 0
		.amdhsa_exception_fp_ieee_div_zero 0
		.amdhsa_exception_fp_ieee_overflow 0
		.amdhsa_exception_fp_ieee_underflow 0
		.amdhsa_exception_fp_ieee_inexact 0
		.amdhsa_exception_int_div_zero 0
	.end_amdhsa_kernel
	.section	.text._ZN7rocprim17ROCPRIM_400000_NS6detail30init_device_scan_by_key_kernelINS1_19lookback_scan_stateINS0_5tupleIJlbEEELb1ELb0EEEN6thrust23THRUST_200600_302600_NS16reverse_iteratorIPKlEEjNS1_16block_id_wrapperIjLb1EEEEEvT_jjPNSF_10value_typeET0_PNSt15iterator_traitsISI_E10value_typeEmT1_T2_,"axG",@progbits,_ZN7rocprim17ROCPRIM_400000_NS6detail30init_device_scan_by_key_kernelINS1_19lookback_scan_stateINS0_5tupleIJlbEEELb1ELb0EEEN6thrust23THRUST_200600_302600_NS16reverse_iteratorIPKlEEjNS1_16block_id_wrapperIjLb1EEEEEvT_jjPNSF_10value_typeET0_PNSt15iterator_traitsISI_E10value_typeEmT1_T2_,comdat
.Lfunc_end146:
	.size	_ZN7rocprim17ROCPRIM_400000_NS6detail30init_device_scan_by_key_kernelINS1_19lookback_scan_stateINS0_5tupleIJlbEEELb1ELb0EEEN6thrust23THRUST_200600_302600_NS16reverse_iteratorIPKlEEjNS1_16block_id_wrapperIjLb1EEEEEvT_jjPNSF_10value_typeET0_PNSt15iterator_traitsISI_E10value_typeEmT1_T2_, .Lfunc_end146-_ZN7rocprim17ROCPRIM_400000_NS6detail30init_device_scan_by_key_kernelINS1_19lookback_scan_stateINS0_5tupleIJlbEEELb1ELb0EEEN6thrust23THRUST_200600_302600_NS16reverse_iteratorIPKlEEjNS1_16block_id_wrapperIjLb1EEEEEvT_jjPNSF_10value_typeET0_PNSt15iterator_traitsISI_E10value_typeEmT1_T2_
                                        ; -- End function
	.set _ZN7rocprim17ROCPRIM_400000_NS6detail30init_device_scan_by_key_kernelINS1_19lookback_scan_stateINS0_5tupleIJlbEEELb1ELb0EEEN6thrust23THRUST_200600_302600_NS16reverse_iteratorIPKlEEjNS1_16block_id_wrapperIjLb1EEEEEvT_jjPNSF_10value_typeET0_PNSt15iterator_traitsISI_E10value_typeEmT1_T2_.num_vgpr, 8
	.set _ZN7rocprim17ROCPRIM_400000_NS6detail30init_device_scan_by_key_kernelINS1_19lookback_scan_stateINS0_5tupleIJlbEEELb1ELb0EEEN6thrust23THRUST_200600_302600_NS16reverse_iteratorIPKlEEjNS1_16block_id_wrapperIjLb1EEEEEvT_jjPNSF_10value_typeET0_PNSt15iterator_traitsISI_E10value_typeEmT1_T2_.num_agpr, 0
	.set _ZN7rocprim17ROCPRIM_400000_NS6detail30init_device_scan_by_key_kernelINS1_19lookback_scan_stateINS0_5tupleIJlbEEELb1ELb0EEEN6thrust23THRUST_200600_302600_NS16reverse_iteratorIPKlEEjNS1_16block_id_wrapperIjLb1EEEEEvT_jjPNSF_10value_typeET0_PNSt15iterator_traitsISI_E10value_typeEmT1_T2_.numbered_sgpr, 22
	.set _ZN7rocprim17ROCPRIM_400000_NS6detail30init_device_scan_by_key_kernelINS1_19lookback_scan_stateINS0_5tupleIJlbEEELb1ELb0EEEN6thrust23THRUST_200600_302600_NS16reverse_iteratorIPKlEEjNS1_16block_id_wrapperIjLb1EEEEEvT_jjPNSF_10value_typeET0_PNSt15iterator_traitsISI_E10value_typeEmT1_T2_.num_named_barrier, 0
	.set _ZN7rocprim17ROCPRIM_400000_NS6detail30init_device_scan_by_key_kernelINS1_19lookback_scan_stateINS0_5tupleIJlbEEELb1ELb0EEEN6thrust23THRUST_200600_302600_NS16reverse_iteratorIPKlEEjNS1_16block_id_wrapperIjLb1EEEEEvT_jjPNSF_10value_typeET0_PNSt15iterator_traitsISI_E10value_typeEmT1_T2_.private_seg_size, 0
	.set _ZN7rocprim17ROCPRIM_400000_NS6detail30init_device_scan_by_key_kernelINS1_19lookback_scan_stateINS0_5tupleIJlbEEELb1ELb0EEEN6thrust23THRUST_200600_302600_NS16reverse_iteratorIPKlEEjNS1_16block_id_wrapperIjLb1EEEEEvT_jjPNSF_10value_typeET0_PNSt15iterator_traitsISI_E10value_typeEmT1_T2_.uses_vcc, 1
	.set _ZN7rocprim17ROCPRIM_400000_NS6detail30init_device_scan_by_key_kernelINS1_19lookback_scan_stateINS0_5tupleIJlbEEELb1ELb0EEEN6thrust23THRUST_200600_302600_NS16reverse_iteratorIPKlEEjNS1_16block_id_wrapperIjLb1EEEEEvT_jjPNSF_10value_typeET0_PNSt15iterator_traitsISI_E10value_typeEmT1_T2_.uses_flat_scratch, 0
	.set _ZN7rocprim17ROCPRIM_400000_NS6detail30init_device_scan_by_key_kernelINS1_19lookback_scan_stateINS0_5tupleIJlbEEELb1ELb0EEEN6thrust23THRUST_200600_302600_NS16reverse_iteratorIPKlEEjNS1_16block_id_wrapperIjLb1EEEEEvT_jjPNSF_10value_typeET0_PNSt15iterator_traitsISI_E10value_typeEmT1_T2_.has_dyn_sized_stack, 0
	.set _ZN7rocprim17ROCPRIM_400000_NS6detail30init_device_scan_by_key_kernelINS1_19lookback_scan_stateINS0_5tupleIJlbEEELb1ELb0EEEN6thrust23THRUST_200600_302600_NS16reverse_iteratorIPKlEEjNS1_16block_id_wrapperIjLb1EEEEEvT_jjPNSF_10value_typeET0_PNSt15iterator_traitsISI_E10value_typeEmT1_T2_.has_recursion, 0
	.set _ZN7rocprim17ROCPRIM_400000_NS6detail30init_device_scan_by_key_kernelINS1_19lookback_scan_stateINS0_5tupleIJlbEEELb1ELb0EEEN6thrust23THRUST_200600_302600_NS16reverse_iteratorIPKlEEjNS1_16block_id_wrapperIjLb1EEEEEvT_jjPNSF_10value_typeET0_PNSt15iterator_traitsISI_E10value_typeEmT1_T2_.has_indirect_call, 0
	.section	.AMDGPU.csdata,"",@progbits
; Kernel info:
; codeLenInByte = 772
; TotalNumSgprs: 24
; NumVgprs: 8
; ScratchSize: 0
; MemoryBound: 0
; FloatMode: 240
; IeeeMode: 1
; LDSByteSize: 0 bytes/workgroup (compile time only)
; SGPRBlocks: 0
; VGPRBlocks: 0
; NumSGPRsForWavesPerEU: 24
; NumVGPRsForWavesPerEU: 8
; NamedBarCnt: 0
; Occupancy: 16
; WaveLimiterHint : 0
; COMPUTE_PGM_RSRC2:SCRATCH_EN: 0
; COMPUTE_PGM_RSRC2:USER_SGPR: 2
; COMPUTE_PGM_RSRC2:TRAP_HANDLER: 0
; COMPUTE_PGM_RSRC2:TGID_X_EN: 1
; COMPUTE_PGM_RSRC2:TGID_Y_EN: 0
; COMPUTE_PGM_RSRC2:TGID_Z_EN: 0
; COMPUTE_PGM_RSRC2:TIDIG_COMP_CNT: 0
	.section	.text._ZN7rocprim17ROCPRIM_400000_NS6detail17trampoline_kernelINS0_14default_configENS1_27scan_by_key_config_selectorIllEEZZNS1_16scan_by_key_implILNS1_25lookback_scan_determinismE0ELb0ES3_N6thrust23THRUST_200600_302600_NS16reverse_iteratorIPKlEESD_NSA_IPlEElN6hipcub16HIPCUB_304000_NS3MaxENSH_8EqualityElEE10hipError_tPvRmT2_T3_T4_T5_mT6_T7_P12ihipStream_tbENKUlT_T0_E_clISt17integral_constantIbLb1EES10_EEDaSV_SW_EUlSV_E_NS1_11comp_targetILNS1_3genE0ELNS1_11target_archE4294967295ELNS1_3gpuE0ELNS1_3repE0EEENS1_30default_config_static_selectorELNS0_4arch9wavefront6targetE0EEEvT1_,"axG",@progbits,_ZN7rocprim17ROCPRIM_400000_NS6detail17trampoline_kernelINS0_14default_configENS1_27scan_by_key_config_selectorIllEEZZNS1_16scan_by_key_implILNS1_25lookback_scan_determinismE0ELb0ES3_N6thrust23THRUST_200600_302600_NS16reverse_iteratorIPKlEESD_NSA_IPlEElN6hipcub16HIPCUB_304000_NS3MaxENSH_8EqualityElEE10hipError_tPvRmT2_T3_T4_T5_mT6_T7_P12ihipStream_tbENKUlT_T0_E_clISt17integral_constantIbLb1EES10_EEDaSV_SW_EUlSV_E_NS1_11comp_targetILNS1_3genE0ELNS1_11target_archE4294967295ELNS1_3gpuE0ELNS1_3repE0EEENS1_30default_config_static_selectorELNS0_4arch9wavefront6targetE0EEEvT1_,comdat
	.protected	_ZN7rocprim17ROCPRIM_400000_NS6detail17trampoline_kernelINS0_14default_configENS1_27scan_by_key_config_selectorIllEEZZNS1_16scan_by_key_implILNS1_25lookback_scan_determinismE0ELb0ES3_N6thrust23THRUST_200600_302600_NS16reverse_iteratorIPKlEESD_NSA_IPlEElN6hipcub16HIPCUB_304000_NS3MaxENSH_8EqualityElEE10hipError_tPvRmT2_T3_T4_T5_mT6_T7_P12ihipStream_tbENKUlT_T0_E_clISt17integral_constantIbLb1EES10_EEDaSV_SW_EUlSV_E_NS1_11comp_targetILNS1_3genE0ELNS1_11target_archE4294967295ELNS1_3gpuE0ELNS1_3repE0EEENS1_30default_config_static_selectorELNS0_4arch9wavefront6targetE0EEEvT1_ ; -- Begin function _ZN7rocprim17ROCPRIM_400000_NS6detail17trampoline_kernelINS0_14default_configENS1_27scan_by_key_config_selectorIllEEZZNS1_16scan_by_key_implILNS1_25lookback_scan_determinismE0ELb0ES3_N6thrust23THRUST_200600_302600_NS16reverse_iteratorIPKlEESD_NSA_IPlEElN6hipcub16HIPCUB_304000_NS3MaxENSH_8EqualityElEE10hipError_tPvRmT2_T3_T4_T5_mT6_T7_P12ihipStream_tbENKUlT_T0_E_clISt17integral_constantIbLb1EES10_EEDaSV_SW_EUlSV_E_NS1_11comp_targetILNS1_3genE0ELNS1_11target_archE4294967295ELNS1_3gpuE0ELNS1_3repE0EEENS1_30default_config_static_selectorELNS0_4arch9wavefront6targetE0EEEvT1_
	.globl	_ZN7rocprim17ROCPRIM_400000_NS6detail17trampoline_kernelINS0_14default_configENS1_27scan_by_key_config_selectorIllEEZZNS1_16scan_by_key_implILNS1_25lookback_scan_determinismE0ELb0ES3_N6thrust23THRUST_200600_302600_NS16reverse_iteratorIPKlEESD_NSA_IPlEElN6hipcub16HIPCUB_304000_NS3MaxENSH_8EqualityElEE10hipError_tPvRmT2_T3_T4_T5_mT6_T7_P12ihipStream_tbENKUlT_T0_E_clISt17integral_constantIbLb1EES10_EEDaSV_SW_EUlSV_E_NS1_11comp_targetILNS1_3genE0ELNS1_11target_archE4294967295ELNS1_3gpuE0ELNS1_3repE0EEENS1_30default_config_static_selectorELNS0_4arch9wavefront6targetE0EEEvT1_
	.p2align	8
	.type	_ZN7rocprim17ROCPRIM_400000_NS6detail17trampoline_kernelINS0_14default_configENS1_27scan_by_key_config_selectorIllEEZZNS1_16scan_by_key_implILNS1_25lookback_scan_determinismE0ELb0ES3_N6thrust23THRUST_200600_302600_NS16reverse_iteratorIPKlEESD_NSA_IPlEElN6hipcub16HIPCUB_304000_NS3MaxENSH_8EqualityElEE10hipError_tPvRmT2_T3_T4_T5_mT6_T7_P12ihipStream_tbENKUlT_T0_E_clISt17integral_constantIbLb1EES10_EEDaSV_SW_EUlSV_E_NS1_11comp_targetILNS1_3genE0ELNS1_11target_archE4294967295ELNS1_3gpuE0ELNS1_3repE0EEENS1_30default_config_static_selectorELNS0_4arch9wavefront6targetE0EEEvT1_,@function
_ZN7rocprim17ROCPRIM_400000_NS6detail17trampoline_kernelINS0_14default_configENS1_27scan_by_key_config_selectorIllEEZZNS1_16scan_by_key_implILNS1_25lookback_scan_determinismE0ELb0ES3_N6thrust23THRUST_200600_302600_NS16reverse_iteratorIPKlEESD_NSA_IPlEElN6hipcub16HIPCUB_304000_NS3MaxENSH_8EqualityElEE10hipError_tPvRmT2_T3_T4_T5_mT6_T7_P12ihipStream_tbENKUlT_T0_E_clISt17integral_constantIbLb1EES10_EEDaSV_SW_EUlSV_E_NS1_11comp_targetILNS1_3genE0ELNS1_11target_archE4294967295ELNS1_3gpuE0ELNS1_3repE0EEENS1_30default_config_static_selectorELNS0_4arch9wavefront6targetE0EEEvT1_: ; @_ZN7rocprim17ROCPRIM_400000_NS6detail17trampoline_kernelINS0_14default_configENS1_27scan_by_key_config_selectorIllEEZZNS1_16scan_by_key_implILNS1_25lookback_scan_determinismE0ELb0ES3_N6thrust23THRUST_200600_302600_NS16reverse_iteratorIPKlEESD_NSA_IPlEElN6hipcub16HIPCUB_304000_NS3MaxENSH_8EqualityElEE10hipError_tPvRmT2_T3_T4_T5_mT6_T7_P12ihipStream_tbENKUlT_T0_E_clISt17integral_constantIbLb1EES10_EEDaSV_SW_EUlSV_E_NS1_11comp_targetILNS1_3genE0ELNS1_11target_archE4294967295ELNS1_3gpuE0ELNS1_3repE0EEENS1_30default_config_static_selectorELNS0_4arch9wavefront6targetE0EEEvT1_
; %bb.0:
	s_endpgm
	.section	.rodata,"a",@progbits
	.p2align	6, 0x0
	.amdhsa_kernel _ZN7rocprim17ROCPRIM_400000_NS6detail17trampoline_kernelINS0_14default_configENS1_27scan_by_key_config_selectorIllEEZZNS1_16scan_by_key_implILNS1_25lookback_scan_determinismE0ELb0ES3_N6thrust23THRUST_200600_302600_NS16reverse_iteratorIPKlEESD_NSA_IPlEElN6hipcub16HIPCUB_304000_NS3MaxENSH_8EqualityElEE10hipError_tPvRmT2_T3_T4_T5_mT6_T7_P12ihipStream_tbENKUlT_T0_E_clISt17integral_constantIbLb1EES10_EEDaSV_SW_EUlSV_E_NS1_11comp_targetILNS1_3genE0ELNS1_11target_archE4294967295ELNS1_3gpuE0ELNS1_3repE0EEENS1_30default_config_static_selectorELNS0_4arch9wavefront6targetE0EEEvT1_
		.amdhsa_group_segment_fixed_size 0
		.amdhsa_private_segment_fixed_size 0
		.amdhsa_kernarg_size 136
		.amdhsa_user_sgpr_count 2
		.amdhsa_user_sgpr_dispatch_ptr 0
		.amdhsa_user_sgpr_queue_ptr 0
		.amdhsa_user_sgpr_kernarg_segment_ptr 1
		.amdhsa_user_sgpr_dispatch_id 0
		.amdhsa_user_sgpr_kernarg_preload_length 0
		.amdhsa_user_sgpr_kernarg_preload_offset 0
		.amdhsa_user_sgpr_private_segment_size 0
		.amdhsa_wavefront_size32 1
		.amdhsa_uses_dynamic_stack 0
		.amdhsa_enable_private_segment 0
		.amdhsa_system_sgpr_workgroup_id_x 1
		.amdhsa_system_sgpr_workgroup_id_y 0
		.amdhsa_system_sgpr_workgroup_id_z 0
		.amdhsa_system_sgpr_workgroup_info 0
		.amdhsa_system_vgpr_workitem_id 0
		.amdhsa_next_free_vgpr 1
		.amdhsa_next_free_sgpr 1
		.amdhsa_named_barrier_count 0
		.amdhsa_reserve_vcc 0
		.amdhsa_float_round_mode_32 0
		.amdhsa_float_round_mode_16_64 0
		.amdhsa_float_denorm_mode_32 3
		.amdhsa_float_denorm_mode_16_64 3
		.amdhsa_fp16_overflow 0
		.amdhsa_memory_ordered 1
		.amdhsa_forward_progress 1
		.amdhsa_inst_pref_size 1
		.amdhsa_round_robin_scheduling 0
		.amdhsa_exception_fp_ieee_invalid_op 0
		.amdhsa_exception_fp_denorm_src 0
		.amdhsa_exception_fp_ieee_div_zero 0
		.amdhsa_exception_fp_ieee_overflow 0
		.amdhsa_exception_fp_ieee_underflow 0
		.amdhsa_exception_fp_ieee_inexact 0
		.amdhsa_exception_int_div_zero 0
	.end_amdhsa_kernel
	.section	.text._ZN7rocprim17ROCPRIM_400000_NS6detail17trampoline_kernelINS0_14default_configENS1_27scan_by_key_config_selectorIllEEZZNS1_16scan_by_key_implILNS1_25lookback_scan_determinismE0ELb0ES3_N6thrust23THRUST_200600_302600_NS16reverse_iteratorIPKlEESD_NSA_IPlEElN6hipcub16HIPCUB_304000_NS3MaxENSH_8EqualityElEE10hipError_tPvRmT2_T3_T4_T5_mT6_T7_P12ihipStream_tbENKUlT_T0_E_clISt17integral_constantIbLb1EES10_EEDaSV_SW_EUlSV_E_NS1_11comp_targetILNS1_3genE0ELNS1_11target_archE4294967295ELNS1_3gpuE0ELNS1_3repE0EEENS1_30default_config_static_selectorELNS0_4arch9wavefront6targetE0EEEvT1_,"axG",@progbits,_ZN7rocprim17ROCPRIM_400000_NS6detail17trampoline_kernelINS0_14default_configENS1_27scan_by_key_config_selectorIllEEZZNS1_16scan_by_key_implILNS1_25lookback_scan_determinismE0ELb0ES3_N6thrust23THRUST_200600_302600_NS16reverse_iteratorIPKlEESD_NSA_IPlEElN6hipcub16HIPCUB_304000_NS3MaxENSH_8EqualityElEE10hipError_tPvRmT2_T3_T4_T5_mT6_T7_P12ihipStream_tbENKUlT_T0_E_clISt17integral_constantIbLb1EES10_EEDaSV_SW_EUlSV_E_NS1_11comp_targetILNS1_3genE0ELNS1_11target_archE4294967295ELNS1_3gpuE0ELNS1_3repE0EEENS1_30default_config_static_selectorELNS0_4arch9wavefront6targetE0EEEvT1_,comdat
.Lfunc_end147:
	.size	_ZN7rocprim17ROCPRIM_400000_NS6detail17trampoline_kernelINS0_14default_configENS1_27scan_by_key_config_selectorIllEEZZNS1_16scan_by_key_implILNS1_25lookback_scan_determinismE0ELb0ES3_N6thrust23THRUST_200600_302600_NS16reverse_iteratorIPKlEESD_NSA_IPlEElN6hipcub16HIPCUB_304000_NS3MaxENSH_8EqualityElEE10hipError_tPvRmT2_T3_T4_T5_mT6_T7_P12ihipStream_tbENKUlT_T0_E_clISt17integral_constantIbLb1EES10_EEDaSV_SW_EUlSV_E_NS1_11comp_targetILNS1_3genE0ELNS1_11target_archE4294967295ELNS1_3gpuE0ELNS1_3repE0EEENS1_30default_config_static_selectorELNS0_4arch9wavefront6targetE0EEEvT1_, .Lfunc_end147-_ZN7rocprim17ROCPRIM_400000_NS6detail17trampoline_kernelINS0_14default_configENS1_27scan_by_key_config_selectorIllEEZZNS1_16scan_by_key_implILNS1_25lookback_scan_determinismE0ELb0ES3_N6thrust23THRUST_200600_302600_NS16reverse_iteratorIPKlEESD_NSA_IPlEElN6hipcub16HIPCUB_304000_NS3MaxENSH_8EqualityElEE10hipError_tPvRmT2_T3_T4_T5_mT6_T7_P12ihipStream_tbENKUlT_T0_E_clISt17integral_constantIbLb1EES10_EEDaSV_SW_EUlSV_E_NS1_11comp_targetILNS1_3genE0ELNS1_11target_archE4294967295ELNS1_3gpuE0ELNS1_3repE0EEENS1_30default_config_static_selectorELNS0_4arch9wavefront6targetE0EEEvT1_
                                        ; -- End function
	.set _ZN7rocprim17ROCPRIM_400000_NS6detail17trampoline_kernelINS0_14default_configENS1_27scan_by_key_config_selectorIllEEZZNS1_16scan_by_key_implILNS1_25lookback_scan_determinismE0ELb0ES3_N6thrust23THRUST_200600_302600_NS16reverse_iteratorIPKlEESD_NSA_IPlEElN6hipcub16HIPCUB_304000_NS3MaxENSH_8EqualityElEE10hipError_tPvRmT2_T3_T4_T5_mT6_T7_P12ihipStream_tbENKUlT_T0_E_clISt17integral_constantIbLb1EES10_EEDaSV_SW_EUlSV_E_NS1_11comp_targetILNS1_3genE0ELNS1_11target_archE4294967295ELNS1_3gpuE0ELNS1_3repE0EEENS1_30default_config_static_selectorELNS0_4arch9wavefront6targetE0EEEvT1_.num_vgpr, 0
	.set _ZN7rocprim17ROCPRIM_400000_NS6detail17trampoline_kernelINS0_14default_configENS1_27scan_by_key_config_selectorIllEEZZNS1_16scan_by_key_implILNS1_25lookback_scan_determinismE0ELb0ES3_N6thrust23THRUST_200600_302600_NS16reverse_iteratorIPKlEESD_NSA_IPlEElN6hipcub16HIPCUB_304000_NS3MaxENSH_8EqualityElEE10hipError_tPvRmT2_T3_T4_T5_mT6_T7_P12ihipStream_tbENKUlT_T0_E_clISt17integral_constantIbLb1EES10_EEDaSV_SW_EUlSV_E_NS1_11comp_targetILNS1_3genE0ELNS1_11target_archE4294967295ELNS1_3gpuE0ELNS1_3repE0EEENS1_30default_config_static_selectorELNS0_4arch9wavefront6targetE0EEEvT1_.num_agpr, 0
	.set _ZN7rocprim17ROCPRIM_400000_NS6detail17trampoline_kernelINS0_14default_configENS1_27scan_by_key_config_selectorIllEEZZNS1_16scan_by_key_implILNS1_25lookback_scan_determinismE0ELb0ES3_N6thrust23THRUST_200600_302600_NS16reverse_iteratorIPKlEESD_NSA_IPlEElN6hipcub16HIPCUB_304000_NS3MaxENSH_8EqualityElEE10hipError_tPvRmT2_T3_T4_T5_mT6_T7_P12ihipStream_tbENKUlT_T0_E_clISt17integral_constantIbLb1EES10_EEDaSV_SW_EUlSV_E_NS1_11comp_targetILNS1_3genE0ELNS1_11target_archE4294967295ELNS1_3gpuE0ELNS1_3repE0EEENS1_30default_config_static_selectorELNS0_4arch9wavefront6targetE0EEEvT1_.numbered_sgpr, 0
	.set _ZN7rocprim17ROCPRIM_400000_NS6detail17trampoline_kernelINS0_14default_configENS1_27scan_by_key_config_selectorIllEEZZNS1_16scan_by_key_implILNS1_25lookback_scan_determinismE0ELb0ES3_N6thrust23THRUST_200600_302600_NS16reverse_iteratorIPKlEESD_NSA_IPlEElN6hipcub16HIPCUB_304000_NS3MaxENSH_8EqualityElEE10hipError_tPvRmT2_T3_T4_T5_mT6_T7_P12ihipStream_tbENKUlT_T0_E_clISt17integral_constantIbLb1EES10_EEDaSV_SW_EUlSV_E_NS1_11comp_targetILNS1_3genE0ELNS1_11target_archE4294967295ELNS1_3gpuE0ELNS1_3repE0EEENS1_30default_config_static_selectorELNS0_4arch9wavefront6targetE0EEEvT1_.num_named_barrier, 0
	.set _ZN7rocprim17ROCPRIM_400000_NS6detail17trampoline_kernelINS0_14default_configENS1_27scan_by_key_config_selectorIllEEZZNS1_16scan_by_key_implILNS1_25lookback_scan_determinismE0ELb0ES3_N6thrust23THRUST_200600_302600_NS16reverse_iteratorIPKlEESD_NSA_IPlEElN6hipcub16HIPCUB_304000_NS3MaxENSH_8EqualityElEE10hipError_tPvRmT2_T3_T4_T5_mT6_T7_P12ihipStream_tbENKUlT_T0_E_clISt17integral_constantIbLb1EES10_EEDaSV_SW_EUlSV_E_NS1_11comp_targetILNS1_3genE0ELNS1_11target_archE4294967295ELNS1_3gpuE0ELNS1_3repE0EEENS1_30default_config_static_selectorELNS0_4arch9wavefront6targetE0EEEvT1_.private_seg_size, 0
	.set _ZN7rocprim17ROCPRIM_400000_NS6detail17trampoline_kernelINS0_14default_configENS1_27scan_by_key_config_selectorIllEEZZNS1_16scan_by_key_implILNS1_25lookback_scan_determinismE0ELb0ES3_N6thrust23THRUST_200600_302600_NS16reverse_iteratorIPKlEESD_NSA_IPlEElN6hipcub16HIPCUB_304000_NS3MaxENSH_8EqualityElEE10hipError_tPvRmT2_T3_T4_T5_mT6_T7_P12ihipStream_tbENKUlT_T0_E_clISt17integral_constantIbLb1EES10_EEDaSV_SW_EUlSV_E_NS1_11comp_targetILNS1_3genE0ELNS1_11target_archE4294967295ELNS1_3gpuE0ELNS1_3repE0EEENS1_30default_config_static_selectorELNS0_4arch9wavefront6targetE0EEEvT1_.uses_vcc, 0
	.set _ZN7rocprim17ROCPRIM_400000_NS6detail17trampoline_kernelINS0_14default_configENS1_27scan_by_key_config_selectorIllEEZZNS1_16scan_by_key_implILNS1_25lookback_scan_determinismE0ELb0ES3_N6thrust23THRUST_200600_302600_NS16reverse_iteratorIPKlEESD_NSA_IPlEElN6hipcub16HIPCUB_304000_NS3MaxENSH_8EqualityElEE10hipError_tPvRmT2_T3_T4_T5_mT6_T7_P12ihipStream_tbENKUlT_T0_E_clISt17integral_constantIbLb1EES10_EEDaSV_SW_EUlSV_E_NS1_11comp_targetILNS1_3genE0ELNS1_11target_archE4294967295ELNS1_3gpuE0ELNS1_3repE0EEENS1_30default_config_static_selectorELNS0_4arch9wavefront6targetE0EEEvT1_.uses_flat_scratch, 0
	.set _ZN7rocprim17ROCPRIM_400000_NS6detail17trampoline_kernelINS0_14default_configENS1_27scan_by_key_config_selectorIllEEZZNS1_16scan_by_key_implILNS1_25lookback_scan_determinismE0ELb0ES3_N6thrust23THRUST_200600_302600_NS16reverse_iteratorIPKlEESD_NSA_IPlEElN6hipcub16HIPCUB_304000_NS3MaxENSH_8EqualityElEE10hipError_tPvRmT2_T3_T4_T5_mT6_T7_P12ihipStream_tbENKUlT_T0_E_clISt17integral_constantIbLb1EES10_EEDaSV_SW_EUlSV_E_NS1_11comp_targetILNS1_3genE0ELNS1_11target_archE4294967295ELNS1_3gpuE0ELNS1_3repE0EEENS1_30default_config_static_selectorELNS0_4arch9wavefront6targetE0EEEvT1_.has_dyn_sized_stack, 0
	.set _ZN7rocprim17ROCPRIM_400000_NS6detail17trampoline_kernelINS0_14default_configENS1_27scan_by_key_config_selectorIllEEZZNS1_16scan_by_key_implILNS1_25lookback_scan_determinismE0ELb0ES3_N6thrust23THRUST_200600_302600_NS16reverse_iteratorIPKlEESD_NSA_IPlEElN6hipcub16HIPCUB_304000_NS3MaxENSH_8EqualityElEE10hipError_tPvRmT2_T3_T4_T5_mT6_T7_P12ihipStream_tbENKUlT_T0_E_clISt17integral_constantIbLb1EES10_EEDaSV_SW_EUlSV_E_NS1_11comp_targetILNS1_3genE0ELNS1_11target_archE4294967295ELNS1_3gpuE0ELNS1_3repE0EEENS1_30default_config_static_selectorELNS0_4arch9wavefront6targetE0EEEvT1_.has_recursion, 0
	.set _ZN7rocprim17ROCPRIM_400000_NS6detail17trampoline_kernelINS0_14default_configENS1_27scan_by_key_config_selectorIllEEZZNS1_16scan_by_key_implILNS1_25lookback_scan_determinismE0ELb0ES3_N6thrust23THRUST_200600_302600_NS16reverse_iteratorIPKlEESD_NSA_IPlEElN6hipcub16HIPCUB_304000_NS3MaxENSH_8EqualityElEE10hipError_tPvRmT2_T3_T4_T5_mT6_T7_P12ihipStream_tbENKUlT_T0_E_clISt17integral_constantIbLb1EES10_EEDaSV_SW_EUlSV_E_NS1_11comp_targetILNS1_3genE0ELNS1_11target_archE4294967295ELNS1_3gpuE0ELNS1_3repE0EEENS1_30default_config_static_selectorELNS0_4arch9wavefront6targetE0EEEvT1_.has_indirect_call, 0
	.section	.AMDGPU.csdata,"",@progbits
; Kernel info:
; codeLenInByte = 4
; TotalNumSgprs: 0
; NumVgprs: 0
; ScratchSize: 0
; MemoryBound: 0
; FloatMode: 240
; IeeeMode: 1
; LDSByteSize: 0 bytes/workgroup (compile time only)
; SGPRBlocks: 0
; VGPRBlocks: 0
; NumSGPRsForWavesPerEU: 1
; NumVGPRsForWavesPerEU: 1
; NamedBarCnt: 0
; Occupancy: 16
; WaveLimiterHint : 0
; COMPUTE_PGM_RSRC2:SCRATCH_EN: 0
; COMPUTE_PGM_RSRC2:USER_SGPR: 2
; COMPUTE_PGM_RSRC2:TRAP_HANDLER: 0
; COMPUTE_PGM_RSRC2:TGID_X_EN: 1
; COMPUTE_PGM_RSRC2:TGID_Y_EN: 0
; COMPUTE_PGM_RSRC2:TGID_Z_EN: 0
; COMPUTE_PGM_RSRC2:TIDIG_COMP_CNT: 0
	.section	.text._ZN7rocprim17ROCPRIM_400000_NS6detail17trampoline_kernelINS0_14default_configENS1_27scan_by_key_config_selectorIllEEZZNS1_16scan_by_key_implILNS1_25lookback_scan_determinismE0ELb0ES3_N6thrust23THRUST_200600_302600_NS16reverse_iteratorIPKlEESD_NSA_IPlEElN6hipcub16HIPCUB_304000_NS3MaxENSH_8EqualityElEE10hipError_tPvRmT2_T3_T4_T5_mT6_T7_P12ihipStream_tbENKUlT_T0_E_clISt17integral_constantIbLb1EES10_EEDaSV_SW_EUlSV_E_NS1_11comp_targetILNS1_3genE10ELNS1_11target_archE1201ELNS1_3gpuE5ELNS1_3repE0EEENS1_30default_config_static_selectorELNS0_4arch9wavefront6targetE0EEEvT1_,"axG",@progbits,_ZN7rocprim17ROCPRIM_400000_NS6detail17trampoline_kernelINS0_14default_configENS1_27scan_by_key_config_selectorIllEEZZNS1_16scan_by_key_implILNS1_25lookback_scan_determinismE0ELb0ES3_N6thrust23THRUST_200600_302600_NS16reverse_iteratorIPKlEESD_NSA_IPlEElN6hipcub16HIPCUB_304000_NS3MaxENSH_8EqualityElEE10hipError_tPvRmT2_T3_T4_T5_mT6_T7_P12ihipStream_tbENKUlT_T0_E_clISt17integral_constantIbLb1EES10_EEDaSV_SW_EUlSV_E_NS1_11comp_targetILNS1_3genE10ELNS1_11target_archE1201ELNS1_3gpuE5ELNS1_3repE0EEENS1_30default_config_static_selectorELNS0_4arch9wavefront6targetE0EEEvT1_,comdat
	.protected	_ZN7rocprim17ROCPRIM_400000_NS6detail17trampoline_kernelINS0_14default_configENS1_27scan_by_key_config_selectorIllEEZZNS1_16scan_by_key_implILNS1_25lookback_scan_determinismE0ELb0ES3_N6thrust23THRUST_200600_302600_NS16reverse_iteratorIPKlEESD_NSA_IPlEElN6hipcub16HIPCUB_304000_NS3MaxENSH_8EqualityElEE10hipError_tPvRmT2_T3_T4_T5_mT6_T7_P12ihipStream_tbENKUlT_T0_E_clISt17integral_constantIbLb1EES10_EEDaSV_SW_EUlSV_E_NS1_11comp_targetILNS1_3genE10ELNS1_11target_archE1201ELNS1_3gpuE5ELNS1_3repE0EEENS1_30default_config_static_selectorELNS0_4arch9wavefront6targetE0EEEvT1_ ; -- Begin function _ZN7rocprim17ROCPRIM_400000_NS6detail17trampoline_kernelINS0_14default_configENS1_27scan_by_key_config_selectorIllEEZZNS1_16scan_by_key_implILNS1_25lookback_scan_determinismE0ELb0ES3_N6thrust23THRUST_200600_302600_NS16reverse_iteratorIPKlEESD_NSA_IPlEElN6hipcub16HIPCUB_304000_NS3MaxENSH_8EqualityElEE10hipError_tPvRmT2_T3_T4_T5_mT6_T7_P12ihipStream_tbENKUlT_T0_E_clISt17integral_constantIbLb1EES10_EEDaSV_SW_EUlSV_E_NS1_11comp_targetILNS1_3genE10ELNS1_11target_archE1201ELNS1_3gpuE5ELNS1_3repE0EEENS1_30default_config_static_selectorELNS0_4arch9wavefront6targetE0EEEvT1_
	.globl	_ZN7rocprim17ROCPRIM_400000_NS6detail17trampoline_kernelINS0_14default_configENS1_27scan_by_key_config_selectorIllEEZZNS1_16scan_by_key_implILNS1_25lookback_scan_determinismE0ELb0ES3_N6thrust23THRUST_200600_302600_NS16reverse_iteratorIPKlEESD_NSA_IPlEElN6hipcub16HIPCUB_304000_NS3MaxENSH_8EqualityElEE10hipError_tPvRmT2_T3_T4_T5_mT6_T7_P12ihipStream_tbENKUlT_T0_E_clISt17integral_constantIbLb1EES10_EEDaSV_SW_EUlSV_E_NS1_11comp_targetILNS1_3genE10ELNS1_11target_archE1201ELNS1_3gpuE5ELNS1_3repE0EEENS1_30default_config_static_selectorELNS0_4arch9wavefront6targetE0EEEvT1_
	.p2align	8
	.type	_ZN7rocprim17ROCPRIM_400000_NS6detail17trampoline_kernelINS0_14default_configENS1_27scan_by_key_config_selectorIllEEZZNS1_16scan_by_key_implILNS1_25lookback_scan_determinismE0ELb0ES3_N6thrust23THRUST_200600_302600_NS16reverse_iteratorIPKlEESD_NSA_IPlEElN6hipcub16HIPCUB_304000_NS3MaxENSH_8EqualityElEE10hipError_tPvRmT2_T3_T4_T5_mT6_T7_P12ihipStream_tbENKUlT_T0_E_clISt17integral_constantIbLb1EES10_EEDaSV_SW_EUlSV_E_NS1_11comp_targetILNS1_3genE10ELNS1_11target_archE1201ELNS1_3gpuE5ELNS1_3repE0EEENS1_30default_config_static_selectorELNS0_4arch9wavefront6targetE0EEEvT1_,@function
_ZN7rocprim17ROCPRIM_400000_NS6detail17trampoline_kernelINS0_14default_configENS1_27scan_by_key_config_selectorIllEEZZNS1_16scan_by_key_implILNS1_25lookback_scan_determinismE0ELb0ES3_N6thrust23THRUST_200600_302600_NS16reverse_iteratorIPKlEESD_NSA_IPlEElN6hipcub16HIPCUB_304000_NS3MaxENSH_8EqualityElEE10hipError_tPvRmT2_T3_T4_T5_mT6_T7_P12ihipStream_tbENKUlT_T0_E_clISt17integral_constantIbLb1EES10_EEDaSV_SW_EUlSV_E_NS1_11comp_targetILNS1_3genE10ELNS1_11target_archE1201ELNS1_3gpuE5ELNS1_3repE0EEENS1_30default_config_static_selectorELNS0_4arch9wavefront6targetE0EEEvT1_: ; @_ZN7rocprim17ROCPRIM_400000_NS6detail17trampoline_kernelINS0_14default_configENS1_27scan_by_key_config_selectorIllEEZZNS1_16scan_by_key_implILNS1_25lookback_scan_determinismE0ELb0ES3_N6thrust23THRUST_200600_302600_NS16reverse_iteratorIPKlEESD_NSA_IPlEElN6hipcub16HIPCUB_304000_NS3MaxENSH_8EqualityElEE10hipError_tPvRmT2_T3_T4_T5_mT6_T7_P12ihipStream_tbENKUlT_T0_E_clISt17integral_constantIbLb1EES10_EEDaSV_SW_EUlSV_E_NS1_11comp_targetILNS1_3genE10ELNS1_11target_archE1201ELNS1_3gpuE5ELNS1_3repE0EEENS1_30default_config_static_selectorELNS0_4arch9wavefront6targetE0EEEvT1_
; %bb.0:
	.section	.rodata,"a",@progbits
	.p2align	6, 0x0
	.amdhsa_kernel _ZN7rocprim17ROCPRIM_400000_NS6detail17trampoline_kernelINS0_14default_configENS1_27scan_by_key_config_selectorIllEEZZNS1_16scan_by_key_implILNS1_25lookback_scan_determinismE0ELb0ES3_N6thrust23THRUST_200600_302600_NS16reverse_iteratorIPKlEESD_NSA_IPlEElN6hipcub16HIPCUB_304000_NS3MaxENSH_8EqualityElEE10hipError_tPvRmT2_T3_T4_T5_mT6_T7_P12ihipStream_tbENKUlT_T0_E_clISt17integral_constantIbLb1EES10_EEDaSV_SW_EUlSV_E_NS1_11comp_targetILNS1_3genE10ELNS1_11target_archE1201ELNS1_3gpuE5ELNS1_3repE0EEENS1_30default_config_static_selectorELNS0_4arch9wavefront6targetE0EEEvT1_
		.amdhsa_group_segment_fixed_size 0
		.amdhsa_private_segment_fixed_size 0
		.amdhsa_kernarg_size 136
		.amdhsa_user_sgpr_count 2
		.amdhsa_user_sgpr_dispatch_ptr 0
		.amdhsa_user_sgpr_queue_ptr 0
		.amdhsa_user_sgpr_kernarg_segment_ptr 1
		.amdhsa_user_sgpr_dispatch_id 0
		.amdhsa_user_sgpr_kernarg_preload_length 0
		.amdhsa_user_sgpr_kernarg_preload_offset 0
		.amdhsa_user_sgpr_private_segment_size 0
		.amdhsa_wavefront_size32 1
		.amdhsa_uses_dynamic_stack 0
		.amdhsa_enable_private_segment 0
		.amdhsa_system_sgpr_workgroup_id_x 1
		.amdhsa_system_sgpr_workgroup_id_y 0
		.amdhsa_system_sgpr_workgroup_id_z 0
		.amdhsa_system_sgpr_workgroup_info 0
		.amdhsa_system_vgpr_workitem_id 0
		.amdhsa_next_free_vgpr 1
		.amdhsa_next_free_sgpr 1
		.amdhsa_named_barrier_count 0
		.amdhsa_reserve_vcc 0
		.amdhsa_float_round_mode_32 0
		.amdhsa_float_round_mode_16_64 0
		.amdhsa_float_denorm_mode_32 3
		.amdhsa_float_denorm_mode_16_64 3
		.amdhsa_fp16_overflow 0
		.amdhsa_memory_ordered 1
		.amdhsa_forward_progress 1
		.amdhsa_inst_pref_size 0
		.amdhsa_round_robin_scheduling 0
		.amdhsa_exception_fp_ieee_invalid_op 0
		.amdhsa_exception_fp_denorm_src 0
		.amdhsa_exception_fp_ieee_div_zero 0
		.amdhsa_exception_fp_ieee_overflow 0
		.amdhsa_exception_fp_ieee_underflow 0
		.amdhsa_exception_fp_ieee_inexact 0
		.amdhsa_exception_int_div_zero 0
	.end_amdhsa_kernel
	.section	.text._ZN7rocprim17ROCPRIM_400000_NS6detail17trampoline_kernelINS0_14default_configENS1_27scan_by_key_config_selectorIllEEZZNS1_16scan_by_key_implILNS1_25lookback_scan_determinismE0ELb0ES3_N6thrust23THRUST_200600_302600_NS16reverse_iteratorIPKlEESD_NSA_IPlEElN6hipcub16HIPCUB_304000_NS3MaxENSH_8EqualityElEE10hipError_tPvRmT2_T3_T4_T5_mT6_T7_P12ihipStream_tbENKUlT_T0_E_clISt17integral_constantIbLb1EES10_EEDaSV_SW_EUlSV_E_NS1_11comp_targetILNS1_3genE10ELNS1_11target_archE1201ELNS1_3gpuE5ELNS1_3repE0EEENS1_30default_config_static_selectorELNS0_4arch9wavefront6targetE0EEEvT1_,"axG",@progbits,_ZN7rocprim17ROCPRIM_400000_NS6detail17trampoline_kernelINS0_14default_configENS1_27scan_by_key_config_selectorIllEEZZNS1_16scan_by_key_implILNS1_25lookback_scan_determinismE0ELb0ES3_N6thrust23THRUST_200600_302600_NS16reverse_iteratorIPKlEESD_NSA_IPlEElN6hipcub16HIPCUB_304000_NS3MaxENSH_8EqualityElEE10hipError_tPvRmT2_T3_T4_T5_mT6_T7_P12ihipStream_tbENKUlT_T0_E_clISt17integral_constantIbLb1EES10_EEDaSV_SW_EUlSV_E_NS1_11comp_targetILNS1_3genE10ELNS1_11target_archE1201ELNS1_3gpuE5ELNS1_3repE0EEENS1_30default_config_static_selectorELNS0_4arch9wavefront6targetE0EEEvT1_,comdat
.Lfunc_end148:
	.size	_ZN7rocprim17ROCPRIM_400000_NS6detail17trampoline_kernelINS0_14default_configENS1_27scan_by_key_config_selectorIllEEZZNS1_16scan_by_key_implILNS1_25lookback_scan_determinismE0ELb0ES3_N6thrust23THRUST_200600_302600_NS16reverse_iteratorIPKlEESD_NSA_IPlEElN6hipcub16HIPCUB_304000_NS3MaxENSH_8EqualityElEE10hipError_tPvRmT2_T3_T4_T5_mT6_T7_P12ihipStream_tbENKUlT_T0_E_clISt17integral_constantIbLb1EES10_EEDaSV_SW_EUlSV_E_NS1_11comp_targetILNS1_3genE10ELNS1_11target_archE1201ELNS1_3gpuE5ELNS1_3repE0EEENS1_30default_config_static_selectorELNS0_4arch9wavefront6targetE0EEEvT1_, .Lfunc_end148-_ZN7rocprim17ROCPRIM_400000_NS6detail17trampoline_kernelINS0_14default_configENS1_27scan_by_key_config_selectorIllEEZZNS1_16scan_by_key_implILNS1_25lookback_scan_determinismE0ELb0ES3_N6thrust23THRUST_200600_302600_NS16reverse_iteratorIPKlEESD_NSA_IPlEElN6hipcub16HIPCUB_304000_NS3MaxENSH_8EqualityElEE10hipError_tPvRmT2_T3_T4_T5_mT6_T7_P12ihipStream_tbENKUlT_T0_E_clISt17integral_constantIbLb1EES10_EEDaSV_SW_EUlSV_E_NS1_11comp_targetILNS1_3genE10ELNS1_11target_archE1201ELNS1_3gpuE5ELNS1_3repE0EEENS1_30default_config_static_selectorELNS0_4arch9wavefront6targetE0EEEvT1_
                                        ; -- End function
	.set _ZN7rocprim17ROCPRIM_400000_NS6detail17trampoline_kernelINS0_14default_configENS1_27scan_by_key_config_selectorIllEEZZNS1_16scan_by_key_implILNS1_25lookback_scan_determinismE0ELb0ES3_N6thrust23THRUST_200600_302600_NS16reverse_iteratorIPKlEESD_NSA_IPlEElN6hipcub16HIPCUB_304000_NS3MaxENSH_8EqualityElEE10hipError_tPvRmT2_T3_T4_T5_mT6_T7_P12ihipStream_tbENKUlT_T0_E_clISt17integral_constantIbLb1EES10_EEDaSV_SW_EUlSV_E_NS1_11comp_targetILNS1_3genE10ELNS1_11target_archE1201ELNS1_3gpuE5ELNS1_3repE0EEENS1_30default_config_static_selectorELNS0_4arch9wavefront6targetE0EEEvT1_.num_vgpr, 0
	.set _ZN7rocprim17ROCPRIM_400000_NS6detail17trampoline_kernelINS0_14default_configENS1_27scan_by_key_config_selectorIllEEZZNS1_16scan_by_key_implILNS1_25lookback_scan_determinismE0ELb0ES3_N6thrust23THRUST_200600_302600_NS16reverse_iteratorIPKlEESD_NSA_IPlEElN6hipcub16HIPCUB_304000_NS3MaxENSH_8EqualityElEE10hipError_tPvRmT2_T3_T4_T5_mT6_T7_P12ihipStream_tbENKUlT_T0_E_clISt17integral_constantIbLb1EES10_EEDaSV_SW_EUlSV_E_NS1_11comp_targetILNS1_3genE10ELNS1_11target_archE1201ELNS1_3gpuE5ELNS1_3repE0EEENS1_30default_config_static_selectorELNS0_4arch9wavefront6targetE0EEEvT1_.num_agpr, 0
	.set _ZN7rocprim17ROCPRIM_400000_NS6detail17trampoline_kernelINS0_14default_configENS1_27scan_by_key_config_selectorIllEEZZNS1_16scan_by_key_implILNS1_25lookback_scan_determinismE0ELb0ES3_N6thrust23THRUST_200600_302600_NS16reverse_iteratorIPKlEESD_NSA_IPlEElN6hipcub16HIPCUB_304000_NS3MaxENSH_8EqualityElEE10hipError_tPvRmT2_T3_T4_T5_mT6_T7_P12ihipStream_tbENKUlT_T0_E_clISt17integral_constantIbLb1EES10_EEDaSV_SW_EUlSV_E_NS1_11comp_targetILNS1_3genE10ELNS1_11target_archE1201ELNS1_3gpuE5ELNS1_3repE0EEENS1_30default_config_static_selectorELNS0_4arch9wavefront6targetE0EEEvT1_.numbered_sgpr, 0
	.set _ZN7rocprim17ROCPRIM_400000_NS6detail17trampoline_kernelINS0_14default_configENS1_27scan_by_key_config_selectorIllEEZZNS1_16scan_by_key_implILNS1_25lookback_scan_determinismE0ELb0ES3_N6thrust23THRUST_200600_302600_NS16reverse_iteratorIPKlEESD_NSA_IPlEElN6hipcub16HIPCUB_304000_NS3MaxENSH_8EqualityElEE10hipError_tPvRmT2_T3_T4_T5_mT6_T7_P12ihipStream_tbENKUlT_T0_E_clISt17integral_constantIbLb1EES10_EEDaSV_SW_EUlSV_E_NS1_11comp_targetILNS1_3genE10ELNS1_11target_archE1201ELNS1_3gpuE5ELNS1_3repE0EEENS1_30default_config_static_selectorELNS0_4arch9wavefront6targetE0EEEvT1_.num_named_barrier, 0
	.set _ZN7rocprim17ROCPRIM_400000_NS6detail17trampoline_kernelINS0_14default_configENS1_27scan_by_key_config_selectorIllEEZZNS1_16scan_by_key_implILNS1_25lookback_scan_determinismE0ELb0ES3_N6thrust23THRUST_200600_302600_NS16reverse_iteratorIPKlEESD_NSA_IPlEElN6hipcub16HIPCUB_304000_NS3MaxENSH_8EqualityElEE10hipError_tPvRmT2_T3_T4_T5_mT6_T7_P12ihipStream_tbENKUlT_T0_E_clISt17integral_constantIbLb1EES10_EEDaSV_SW_EUlSV_E_NS1_11comp_targetILNS1_3genE10ELNS1_11target_archE1201ELNS1_3gpuE5ELNS1_3repE0EEENS1_30default_config_static_selectorELNS0_4arch9wavefront6targetE0EEEvT1_.private_seg_size, 0
	.set _ZN7rocprim17ROCPRIM_400000_NS6detail17trampoline_kernelINS0_14default_configENS1_27scan_by_key_config_selectorIllEEZZNS1_16scan_by_key_implILNS1_25lookback_scan_determinismE0ELb0ES3_N6thrust23THRUST_200600_302600_NS16reverse_iteratorIPKlEESD_NSA_IPlEElN6hipcub16HIPCUB_304000_NS3MaxENSH_8EqualityElEE10hipError_tPvRmT2_T3_T4_T5_mT6_T7_P12ihipStream_tbENKUlT_T0_E_clISt17integral_constantIbLb1EES10_EEDaSV_SW_EUlSV_E_NS1_11comp_targetILNS1_3genE10ELNS1_11target_archE1201ELNS1_3gpuE5ELNS1_3repE0EEENS1_30default_config_static_selectorELNS0_4arch9wavefront6targetE0EEEvT1_.uses_vcc, 0
	.set _ZN7rocprim17ROCPRIM_400000_NS6detail17trampoline_kernelINS0_14default_configENS1_27scan_by_key_config_selectorIllEEZZNS1_16scan_by_key_implILNS1_25lookback_scan_determinismE0ELb0ES3_N6thrust23THRUST_200600_302600_NS16reverse_iteratorIPKlEESD_NSA_IPlEElN6hipcub16HIPCUB_304000_NS3MaxENSH_8EqualityElEE10hipError_tPvRmT2_T3_T4_T5_mT6_T7_P12ihipStream_tbENKUlT_T0_E_clISt17integral_constantIbLb1EES10_EEDaSV_SW_EUlSV_E_NS1_11comp_targetILNS1_3genE10ELNS1_11target_archE1201ELNS1_3gpuE5ELNS1_3repE0EEENS1_30default_config_static_selectorELNS0_4arch9wavefront6targetE0EEEvT1_.uses_flat_scratch, 0
	.set _ZN7rocprim17ROCPRIM_400000_NS6detail17trampoline_kernelINS0_14default_configENS1_27scan_by_key_config_selectorIllEEZZNS1_16scan_by_key_implILNS1_25lookback_scan_determinismE0ELb0ES3_N6thrust23THRUST_200600_302600_NS16reverse_iteratorIPKlEESD_NSA_IPlEElN6hipcub16HIPCUB_304000_NS3MaxENSH_8EqualityElEE10hipError_tPvRmT2_T3_T4_T5_mT6_T7_P12ihipStream_tbENKUlT_T0_E_clISt17integral_constantIbLb1EES10_EEDaSV_SW_EUlSV_E_NS1_11comp_targetILNS1_3genE10ELNS1_11target_archE1201ELNS1_3gpuE5ELNS1_3repE0EEENS1_30default_config_static_selectorELNS0_4arch9wavefront6targetE0EEEvT1_.has_dyn_sized_stack, 0
	.set _ZN7rocprim17ROCPRIM_400000_NS6detail17trampoline_kernelINS0_14default_configENS1_27scan_by_key_config_selectorIllEEZZNS1_16scan_by_key_implILNS1_25lookback_scan_determinismE0ELb0ES3_N6thrust23THRUST_200600_302600_NS16reverse_iteratorIPKlEESD_NSA_IPlEElN6hipcub16HIPCUB_304000_NS3MaxENSH_8EqualityElEE10hipError_tPvRmT2_T3_T4_T5_mT6_T7_P12ihipStream_tbENKUlT_T0_E_clISt17integral_constantIbLb1EES10_EEDaSV_SW_EUlSV_E_NS1_11comp_targetILNS1_3genE10ELNS1_11target_archE1201ELNS1_3gpuE5ELNS1_3repE0EEENS1_30default_config_static_selectorELNS0_4arch9wavefront6targetE0EEEvT1_.has_recursion, 0
	.set _ZN7rocprim17ROCPRIM_400000_NS6detail17trampoline_kernelINS0_14default_configENS1_27scan_by_key_config_selectorIllEEZZNS1_16scan_by_key_implILNS1_25lookback_scan_determinismE0ELb0ES3_N6thrust23THRUST_200600_302600_NS16reverse_iteratorIPKlEESD_NSA_IPlEElN6hipcub16HIPCUB_304000_NS3MaxENSH_8EqualityElEE10hipError_tPvRmT2_T3_T4_T5_mT6_T7_P12ihipStream_tbENKUlT_T0_E_clISt17integral_constantIbLb1EES10_EEDaSV_SW_EUlSV_E_NS1_11comp_targetILNS1_3genE10ELNS1_11target_archE1201ELNS1_3gpuE5ELNS1_3repE0EEENS1_30default_config_static_selectorELNS0_4arch9wavefront6targetE0EEEvT1_.has_indirect_call, 0
	.section	.AMDGPU.csdata,"",@progbits
; Kernel info:
; codeLenInByte = 0
; TotalNumSgprs: 0
; NumVgprs: 0
; ScratchSize: 0
; MemoryBound: 0
; FloatMode: 240
; IeeeMode: 1
; LDSByteSize: 0 bytes/workgroup (compile time only)
; SGPRBlocks: 0
; VGPRBlocks: 0
; NumSGPRsForWavesPerEU: 1
; NumVGPRsForWavesPerEU: 1
; NamedBarCnt: 0
; Occupancy: 16
; WaveLimiterHint : 0
; COMPUTE_PGM_RSRC2:SCRATCH_EN: 0
; COMPUTE_PGM_RSRC2:USER_SGPR: 2
; COMPUTE_PGM_RSRC2:TRAP_HANDLER: 0
; COMPUTE_PGM_RSRC2:TGID_X_EN: 1
; COMPUTE_PGM_RSRC2:TGID_Y_EN: 0
; COMPUTE_PGM_RSRC2:TGID_Z_EN: 0
; COMPUTE_PGM_RSRC2:TIDIG_COMP_CNT: 0
	.section	.text._ZN7rocprim17ROCPRIM_400000_NS6detail17trampoline_kernelINS0_14default_configENS1_27scan_by_key_config_selectorIllEEZZNS1_16scan_by_key_implILNS1_25lookback_scan_determinismE0ELb0ES3_N6thrust23THRUST_200600_302600_NS16reverse_iteratorIPKlEESD_NSA_IPlEElN6hipcub16HIPCUB_304000_NS3MaxENSH_8EqualityElEE10hipError_tPvRmT2_T3_T4_T5_mT6_T7_P12ihipStream_tbENKUlT_T0_E_clISt17integral_constantIbLb1EES10_EEDaSV_SW_EUlSV_E_NS1_11comp_targetILNS1_3genE5ELNS1_11target_archE942ELNS1_3gpuE9ELNS1_3repE0EEENS1_30default_config_static_selectorELNS0_4arch9wavefront6targetE0EEEvT1_,"axG",@progbits,_ZN7rocprim17ROCPRIM_400000_NS6detail17trampoline_kernelINS0_14default_configENS1_27scan_by_key_config_selectorIllEEZZNS1_16scan_by_key_implILNS1_25lookback_scan_determinismE0ELb0ES3_N6thrust23THRUST_200600_302600_NS16reverse_iteratorIPKlEESD_NSA_IPlEElN6hipcub16HIPCUB_304000_NS3MaxENSH_8EqualityElEE10hipError_tPvRmT2_T3_T4_T5_mT6_T7_P12ihipStream_tbENKUlT_T0_E_clISt17integral_constantIbLb1EES10_EEDaSV_SW_EUlSV_E_NS1_11comp_targetILNS1_3genE5ELNS1_11target_archE942ELNS1_3gpuE9ELNS1_3repE0EEENS1_30default_config_static_selectorELNS0_4arch9wavefront6targetE0EEEvT1_,comdat
	.protected	_ZN7rocprim17ROCPRIM_400000_NS6detail17trampoline_kernelINS0_14default_configENS1_27scan_by_key_config_selectorIllEEZZNS1_16scan_by_key_implILNS1_25lookback_scan_determinismE0ELb0ES3_N6thrust23THRUST_200600_302600_NS16reverse_iteratorIPKlEESD_NSA_IPlEElN6hipcub16HIPCUB_304000_NS3MaxENSH_8EqualityElEE10hipError_tPvRmT2_T3_T4_T5_mT6_T7_P12ihipStream_tbENKUlT_T0_E_clISt17integral_constantIbLb1EES10_EEDaSV_SW_EUlSV_E_NS1_11comp_targetILNS1_3genE5ELNS1_11target_archE942ELNS1_3gpuE9ELNS1_3repE0EEENS1_30default_config_static_selectorELNS0_4arch9wavefront6targetE0EEEvT1_ ; -- Begin function _ZN7rocprim17ROCPRIM_400000_NS6detail17trampoline_kernelINS0_14default_configENS1_27scan_by_key_config_selectorIllEEZZNS1_16scan_by_key_implILNS1_25lookback_scan_determinismE0ELb0ES3_N6thrust23THRUST_200600_302600_NS16reverse_iteratorIPKlEESD_NSA_IPlEElN6hipcub16HIPCUB_304000_NS3MaxENSH_8EqualityElEE10hipError_tPvRmT2_T3_T4_T5_mT6_T7_P12ihipStream_tbENKUlT_T0_E_clISt17integral_constantIbLb1EES10_EEDaSV_SW_EUlSV_E_NS1_11comp_targetILNS1_3genE5ELNS1_11target_archE942ELNS1_3gpuE9ELNS1_3repE0EEENS1_30default_config_static_selectorELNS0_4arch9wavefront6targetE0EEEvT1_
	.globl	_ZN7rocprim17ROCPRIM_400000_NS6detail17trampoline_kernelINS0_14default_configENS1_27scan_by_key_config_selectorIllEEZZNS1_16scan_by_key_implILNS1_25lookback_scan_determinismE0ELb0ES3_N6thrust23THRUST_200600_302600_NS16reverse_iteratorIPKlEESD_NSA_IPlEElN6hipcub16HIPCUB_304000_NS3MaxENSH_8EqualityElEE10hipError_tPvRmT2_T3_T4_T5_mT6_T7_P12ihipStream_tbENKUlT_T0_E_clISt17integral_constantIbLb1EES10_EEDaSV_SW_EUlSV_E_NS1_11comp_targetILNS1_3genE5ELNS1_11target_archE942ELNS1_3gpuE9ELNS1_3repE0EEENS1_30default_config_static_selectorELNS0_4arch9wavefront6targetE0EEEvT1_
	.p2align	8
	.type	_ZN7rocprim17ROCPRIM_400000_NS6detail17trampoline_kernelINS0_14default_configENS1_27scan_by_key_config_selectorIllEEZZNS1_16scan_by_key_implILNS1_25lookback_scan_determinismE0ELb0ES3_N6thrust23THRUST_200600_302600_NS16reverse_iteratorIPKlEESD_NSA_IPlEElN6hipcub16HIPCUB_304000_NS3MaxENSH_8EqualityElEE10hipError_tPvRmT2_T3_T4_T5_mT6_T7_P12ihipStream_tbENKUlT_T0_E_clISt17integral_constantIbLb1EES10_EEDaSV_SW_EUlSV_E_NS1_11comp_targetILNS1_3genE5ELNS1_11target_archE942ELNS1_3gpuE9ELNS1_3repE0EEENS1_30default_config_static_selectorELNS0_4arch9wavefront6targetE0EEEvT1_,@function
_ZN7rocprim17ROCPRIM_400000_NS6detail17trampoline_kernelINS0_14default_configENS1_27scan_by_key_config_selectorIllEEZZNS1_16scan_by_key_implILNS1_25lookback_scan_determinismE0ELb0ES3_N6thrust23THRUST_200600_302600_NS16reverse_iteratorIPKlEESD_NSA_IPlEElN6hipcub16HIPCUB_304000_NS3MaxENSH_8EqualityElEE10hipError_tPvRmT2_T3_T4_T5_mT6_T7_P12ihipStream_tbENKUlT_T0_E_clISt17integral_constantIbLb1EES10_EEDaSV_SW_EUlSV_E_NS1_11comp_targetILNS1_3genE5ELNS1_11target_archE942ELNS1_3gpuE9ELNS1_3repE0EEENS1_30default_config_static_selectorELNS0_4arch9wavefront6targetE0EEEvT1_: ; @_ZN7rocprim17ROCPRIM_400000_NS6detail17trampoline_kernelINS0_14default_configENS1_27scan_by_key_config_selectorIllEEZZNS1_16scan_by_key_implILNS1_25lookback_scan_determinismE0ELb0ES3_N6thrust23THRUST_200600_302600_NS16reverse_iteratorIPKlEESD_NSA_IPlEElN6hipcub16HIPCUB_304000_NS3MaxENSH_8EqualityElEE10hipError_tPvRmT2_T3_T4_T5_mT6_T7_P12ihipStream_tbENKUlT_T0_E_clISt17integral_constantIbLb1EES10_EEDaSV_SW_EUlSV_E_NS1_11comp_targetILNS1_3genE5ELNS1_11target_archE942ELNS1_3gpuE9ELNS1_3repE0EEENS1_30default_config_static_selectorELNS0_4arch9wavefront6targetE0EEEvT1_
; %bb.0:
	.section	.rodata,"a",@progbits
	.p2align	6, 0x0
	.amdhsa_kernel _ZN7rocprim17ROCPRIM_400000_NS6detail17trampoline_kernelINS0_14default_configENS1_27scan_by_key_config_selectorIllEEZZNS1_16scan_by_key_implILNS1_25lookback_scan_determinismE0ELb0ES3_N6thrust23THRUST_200600_302600_NS16reverse_iteratorIPKlEESD_NSA_IPlEElN6hipcub16HIPCUB_304000_NS3MaxENSH_8EqualityElEE10hipError_tPvRmT2_T3_T4_T5_mT6_T7_P12ihipStream_tbENKUlT_T0_E_clISt17integral_constantIbLb1EES10_EEDaSV_SW_EUlSV_E_NS1_11comp_targetILNS1_3genE5ELNS1_11target_archE942ELNS1_3gpuE9ELNS1_3repE0EEENS1_30default_config_static_selectorELNS0_4arch9wavefront6targetE0EEEvT1_
		.amdhsa_group_segment_fixed_size 0
		.amdhsa_private_segment_fixed_size 0
		.amdhsa_kernarg_size 136
		.amdhsa_user_sgpr_count 2
		.amdhsa_user_sgpr_dispatch_ptr 0
		.amdhsa_user_sgpr_queue_ptr 0
		.amdhsa_user_sgpr_kernarg_segment_ptr 1
		.amdhsa_user_sgpr_dispatch_id 0
		.amdhsa_user_sgpr_kernarg_preload_length 0
		.amdhsa_user_sgpr_kernarg_preload_offset 0
		.amdhsa_user_sgpr_private_segment_size 0
		.amdhsa_wavefront_size32 1
		.amdhsa_uses_dynamic_stack 0
		.amdhsa_enable_private_segment 0
		.amdhsa_system_sgpr_workgroup_id_x 1
		.amdhsa_system_sgpr_workgroup_id_y 0
		.amdhsa_system_sgpr_workgroup_id_z 0
		.amdhsa_system_sgpr_workgroup_info 0
		.amdhsa_system_vgpr_workitem_id 0
		.amdhsa_next_free_vgpr 1
		.amdhsa_next_free_sgpr 1
		.amdhsa_named_barrier_count 0
		.amdhsa_reserve_vcc 0
		.amdhsa_float_round_mode_32 0
		.amdhsa_float_round_mode_16_64 0
		.amdhsa_float_denorm_mode_32 3
		.amdhsa_float_denorm_mode_16_64 3
		.amdhsa_fp16_overflow 0
		.amdhsa_memory_ordered 1
		.amdhsa_forward_progress 1
		.amdhsa_inst_pref_size 0
		.amdhsa_round_robin_scheduling 0
		.amdhsa_exception_fp_ieee_invalid_op 0
		.amdhsa_exception_fp_denorm_src 0
		.amdhsa_exception_fp_ieee_div_zero 0
		.amdhsa_exception_fp_ieee_overflow 0
		.amdhsa_exception_fp_ieee_underflow 0
		.amdhsa_exception_fp_ieee_inexact 0
		.amdhsa_exception_int_div_zero 0
	.end_amdhsa_kernel
	.section	.text._ZN7rocprim17ROCPRIM_400000_NS6detail17trampoline_kernelINS0_14default_configENS1_27scan_by_key_config_selectorIllEEZZNS1_16scan_by_key_implILNS1_25lookback_scan_determinismE0ELb0ES3_N6thrust23THRUST_200600_302600_NS16reverse_iteratorIPKlEESD_NSA_IPlEElN6hipcub16HIPCUB_304000_NS3MaxENSH_8EqualityElEE10hipError_tPvRmT2_T3_T4_T5_mT6_T7_P12ihipStream_tbENKUlT_T0_E_clISt17integral_constantIbLb1EES10_EEDaSV_SW_EUlSV_E_NS1_11comp_targetILNS1_3genE5ELNS1_11target_archE942ELNS1_3gpuE9ELNS1_3repE0EEENS1_30default_config_static_selectorELNS0_4arch9wavefront6targetE0EEEvT1_,"axG",@progbits,_ZN7rocprim17ROCPRIM_400000_NS6detail17trampoline_kernelINS0_14default_configENS1_27scan_by_key_config_selectorIllEEZZNS1_16scan_by_key_implILNS1_25lookback_scan_determinismE0ELb0ES3_N6thrust23THRUST_200600_302600_NS16reverse_iteratorIPKlEESD_NSA_IPlEElN6hipcub16HIPCUB_304000_NS3MaxENSH_8EqualityElEE10hipError_tPvRmT2_T3_T4_T5_mT6_T7_P12ihipStream_tbENKUlT_T0_E_clISt17integral_constantIbLb1EES10_EEDaSV_SW_EUlSV_E_NS1_11comp_targetILNS1_3genE5ELNS1_11target_archE942ELNS1_3gpuE9ELNS1_3repE0EEENS1_30default_config_static_selectorELNS0_4arch9wavefront6targetE0EEEvT1_,comdat
.Lfunc_end149:
	.size	_ZN7rocprim17ROCPRIM_400000_NS6detail17trampoline_kernelINS0_14default_configENS1_27scan_by_key_config_selectorIllEEZZNS1_16scan_by_key_implILNS1_25lookback_scan_determinismE0ELb0ES3_N6thrust23THRUST_200600_302600_NS16reverse_iteratorIPKlEESD_NSA_IPlEElN6hipcub16HIPCUB_304000_NS3MaxENSH_8EqualityElEE10hipError_tPvRmT2_T3_T4_T5_mT6_T7_P12ihipStream_tbENKUlT_T0_E_clISt17integral_constantIbLb1EES10_EEDaSV_SW_EUlSV_E_NS1_11comp_targetILNS1_3genE5ELNS1_11target_archE942ELNS1_3gpuE9ELNS1_3repE0EEENS1_30default_config_static_selectorELNS0_4arch9wavefront6targetE0EEEvT1_, .Lfunc_end149-_ZN7rocprim17ROCPRIM_400000_NS6detail17trampoline_kernelINS0_14default_configENS1_27scan_by_key_config_selectorIllEEZZNS1_16scan_by_key_implILNS1_25lookback_scan_determinismE0ELb0ES3_N6thrust23THRUST_200600_302600_NS16reverse_iteratorIPKlEESD_NSA_IPlEElN6hipcub16HIPCUB_304000_NS3MaxENSH_8EqualityElEE10hipError_tPvRmT2_T3_T4_T5_mT6_T7_P12ihipStream_tbENKUlT_T0_E_clISt17integral_constantIbLb1EES10_EEDaSV_SW_EUlSV_E_NS1_11comp_targetILNS1_3genE5ELNS1_11target_archE942ELNS1_3gpuE9ELNS1_3repE0EEENS1_30default_config_static_selectorELNS0_4arch9wavefront6targetE0EEEvT1_
                                        ; -- End function
	.set _ZN7rocprim17ROCPRIM_400000_NS6detail17trampoline_kernelINS0_14default_configENS1_27scan_by_key_config_selectorIllEEZZNS1_16scan_by_key_implILNS1_25lookback_scan_determinismE0ELb0ES3_N6thrust23THRUST_200600_302600_NS16reverse_iteratorIPKlEESD_NSA_IPlEElN6hipcub16HIPCUB_304000_NS3MaxENSH_8EqualityElEE10hipError_tPvRmT2_T3_T4_T5_mT6_T7_P12ihipStream_tbENKUlT_T0_E_clISt17integral_constantIbLb1EES10_EEDaSV_SW_EUlSV_E_NS1_11comp_targetILNS1_3genE5ELNS1_11target_archE942ELNS1_3gpuE9ELNS1_3repE0EEENS1_30default_config_static_selectorELNS0_4arch9wavefront6targetE0EEEvT1_.num_vgpr, 0
	.set _ZN7rocprim17ROCPRIM_400000_NS6detail17trampoline_kernelINS0_14default_configENS1_27scan_by_key_config_selectorIllEEZZNS1_16scan_by_key_implILNS1_25lookback_scan_determinismE0ELb0ES3_N6thrust23THRUST_200600_302600_NS16reverse_iteratorIPKlEESD_NSA_IPlEElN6hipcub16HIPCUB_304000_NS3MaxENSH_8EqualityElEE10hipError_tPvRmT2_T3_T4_T5_mT6_T7_P12ihipStream_tbENKUlT_T0_E_clISt17integral_constantIbLb1EES10_EEDaSV_SW_EUlSV_E_NS1_11comp_targetILNS1_3genE5ELNS1_11target_archE942ELNS1_3gpuE9ELNS1_3repE0EEENS1_30default_config_static_selectorELNS0_4arch9wavefront6targetE0EEEvT1_.num_agpr, 0
	.set _ZN7rocprim17ROCPRIM_400000_NS6detail17trampoline_kernelINS0_14default_configENS1_27scan_by_key_config_selectorIllEEZZNS1_16scan_by_key_implILNS1_25lookback_scan_determinismE0ELb0ES3_N6thrust23THRUST_200600_302600_NS16reverse_iteratorIPKlEESD_NSA_IPlEElN6hipcub16HIPCUB_304000_NS3MaxENSH_8EqualityElEE10hipError_tPvRmT2_T3_T4_T5_mT6_T7_P12ihipStream_tbENKUlT_T0_E_clISt17integral_constantIbLb1EES10_EEDaSV_SW_EUlSV_E_NS1_11comp_targetILNS1_3genE5ELNS1_11target_archE942ELNS1_3gpuE9ELNS1_3repE0EEENS1_30default_config_static_selectorELNS0_4arch9wavefront6targetE0EEEvT1_.numbered_sgpr, 0
	.set _ZN7rocprim17ROCPRIM_400000_NS6detail17trampoline_kernelINS0_14default_configENS1_27scan_by_key_config_selectorIllEEZZNS1_16scan_by_key_implILNS1_25lookback_scan_determinismE0ELb0ES3_N6thrust23THRUST_200600_302600_NS16reverse_iteratorIPKlEESD_NSA_IPlEElN6hipcub16HIPCUB_304000_NS3MaxENSH_8EqualityElEE10hipError_tPvRmT2_T3_T4_T5_mT6_T7_P12ihipStream_tbENKUlT_T0_E_clISt17integral_constantIbLb1EES10_EEDaSV_SW_EUlSV_E_NS1_11comp_targetILNS1_3genE5ELNS1_11target_archE942ELNS1_3gpuE9ELNS1_3repE0EEENS1_30default_config_static_selectorELNS0_4arch9wavefront6targetE0EEEvT1_.num_named_barrier, 0
	.set _ZN7rocprim17ROCPRIM_400000_NS6detail17trampoline_kernelINS0_14default_configENS1_27scan_by_key_config_selectorIllEEZZNS1_16scan_by_key_implILNS1_25lookback_scan_determinismE0ELb0ES3_N6thrust23THRUST_200600_302600_NS16reverse_iteratorIPKlEESD_NSA_IPlEElN6hipcub16HIPCUB_304000_NS3MaxENSH_8EqualityElEE10hipError_tPvRmT2_T3_T4_T5_mT6_T7_P12ihipStream_tbENKUlT_T0_E_clISt17integral_constantIbLb1EES10_EEDaSV_SW_EUlSV_E_NS1_11comp_targetILNS1_3genE5ELNS1_11target_archE942ELNS1_3gpuE9ELNS1_3repE0EEENS1_30default_config_static_selectorELNS0_4arch9wavefront6targetE0EEEvT1_.private_seg_size, 0
	.set _ZN7rocprim17ROCPRIM_400000_NS6detail17trampoline_kernelINS0_14default_configENS1_27scan_by_key_config_selectorIllEEZZNS1_16scan_by_key_implILNS1_25lookback_scan_determinismE0ELb0ES3_N6thrust23THRUST_200600_302600_NS16reverse_iteratorIPKlEESD_NSA_IPlEElN6hipcub16HIPCUB_304000_NS3MaxENSH_8EqualityElEE10hipError_tPvRmT2_T3_T4_T5_mT6_T7_P12ihipStream_tbENKUlT_T0_E_clISt17integral_constantIbLb1EES10_EEDaSV_SW_EUlSV_E_NS1_11comp_targetILNS1_3genE5ELNS1_11target_archE942ELNS1_3gpuE9ELNS1_3repE0EEENS1_30default_config_static_selectorELNS0_4arch9wavefront6targetE0EEEvT1_.uses_vcc, 0
	.set _ZN7rocprim17ROCPRIM_400000_NS6detail17trampoline_kernelINS0_14default_configENS1_27scan_by_key_config_selectorIllEEZZNS1_16scan_by_key_implILNS1_25lookback_scan_determinismE0ELb0ES3_N6thrust23THRUST_200600_302600_NS16reverse_iteratorIPKlEESD_NSA_IPlEElN6hipcub16HIPCUB_304000_NS3MaxENSH_8EqualityElEE10hipError_tPvRmT2_T3_T4_T5_mT6_T7_P12ihipStream_tbENKUlT_T0_E_clISt17integral_constantIbLb1EES10_EEDaSV_SW_EUlSV_E_NS1_11comp_targetILNS1_3genE5ELNS1_11target_archE942ELNS1_3gpuE9ELNS1_3repE0EEENS1_30default_config_static_selectorELNS0_4arch9wavefront6targetE0EEEvT1_.uses_flat_scratch, 0
	.set _ZN7rocprim17ROCPRIM_400000_NS6detail17trampoline_kernelINS0_14default_configENS1_27scan_by_key_config_selectorIllEEZZNS1_16scan_by_key_implILNS1_25lookback_scan_determinismE0ELb0ES3_N6thrust23THRUST_200600_302600_NS16reverse_iteratorIPKlEESD_NSA_IPlEElN6hipcub16HIPCUB_304000_NS3MaxENSH_8EqualityElEE10hipError_tPvRmT2_T3_T4_T5_mT6_T7_P12ihipStream_tbENKUlT_T0_E_clISt17integral_constantIbLb1EES10_EEDaSV_SW_EUlSV_E_NS1_11comp_targetILNS1_3genE5ELNS1_11target_archE942ELNS1_3gpuE9ELNS1_3repE0EEENS1_30default_config_static_selectorELNS0_4arch9wavefront6targetE0EEEvT1_.has_dyn_sized_stack, 0
	.set _ZN7rocprim17ROCPRIM_400000_NS6detail17trampoline_kernelINS0_14default_configENS1_27scan_by_key_config_selectorIllEEZZNS1_16scan_by_key_implILNS1_25lookback_scan_determinismE0ELb0ES3_N6thrust23THRUST_200600_302600_NS16reverse_iteratorIPKlEESD_NSA_IPlEElN6hipcub16HIPCUB_304000_NS3MaxENSH_8EqualityElEE10hipError_tPvRmT2_T3_T4_T5_mT6_T7_P12ihipStream_tbENKUlT_T0_E_clISt17integral_constantIbLb1EES10_EEDaSV_SW_EUlSV_E_NS1_11comp_targetILNS1_3genE5ELNS1_11target_archE942ELNS1_3gpuE9ELNS1_3repE0EEENS1_30default_config_static_selectorELNS0_4arch9wavefront6targetE0EEEvT1_.has_recursion, 0
	.set _ZN7rocprim17ROCPRIM_400000_NS6detail17trampoline_kernelINS0_14default_configENS1_27scan_by_key_config_selectorIllEEZZNS1_16scan_by_key_implILNS1_25lookback_scan_determinismE0ELb0ES3_N6thrust23THRUST_200600_302600_NS16reverse_iteratorIPKlEESD_NSA_IPlEElN6hipcub16HIPCUB_304000_NS3MaxENSH_8EqualityElEE10hipError_tPvRmT2_T3_T4_T5_mT6_T7_P12ihipStream_tbENKUlT_T0_E_clISt17integral_constantIbLb1EES10_EEDaSV_SW_EUlSV_E_NS1_11comp_targetILNS1_3genE5ELNS1_11target_archE942ELNS1_3gpuE9ELNS1_3repE0EEENS1_30default_config_static_selectorELNS0_4arch9wavefront6targetE0EEEvT1_.has_indirect_call, 0
	.section	.AMDGPU.csdata,"",@progbits
; Kernel info:
; codeLenInByte = 0
; TotalNumSgprs: 0
; NumVgprs: 0
; ScratchSize: 0
; MemoryBound: 0
; FloatMode: 240
; IeeeMode: 1
; LDSByteSize: 0 bytes/workgroup (compile time only)
; SGPRBlocks: 0
; VGPRBlocks: 0
; NumSGPRsForWavesPerEU: 1
; NumVGPRsForWavesPerEU: 1
; NamedBarCnt: 0
; Occupancy: 16
; WaveLimiterHint : 0
; COMPUTE_PGM_RSRC2:SCRATCH_EN: 0
; COMPUTE_PGM_RSRC2:USER_SGPR: 2
; COMPUTE_PGM_RSRC2:TRAP_HANDLER: 0
; COMPUTE_PGM_RSRC2:TGID_X_EN: 1
; COMPUTE_PGM_RSRC2:TGID_Y_EN: 0
; COMPUTE_PGM_RSRC2:TGID_Z_EN: 0
; COMPUTE_PGM_RSRC2:TIDIG_COMP_CNT: 0
	.section	.text._ZN7rocprim17ROCPRIM_400000_NS6detail17trampoline_kernelINS0_14default_configENS1_27scan_by_key_config_selectorIllEEZZNS1_16scan_by_key_implILNS1_25lookback_scan_determinismE0ELb0ES3_N6thrust23THRUST_200600_302600_NS16reverse_iteratorIPKlEESD_NSA_IPlEElN6hipcub16HIPCUB_304000_NS3MaxENSH_8EqualityElEE10hipError_tPvRmT2_T3_T4_T5_mT6_T7_P12ihipStream_tbENKUlT_T0_E_clISt17integral_constantIbLb1EES10_EEDaSV_SW_EUlSV_E_NS1_11comp_targetILNS1_3genE4ELNS1_11target_archE910ELNS1_3gpuE8ELNS1_3repE0EEENS1_30default_config_static_selectorELNS0_4arch9wavefront6targetE0EEEvT1_,"axG",@progbits,_ZN7rocprim17ROCPRIM_400000_NS6detail17trampoline_kernelINS0_14default_configENS1_27scan_by_key_config_selectorIllEEZZNS1_16scan_by_key_implILNS1_25lookback_scan_determinismE0ELb0ES3_N6thrust23THRUST_200600_302600_NS16reverse_iteratorIPKlEESD_NSA_IPlEElN6hipcub16HIPCUB_304000_NS3MaxENSH_8EqualityElEE10hipError_tPvRmT2_T3_T4_T5_mT6_T7_P12ihipStream_tbENKUlT_T0_E_clISt17integral_constantIbLb1EES10_EEDaSV_SW_EUlSV_E_NS1_11comp_targetILNS1_3genE4ELNS1_11target_archE910ELNS1_3gpuE8ELNS1_3repE0EEENS1_30default_config_static_selectorELNS0_4arch9wavefront6targetE0EEEvT1_,comdat
	.protected	_ZN7rocprim17ROCPRIM_400000_NS6detail17trampoline_kernelINS0_14default_configENS1_27scan_by_key_config_selectorIllEEZZNS1_16scan_by_key_implILNS1_25lookback_scan_determinismE0ELb0ES3_N6thrust23THRUST_200600_302600_NS16reverse_iteratorIPKlEESD_NSA_IPlEElN6hipcub16HIPCUB_304000_NS3MaxENSH_8EqualityElEE10hipError_tPvRmT2_T3_T4_T5_mT6_T7_P12ihipStream_tbENKUlT_T0_E_clISt17integral_constantIbLb1EES10_EEDaSV_SW_EUlSV_E_NS1_11comp_targetILNS1_3genE4ELNS1_11target_archE910ELNS1_3gpuE8ELNS1_3repE0EEENS1_30default_config_static_selectorELNS0_4arch9wavefront6targetE0EEEvT1_ ; -- Begin function _ZN7rocprim17ROCPRIM_400000_NS6detail17trampoline_kernelINS0_14default_configENS1_27scan_by_key_config_selectorIllEEZZNS1_16scan_by_key_implILNS1_25lookback_scan_determinismE0ELb0ES3_N6thrust23THRUST_200600_302600_NS16reverse_iteratorIPKlEESD_NSA_IPlEElN6hipcub16HIPCUB_304000_NS3MaxENSH_8EqualityElEE10hipError_tPvRmT2_T3_T4_T5_mT6_T7_P12ihipStream_tbENKUlT_T0_E_clISt17integral_constantIbLb1EES10_EEDaSV_SW_EUlSV_E_NS1_11comp_targetILNS1_3genE4ELNS1_11target_archE910ELNS1_3gpuE8ELNS1_3repE0EEENS1_30default_config_static_selectorELNS0_4arch9wavefront6targetE0EEEvT1_
	.globl	_ZN7rocprim17ROCPRIM_400000_NS6detail17trampoline_kernelINS0_14default_configENS1_27scan_by_key_config_selectorIllEEZZNS1_16scan_by_key_implILNS1_25lookback_scan_determinismE0ELb0ES3_N6thrust23THRUST_200600_302600_NS16reverse_iteratorIPKlEESD_NSA_IPlEElN6hipcub16HIPCUB_304000_NS3MaxENSH_8EqualityElEE10hipError_tPvRmT2_T3_T4_T5_mT6_T7_P12ihipStream_tbENKUlT_T0_E_clISt17integral_constantIbLb1EES10_EEDaSV_SW_EUlSV_E_NS1_11comp_targetILNS1_3genE4ELNS1_11target_archE910ELNS1_3gpuE8ELNS1_3repE0EEENS1_30default_config_static_selectorELNS0_4arch9wavefront6targetE0EEEvT1_
	.p2align	8
	.type	_ZN7rocprim17ROCPRIM_400000_NS6detail17trampoline_kernelINS0_14default_configENS1_27scan_by_key_config_selectorIllEEZZNS1_16scan_by_key_implILNS1_25lookback_scan_determinismE0ELb0ES3_N6thrust23THRUST_200600_302600_NS16reverse_iteratorIPKlEESD_NSA_IPlEElN6hipcub16HIPCUB_304000_NS3MaxENSH_8EqualityElEE10hipError_tPvRmT2_T3_T4_T5_mT6_T7_P12ihipStream_tbENKUlT_T0_E_clISt17integral_constantIbLb1EES10_EEDaSV_SW_EUlSV_E_NS1_11comp_targetILNS1_3genE4ELNS1_11target_archE910ELNS1_3gpuE8ELNS1_3repE0EEENS1_30default_config_static_selectorELNS0_4arch9wavefront6targetE0EEEvT1_,@function
_ZN7rocprim17ROCPRIM_400000_NS6detail17trampoline_kernelINS0_14default_configENS1_27scan_by_key_config_selectorIllEEZZNS1_16scan_by_key_implILNS1_25lookback_scan_determinismE0ELb0ES3_N6thrust23THRUST_200600_302600_NS16reverse_iteratorIPKlEESD_NSA_IPlEElN6hipcub16HIPCUB_304000_NS3MaxENSH_8EqualityElEE10hipError_tPvRmT2_T3_T4_T5_mT6_T7_P12ihipStream_tbENKUlT_T0_E_clISt17integral_constantIbLb1EES10_EEDaSV_SW_EUlSV_E_NS1_11comp_targetILNS1_3genE4ELNS1_11target_archE910ELNS1_3gpuE8ELNS1_3repE0EEENS1_30default_config_static_selectorELNS0_4arch9wavefront6targetE0EEEvT1_: ; @_ZN7rocprim17ROCPRIM_400000_NS6detail17trampoline_kernelINS0_14default_configENS1_27scan_by_key_config_selectorIllEEZZNS1_16scan_by_key_implILNS1_25lookback_scan_determinismE0ELb0ES3_N6thrust23THRUST_200600_302600_NS16reverse_iteratorIPKlEESD_NSA_IPlEElN6hipcub16HIPCUB_304000_NS3MaxENSH_8EqualityElEE10hipError_tPvRmT2_T3_T4_T5_mT6_T7_P12ihipStream_tbENKUlT_T0_E_clISt17integral_constantIbLb1EES10_EEDaSV_SW_EUlSV_E_NS1_11comp_targetILNS1_3genE4ELNS1_11target_archE910ELNS1_3gpuE8ELNS1_3repE0EEENS1_30default_config_static_selectorELNS0_4arch9wavefront6targetE0EEEvT1_
; %bb.0:
	.section	.rodata,"a",@progbits
	.p2align	6, 0x0
	.amdhsa_kernel _ZN7rocprim17ROCPRIM_400000_NS6detail17trampoline_kernelINS0_14default_configENS1_27scan_by_key_config_selectorIllEEZZNS1_16scan_by_key_implILNS1_25lookback_scan_determinismE0ELb0ES3_N6thrust23THRUST_200600_302600_NS16reverse_iteratorIPKlEESD_NSA_IPlEElN6hipcub16HIPCUB_304000_NS3MaxENSH_8EqualityElEE10hipError_tPvRmT2_T3_T4_T5_mT6_T7_P12ihipStream_tbENKUlT_T0_E_clISt17integral_constantIbLb1EES10_EEDaSV_SW_EUlSV_E_NS1_11comp_targetILNS1_3genE4ELNS1_11target_archE910ELNS1_3gpuE8ELNS1_3repE0EEENS1_30default_config_static_selectorELNS0_4arch9wavefront6targetE0EEEvT1_
		.amdhsa_group_segment_fixed_size 0
		.amdhsa_private_segment_fixed_size 0
		.amdhsa_kernarg_size 136
		.amdhsa_user_sgpr_count 2
		.amdhsa_user_sgpr_dispatch_ptr 0
		.amdhsa_user_sgpr_queue_ptr 0
		.amdhsa_user_sgpr_kernarg_segment_ptr 1
		.amdhsa_user_sgpr_dispatch_id 0
		.amdhsa_user_sgpr_kernarg_preload_length 0
		.amdhsa_user_sgpr_kernarg_preload_offset 0
		.amdhsa_user_sgpr_private_segment_size 0
		.amdhsa_wavefront_size32 1
		.amdhsa_uses_dynamic_stack 0
		.amdhsa_enable_private_segment 0
		.amdhsa_system_sgpr_workgroup_id_x 1
		.amdhsa_system_sgpr_workgroup_id_y 0
		.amdhsa_system_sgpr_workgroup_id_z 0
		.amdhsa_system_sgpr_workgroup_info 0
		.amdhsa_system_vgpr_workitem_id 0
		.amdhsa_next_free_vgpr 1
		.amdhsa_next_free_sgpr 1
		.amdhsa_named_barrier_count 0
		.amdhsa_reserve_vcc 0
		.amdhsa_float_round_mode_32 0
		.amdhsa_float_round_mode_16_64 0
		.amdhsa_float_denorm_mode_32 3
		.amdhsa_float_denorm_mode_16_64 3
		.amdhsa_fp16_overflow 0
		.amdhsa_memory_ordered 1
		.amdhsa_forward_progress 1
		.amdhsa_inst_pref_size 0
		.amdhsa_round_robin_scheduling 0
		.amdhsa_exception_fp_ieee_invalid_op 0
		.amdhsa_exception_fp_denorm_src 0
		.amdhsa_exception_fp_ieee_div_zero 0
		.amdhsa_exception_fp_ieee_overflow 0
		.amdhsa_exception_fp_ieee_underflow 0
		.amdhsa_exception_fp_ieee_inexact 0
		.amdhsa_exception_int_div_zero 0
	.end_amdhsa_kernel
	.section	.text._ZN7rocprim17ROCPRIM_400000_NS6detail17trampoline_kernelINS0_14default_configENS1_27scan_by_key_config_selectorIllEEZZNS1_16scan_by_key_implILNS1_25lookback_scan_determinismE0ELb0ES3_N6thrust23THRUST_200600_302600_NS16reverse_iteratorIPKlEESD_NSA_IPlEElN6hipcub16HIPCUB_304000_NS3MaxENSH_8EqualityElEE10hipError_tPvRmT2_T3_T4_T5_mT6_T7_P12ihipStream_tbENKUlT_T0_E_clISt17integral_constantIbLb1EES10_EEDaSV_SW_EUlSV_E_NS1_11comp_targetILNS1_3genE4ELNS1_11target_archE910ELNS1_3gpuE8ELNS1_3repE0EEENS1_30default_config_static_selectorELNS0_4arch9wavefront6targetE0EEEvT1_,"axG",@progbits,_ZN7rocprim17ROCPRIM_400000_NS6detail17trampoline_kernelINS0_14default_configENS1_27scan_by_key_config_selectorIllEEZZNS1_16scan_by_key_implILNS1_25lookback_scan_determinismE0ELb0ES3_N6thrust23THRUST_200600_302600_NS16reverse_iteratorIPKlEESD_NSA_IPlEElN6hipcub16HIPCUB_304000_NS3MaxENSH_8EqualityElEE10hipError_tPvRmT2_T3_T4_T5_mT6_T7_P12ihipStream_tbENKUlT_T0_E_clISt17integral_constantIbLb1EES10_EEDaSV_SW_EUlSV_E_NS1_11comp_targetILNS1_3genE4ELNS1_11target_archE910ELNS1_3gpuE8ELNS1_3repE0EEENS1_30default_config_static_selectorELNS0_4arch9wavefront6targetE0EEEvT1_,comdat
.Lfunc_end150:
	.size	_ZN7rocprim17ROCPRIM_400000_NS6detail17trampoline_kernelINS0_14default_configENS1_27scan_by_key_config_selectorIllEEZZNS1_16scan_by_key_implILNS1_25lookback_scan_determinismE0ELb0ES3_N6thrust23THRUST_200600_302600_NS16reverse_iteratorIPKlEESD_NSA_IPlEElN6hipcub16HIPCUB_304000_NS3MaxENSH_8EqualityElEE10hipError_tPvRmT2_T3_T4_T5_mT6_T7_P12ihipStream_tbENKUlT_T0_E_clISt17integral_constantIbLb1EES10_EEDaSV_SW_EUlSV_E_NS1_11comp_targetILNS1_3genE4ELNS1_11target_archE910ELNS1_3gpuE8ELNS1_3repE0EEENS1_30default_config_static_selectorELNS0_4arch9wavefront6targetE0EEEvT1_, .Lfunc_end150-_ZN7rocprim17ROCPRIM_400000_NS6detail17trampoline_kernelINS0_14default_configENS1_27scan_by_key_config_selectorIllEEZZNS1_16scan_by_key_implILNS1_25lookback_scan_determinismE0ELb0ES3_N6thrust23THRUST_200600_302600_NS16reverse_iteratorIPKlEESD_NSA_IPlEElN6hipcub16HIPCUB_304000_NS3MaxENSH_8EqualityElEE10hipError_tPvRmT2_T3_T4_T5_mT6_T7_P12ihipStream_tbENKUlT_T0_E_clISt17integral_constantIbLb1EES10_EEDaSV_SW_EUlSV_E_NS1_11comp_targetILNS1_3genE4ELNS1_11target_archE910ELNS1_3gpuE8ELNS1_3repE0EEENS1_30default_config_static_selectorELNS0_4arch9wavefront6targetE0EEEvT1_
                                        ; -- End function
	.set _ZN7rocprim17ROCPRIM_400000_NS6detail17trampoline_kernelINS0_14default_configENS1_27scan_by_key_config_selectorIllEEZZNS1_16scan_by_key_implILNS1_25lookback_scan_determinismE0ELb0ES3_N6thrust23THRUST_200600_302600_NS16reverse_iteratorIPKlEESD_NSA_IPlEElN6hipcub16HIPCUB_304000_NS3MaxENSH_8EqualityElEE10hipError_tPvRmT2_T3_T4_T5_mT6_T7_P12ihipStream_tbENKUlT_T0_E_clISt17integral_constantIbLb1EES10_EEDaSV_SW_EUlSV_E_NS1_11comp_targetILNS1_3genE4ELNS1_11target_archE910ELNS1_3gpuE8ELNS1_3repE0EEENS1_30default_config_static_selectorELNS0_4arch9wavefront6targetE0EEEvT1_.num_vgpr, 0
	.set _ZN7rocprim17ROCPRIM_400000_NS6detail17trampoline_kernelINS0_14default_configENS1_27scan_by_key_config_selectorIllEEZZNS1_16scan_by_key_implILNS1_25lookback_scan_determinismE0ELb0ES3_N6thrust23THRUST_200600_302600_NS16reverse_iteratorIPKlEESD_NSA_IPlEElN6hipcub16HIPCUB_304000_NS3MaxENSH_8EqualityElEE10hipError_tPvRmT2_T3_T4_T5_mT6_T7_P12ihipStream_tbENKUlT_T0_E_clISt17integral_constantIbLb1EES10_EEDaSV_SW_EUlSV_E_NS1_11comp_targetILNS1_3genE4ELNS1_11target_archE910ELNS1_3gpuE8ELNS1_3repE0EEENS1_30default_config_static_selectorELNS0_4arch9wavefront6targetE0EEEvT1_.num_agpr, 0
	.set _ZN7rocprim17ROCPRIM_400000_NS6detail17trampoline_kernelINS0_14default_configENS1_27scan_by_key_config_selectorIllEEZZNS1_16scan_by_key_implILNS1_25lookback_scan_determinismE0ELb0ES3_N6thrust23THRUST_200600_302600_NS16reverse_iteratorIPKlEESD_NSA_IPlEElN6hipcub16HIPCUB_304000_NS3MaxENSH_8EqualityElEE10hipError_tPvRmT2_T3_T4_T5_mT6_T7_P12ihipStream_tbENKUlT_T0_E_clISt17integral_constantIbLb1EES10_EEDaSV_SW_EUlSV_E_NS1_11comp_targetILNS1_3genE4ELNS1_11target_archE910ELNS1_3gpuE8ELNS1_3repE0EEENS1_30default_config_static_selectorELNS0_4arch9wavefront6targetE0EEEvT1_.numbered_sgpr, 0
	.set _ZN7rocprim17ROCPRIM_400000_NS6detail17trampoline_kernelINS0_14default_configENS1_27scan_by_key_config_selectorIllEEZZNS1_16scan_by_key_implILNS1_25lookback_scan_determinismE0ELb0ES3_N6thrust23THRUST_200600_302600_NS16reverse_iteratorIPKlEESD_NSA_IPlEElN6hipcub16HIPCUB_304000_NS3MaxENSH_8EqualityElEE10hipError_tPvRmT2_T3_T4_T5_mT6_T7_P12ihipStream_tbENKUlT_T0_E_clISt17integral_constantIbLb1EES10_EEDaSV_SW_EUlSV_E_NS1_11comp_targetILNS1_3genE4ELNS1_11target_archE910ELNS1_3gpuE8ELNS1_3repE0EEENS1_30default_config_static_selectorELNS0_4arch9wavefront6targetE0EEEvT1_.num_named_barrier, 0
	.set _ZN7rocprim17ROCPRIM_400000_NS6detail17trampoline_kernelINS0_14default_configENS1_27scan_by_key_config_selectorIllEEZZNS1_16scan_by_key_implILNS1_25lookback_scan_determinismE0ELb0ES3_N6thrust23THRUST_200600_302600_NS16reverse_iteratorIPKlEESD_NSA_IPlEElN6hipcub16HIPCUB_304000_NS3MaxENSH_8EqualityElEE10hipError_tPvRmT2_T3_T4_T5_mT6_T7_P12ihipStream_tbENKUlT_T0_E_clISt17integral_constantIbLb1EES10_EEDaSV_SW_EUlSV_E_NS1_11comp_targetILNS1_3genE4ELNS1_11target_archE910ELNS1_3gpuE8ELNS1_3repE0EEENS1_30default_config_static_selectorELNS0_4arch9wavefront6targetE0EEEvT1_.private_seg_size, 0
	.set _ZN7rocprim17ROCPRIM_400000_NS6detail17trampoline_kernelINS0_14default_configENS1_27scan_by_key_config_selectorIllEEZZNS1_16scan_by_key_implILNS1_25lookback_scan_determinismE0ELb0ES3_N6thrust23THRUST_200600_302600_NS16reverse_iteratorIPKlEESD_NSA_IPlEElN6hipcub16HIPCUB_304000_NS3MaxENSH_8EqualityElEE10hipError_tPvRmT2_T3_T4_T5_mT6_T7_P12ihipStream_tbENKUlT_T0_E_clISt17integral_constantIbLb1EES10_EEDaSV_SW_EUlSV_E_NS1_11comp_targetILNS1_3genE4ELNS1_11target_archE910ELNS1_3gpuE8ELNS1_3repE0EEENS1_30default_config_static_selectorELNS0_4arch9wavefront6targetE0EEEvT1_.uses_vcc, 0
	.set _ZN7rocprim17ROCPRIM_400000_NS6detail17trampoline_kernelINS0_14default_configENS1_27scan_by_key_config_selectorIllEEZZNS1_16scan_by_key_implILNS1_25lookback_scan_determinismE0ELb0ES3_N6thrust23THRUST_200600_302600_NS16reverse_iteratorIPKlEESD_NSA_IPlEElN6hipcub16HIPCUB_304000_NS3MaxENSH_8EqualityElEE10hipError_tPvRmT2_T3_T4_T5_mT6_T7_P12ihipStream_tbENKUlT_T0_E_clISt17integral_constantIbLb1EES10_EEDaSV_SW_EUlSV_E_NS1_11comp_targetILNS1_3genE4ELNS1_11target_archE910ELNS1_3gpuE8ELNS1_3repE0EEENS1_30default_config_static_selectorELNS0_4arch9wavefront6targetE0EEEvT1_.uses_flat_scratch, 0
	.set _ZN7rocprim17ROCPRIM_400000_NS6detail17trampoline_kernelINS0_14default_configENS1_27scan_by_key_config_selectorIllEEZZNS1_16scan_by_key_implILNS1_25lookback_scan_determinismE0ELb0ES3_N6thrust23THRUST_200600_302600_NS16reverse_iteratorIPKlEESD_NSA_IPlEElN6hipcub16HIPCUB_304000_NS3MaxENSH_8EqualityElEE10hipError_tPvRmT2_T3_T4_T5_mT6_T7_P12ihipStream_tbENKUlT_T0_E_clISt17integral_constantIbLb1EES10_EEDaSV_SW_EUlSV_E_NS1_11comp_targetILNS1_3genE4ELNS1_11target_archE910ELNS1_3gpuE8ELNS1_3repE0EEENS1_30default_config_static_selectorELNS0_4arch9wavefront6targetE0EEEvT1_.has_dyn_sized_stack, 0
	.set _ZN7rocprim17ROCPRIM_400000_NS6detail17trampoline_kernelINS0_14default_configENS1_27scan_by_key_config_selectorIllEEZZNS1_16scan_by_key_implILNS1_25lookback_scan_determinismE0ELb0ES3_N6thrust23THRUST_200600_302600_NS16reverse_iteratorIPKlEESD_NSA_IPlEElN6hipcub16HIPCUB_304000_NS3MaxENSH_8EqualityElEE10hipError_tPvRmT2_T3_T4_T5_mT6_T7_P12ihipStream_tbENKUlT_T0_E_clISt17integral_constantIbLb1EES10_EEDaSV_SW_EUlSV_E_NS1_11comp_targetILNS1_3genE4ELNS1_11target_archE910ELNS1_3gpuE8ELNS1_3repE0EEENS1_30default_config_static_selectorELNS0_4arch9wavefront6targetE0EEEvT1_.has_recursion, 0
	.set _ZN7rocprim17ROCPRIM_400000_NS6detail17trampoline_kernelINS0_14default_configENS1_27scan_by_key_config_selectorIllEEZZNS1_16scan_by_key_implILNS1_25lookback_scan_determinismE0ELb0ES3_N6thrust23THRUST_200600_302600_NS16reverse_iteratorIPKlEESD_NSA_IPlEElN6hipcub16HIPCUB_304000_NS3MaxENSH_8EqualityElEE10hipError_tPvRmT2_T3_T4_T5_mT6_T7_P12ihipStream_tbENKUlT_T0_E_clISt17integral_constantIbLb1EES10_EEDaSV_SW_EUlSV_E_NS1_11comp_targetILNS1_3genE4ELNS1_11target_archE910ELNS1_3gpuE8ELNS1_3repE0EEENS1_30default_config_static_selectorELNS0_4arch9wavefront6targetE0EEEvT1_.has_indirect_call, 0
	.section	.AMDGPU.csdata,"",@progbits
; Kernel info:
; codeLenInByte = 0
; TotalNumSgprs: 0
; NumVgprs: 0
; ScratchSize: 0
; MemoryBound: 0
; FloatMode: 240
; IeeeMode: 1
; LDSByteSize: 0 bytes/workgroup (compile time only)
; SGPRBlocks: 0
; VGPRBlocks: 0
; NumSGPRsForWavesPerEU: 1
; NumVGPRsForWavesPerEU: 1
; NamedBarCnt: 0
; Occupancy: 16
; WaveLimiterHint : 0
; COMPUTE_PGM_RSRC2:SCRATCH_EN: 0
; COMPUTE_PGM_RSRC2:USER_SGPR: 2
; COMPUTE_PGM_RSRC2:TRAP_HANDLER: 0
; COMPUTE_PGM_RSRC2:TGID_X_EN: 1
; COMPUTE_PGM_RSRC2:TGID_Y_EN: 0
; COMPUTE_PGM_RSRC2:TGID_Z_EN: 0
; COMPUTE_PGM_RSRC2:TIDIG_COMP_CNT: 0
	.section	.text._ZN7rocprim17ROCPRIM_400000_NS6detail17trampoline_kernelINS0_14default_configENS1_27scan_by_key_config_selectorIllEEZZNS1_16scan_by_key_implILNS1_25lookback_scan_determinismE0ELb0ES3_N6thrust23THRUST_200600_302600_NS16reverse_iteratorIPKlEESD_NSA_IPlEElN6hipcub16HIPCUB_304000_NS3MaxENSH_8EqualityElEE10hipError_tPvRmT2_T3_T4_T5_mT6_T7_P12ihipStream_tbENKUlT_T0_E_clISt17integral_constantIbLb1EES10_EEDaSV_SW_EUlSV_E_NS1_11comp_targetILNS1_3genE3ELNS1_11target_archE908ELNS1_3gpuE7ELNS1_3repE0EEENS1_30default_config_static_selectorELNS0_4arch9wavefront6targetE0EEEvT1_,"axG",@progbits,_ZN7rocprim17ROCPRIM_400000_NS6detail17trampoline_kernelINS0_14default_configENS1_27scan_by_key_config_selectorIllEEZZNS1_16scan_by_key_implILNS1_25lookback_scan_determinismE0ELb0ES3_N6thrust23THRUST_200600_302600_NS16reverse_iteratorIPKlEESD_NSA_IPlEElN6hipcub16HIPCUB_304000_NS3MaxENSH_8EqualityElEE10hipError_tPvRmT2_T3_T4_T5_mT6_T7_P12ihipStream_tbENKUlT_T0_E_clISt17integral_constantIbLb1EES10_EEDaSV_SW_EUlSV_E_NS1_11comp_targetILNS1_3genE3ELNS1_11target_archE908ELNS1_3gpuE7ELNS1_3repE0EEENS1_30default_config_static_selectorELNS0_4arch9wavefront6targetE0EEEvT1_,comdat
	.protected	_ZN7rocprim17ROCPRIM_400000_NS6detail17trampoline_kernelINS0_14default_configENS1_27scan_by_key_config_selectorIllEEZZNS1_16scan_by_key_implILNS1_25lookback_scan_determinismE0ELb0ES3_N6thrust23THRUST_200600_302600_NS16reverse_iteratorIPKlEESD_NSA_IPlEElN6hipcub16HIPCUB_304000_NS3MaxENSH_8EqualityElEE10hipError_tPvRmT2_T3_T4_T5_mT6_T7_P12ihipStream_tbENKUlT_T0_E_clISt17integral_constantIbLb1EES10_EEDaSV_SW_EUlSV_E_NS1_11comp_targetILNS1_3genE3ELNS1_11target_archE908ELNS1_3gpuE7ELNS1_3repE0EEENS1_30default_config_static_selectorELNS0_4arch9wavefront6targetE0EEEvT1_ ; -- Begin function _ZN7rocprim17ROCPRIM_400000_NS6detail17trampoline_kernelINS0_14default_configENS1_27scan_by_key_config_selectorIllEEZZNS1_16scan_by_key_implILNS1_25lookback_scan_determinismE0ELb0ES3_N6thrust23THRUST_200600_302600_NS16reverse_iteratorIPKlEESD_NSA_IPlEElN6hipcub16HIPCUB_304000_NS3MaxENSH_8EqualityElEE10hipError_tPvRmT2_T3_T4_T5_mT6_T7_P12ihipStream_tbENKUlT_T0_E_clISt17integral_constantIbLb1EES10_EEDaSV_SW_EUlSV_E_NS1_11comp_targetILNS1_3genE3ELNS1_11target_archE908ELNS1_3gpuE7ELNS1_3repE0EEENS1_30default_config_static_selectorELNS0_4arch9wavefront6targetE0EEEvT1_
	.globl	_ZN7rocprim17ROCPRIM_400000_NS6detail17trampoline_kernelINS0_14default_configENS1_27scan_by_key_config_selectorIllEEZZNS1_16scan_by_key_implILNS1_25lookback_scan_determinismE0ELb0ES3_N6thrust23THRUST_200600_302600_NS16reverse_iteratorIPKlEESD_NSA_IPlEElN6hipcub16HIPCUB_304000_NS3MaxENSH_8EqualityElEE10hipError_tPvRmT2_T3_T4_T5_mT6_T7_P12ihipStream_tbENKUlT_T0_E_clISt17integral_constantIbLb1EES10_EEDaSV_SW_EUlSV_E_NS1_11comp_targetILNS1_3genE3ELNS1_11target_archE908ELNS1_3gpuE7ELNS1_3repE0EEENS1_30default_config_static_selectorELNS0_4arch9wavefront6targetE0EEEvT1_
	.p2align	8
	.type	_ZN7rocprim17ROCPRIM_400000_NS6detail17trampoline_kernelINS0_14default_configENS1_27scan_by_key_config_selectorIllEEZZNS1_16scan_by_key_implILNS1_25lookback_scan_determinismE0ELb0ES3_N6thrust23THRUST_200600_302600_NS16reverse_iteratorIPKlEESD_NSA_IPlEElN6hipcub16HIPCUB_304000_NS3MaxENSH_8EqualityElEE10hipError_tPvRmT2_T3_T4_T5_mT6_T7_P12ihipStream_tbENKUlT_T0_E_clISt17integral_constantIbLb1EES10_EEDaSV_SW_EUlSV_E_NS1_11comp_targetILNS1_3genE3ELNS1_11target_archE908ELNS1_3gpuE7ELNS1_3repE0EEENS1_30default_config_static_selectorELNS0_4arch9wavefront6targetE0EEEvT1_,@function
_ZN7rocprim17ROCPRIM_400000_NS6detail17trampoline_kernelINS0_14default_configENS1_27scan_by_key_config_selectorIllEEZZNS1_16scan_by_key_implILNS1_25lookback_scan_determinismE0ELb0ES3_N6thrust23THRUST_200600_302600_NS16reverse_iteratorIPKlEESD_NSA_IPlEElN6hipcub16HIPCUB_304000_NS3MaxENSH_8EqualityElEE10hipError_tPvRmT2_T3_T4_T5_mT6_T7_P12ihipStream_tbENKUlT_T0_E_clISt17integral_constantIbLb1EES10_EEDaSV_SW_EUlSV_E_NS1_11comp_targetILNS1_3genE3ELNS1_11target_archE908ELNS1_3gpuE7ELNS1_3repE0EEENS1_30default_config_static_selectorELNS0_4arch9wavefront6targetE0EEEvT1_: ; @_ZN7rocprim17ROCPRIM_400000_NS6detail17trampoline_kernelINS0_14default_configENS1_27scan_by_key_config_selectorIllEEZZNS1_16scan_by_key_implILNS1_25lookback_scan_determinismE0ELb0ES3_N6thrust23THRUST_200600_302600_NS16reverse_iteratorIPKlEESD_NSA_IPlEElN6hipcub16HIPCUB_304000_NS3MaxENSH_8EqualityElEE10hipError_tPvRmT2_T3_T4_T5_mT6_T7_P12ihipStream_tbENKUlT_T0_E_clISt17integral_constantIbLb1EES10_EEDaSV_SW_EUlSV_E_NS1_11comp_targetILNS1_3genE3ELNS1_11target_archE908ELNS1_3gpuE7ELNS1_3repE0EEENS1_30default_config_static_selectorELNS0_4arch9wavefront6targetE0EEEvT1_
; %bb.0:
	.section	.rodata,"a",@progbits
	.p2align	6, 0x0
	.amdhsa_kernel _ZN7rocprim17ROCPRIM_400000_NS6detail17trampoline_kernelINS0_14default_configENS1_27scan_by_key_config_selectorIllEEZZNS1_16scan_by_key_implILNS1_25lookback_scan_determinismE0ELb0ES3_N6thrust23THRUST_200600_302600_NS16reverse_iteratorIPKlEESD_NSA_IPlEElN6hipcub16HIPCUB_304000_NS3MaxENSH_8EqualityElEE10hipError_tPvRmT2_T3_T4_T5_mT6_T7_P12ihipStream_tbENKUlT_T0_E_clISt17integral_constantIbLb1EES10_EEDaSV_SW_EUlSV_E_NS1_11comp_targetILNS1_3genE3ELNS1_11target_archE908ELNS1_3gpuE7ELNS1_3repE0EEENS1_30default_config_static_selectorELNS0_4arch9wavefront6targetE0EEEvT1_
		.amdhsa_group_segment_fixed_size 0
		.amdhsa_private_segment_fixed_size 0
		.amdhsa_kernarg_size 136
		.amdhsa_user_sgpr_count 2
		.amdhsa_user_sgpr_dispatch_ptr 0
		.amdhsa_user_sgpr_queue_ptr 0
		.amdhsa_user_sgpr_kernarg_segment_ptr 1
		.amdhsa_user_sgpr_dispatch_id 0
		.amdhsa_user_sgpr_kernarg_preload_length 0
		.amdhsa_user_sgpr_kernarg_preload_offset 0
		.amdhsa_user_sgpr_private_segment_size 0
		.amdhsa_wavefront_size32 1
		.amdhsa_uses_dynamic_stack 0
		.amdhsa_enable_private_segment 0
		.amdhsa_system_sgpr_workgroup_id_x 1
		.amdhsa_system_sgpr_workgroup_id_y 0
		.amdhsa_system_sgpr_workgroup_id_z 0
		.amdhsa_system_sgpr_workgroup_info 0
		.amdhsa_system_vgpr_workitem_id 0
		.amdhsa_next_free_vgpr 1
		.amdhsa_next_free_sgpr 1
		.amdhsa_named_barrier_count 0
		.amdhsa_reserve_vcc 0
		.amdhsa_float_round_mode_32 0
		.amdhsa_float_round_mode_16_64 0
		.amdhsa_float_denorm_mode_32 3
		.amdhsa_float_denorm_mode_16_64 3
		.amdhsa_fp16_overflow 0
		.amdhsa_memory_ordered 1
		.amdhsa_forward_progress 1
		.amdhsa_inst_pref_size 0
		.amdhsa_round_robin_scheduling 0
		.amdhsa_exception_fp_ieee_invalid_op 0
		.amdhsa_exception_fp_denorm_src 0
		.amdhsa_exception_fp_ieee_div_zero 0
		.amdhsa_exception_fp_ieee_overflow 0
		.amdhsa_exception_fp_ieee_underflow 0
		.amdhsa_exception_fp_ieee_inexact 0
		.amdhsa_exception_int_div_zero 0
	.end_amdhsa_kernel
	.section	.text._ZN7rocprim17ROCPRIM_400000_NS6detail17trampoline_kernelINS0_14default_configENS1_27scan_by_key_config_selectorIllEEZZNS1_16scan_by_key_implILNS1_25lookback_scan_determinismE0ELb0ES3_N6thrust23THRUST_200600_302600_NS16reverse_iteratorIPKlEESD_NSA_IPlEElN6hipcub16HIPCUB_304000_NS3MaxENSH_8EqualityElEE10hipError_tPvRmT2_T3_T4_T5_mT6_T7_P12ihipStream_tbENKUlT_T0_E_clISt17integral_constantIbLb1EES10_EEDaSV_SW_EUlSV_E_NS1_11comp_targetILNS1_3genE3ELNS1_11target_archE908ELNS1_3gpuE7ELNS1_3repE0EEENS1_30default_config_static_selectorELNS0_4arch9wavefront6targetE0EEEvT1_,"axG",@progbits,_ZN7rocprim17ROCPRIM_400000_NS6detail17trampoline_kernelINS0_14default_configENS1_27scan_by_key_config_selectorIllEEZZNS1_16scan_by_key_implILNS1_25lookback_scan_determinismE0ELb0ES3_N6thrust23THRUST_200600_302600_NS16reverse_iteratorIPKlEESD_NSA_IPlEElN6hipcub16HIPCUB_304000_NS3MaxENSH_8EqualityElEE10hipError_tPvRmT2_T3_T4_T5_mT6_T7_P12ihipStream_tbENKUlT_T0_E_clISt17integral_constantIbLb1EES10_EEDaSV_SW_EUlSV_E_NS1_11comp_targetILNS1_3genE3ELNS1_11target_archE908ELNS1_3gpuE7ELNS1_3repE0EEENS1_30default_config_static_selectorELNS0_4arch9wavefront6targetE0EEEvT1_,comdat
.Lfunc_end151:
	.size	_ZN7rocprim17ROCPRIM_400000_NS6detail17trampoline_kernelINS0_14default_configENS1_27scan_by_key_config_selectorIllEEZZNS1_16scan_by_key_implILNS1_25lookback_scan_determinismE0ELb0ES3_N6thrust23THRUST_200600_302600_NS16reverse_iteratorIPKlEESD_NSA_IPlEElN6hipcub16HIPCUB_304000_NS3MaxENSH_8EqualityElEE10hipError_tPvRmT2_T3_T4_T5_mT6_T7_P12ihipStream_tbENKUlT_T0_E_clISt17integral_constantIbLb1EES10_EEDaSV_SW_EUlSV_E_NS1_11comp_targetILNS1_3genE3ELNS1_11target_archE908ELNS1_3gpuE7ELNS1_3repE0EEENS1_30default_config_static_selectorELNS0_4arch9wavefront6targetE0EEEvT1_, .Lfunc_end151-_ZN7rocprim17ROCPRIM_400000_NS6detail17trampoline_kernelINS0_14default_configENS1_27scan_by_key_config_selectorIllEEZZNS1_16scan_by_key_implILNS1_25lookback_scan_determinismE0ELb0ES3_N6thrust23THRUST_200600_302600_NS16reverse_iteratorIPKlEESD_NSA_IPlEElN6hipcub16HIPCUB_304000_NS3MaxENSH_8EqualityElEE10hipError_tPvRmT2_T3_T4_T5_mT6_T7_P12ihipStream_tbENKUlT_T0_E_clISt17integral_constantIbLb1EES10_EEDaSV_SW_EUlSV_E_NS1_11comp_targetILNS1_3genE3ELNS1_11target_archE908ELNS1_3gpuE7ELNS1_3repE0EEENS1_30default_config_static_selectorELNS0_4arch9wavefront6targetE0EEEvT1_
                                        ; -- End function
	.set _ZN7rocprim17ROCPRIM_400000_NS6detail17trampoline_kernelINS0_14default_configENS1_27scan_by_key_config_selectorIllEEZZNS1_16scan_by_key_implILNS1_25lookback_scan_determinismE0ELb0ES3_N6thrust23THRUST_200600_302600_NS16reverse_iteratorIPKlEESD_NSA_IPlEElN6hipcub16HIPCUB_304000_NS3MaxENSH_8EqualityElEE10hipError_tPvRmT2_T3_T4_T5_mT6_T7_P12ihipStream_tbENKUlT_T0_E_clISt17integral_constantIbLb1EES10_EEDaSV_SW_EUlSV_E_NS1_11comp_targetILNS1_3genE3ELNS1_11target_archE908ELNS1_3gpuE7ELNS1_3repE0EEENS1_30default_config_static_selectorELNS0_4arch9wavefront6targetE0EEEvT1_.num_vgpr, 0
	.set _ZN7rocprim17ROCPRIM_400000_NS6detail17trampoline_kernelINS0_14default_configENS1_27scan_by_key_config_selectorIllEEZZNS1_16scan_by_key_implILNS1_25lookback_scan_determinismE0ELb0ES3_N6thrust23THRUST_200600_302600_NS16reverse_iteratorIPKlEESD_NSA_IPlEElN6hipcub16HIPCUB_304000_NS3MaxENSH_8EqualityElEE10hipError_tPvRmT2_T3_T4_T5_mT6_T7_P12ihipStream_tbENKUlT_T0_E_clISt17integral_constantIbLb1EES10_EEDaSV_SW_EUlSV_E_NS1_11comp_targetILNS1_3genE3ELNS1_11target_archE908ELNS1_3gpuE7ELNS1_3repE0EEENS1_30default_config_static_selectorELNS0_4arch9wavefront6targetE0EEEvT1_.num_agpr, 0
	.set _ZN7rocprim17ROCPRIM_400000_NS6detail17trampoline_kernelINS0_14default_configENS1_27scan_by_key_config_selectorIllEEZZNS1_16scan_by_key_implILNS1_25lookback_scan_determinismE0ELb0ES3_N6thrust23THRUST_200600_302600_NS16reverse_iteratorIPKlEESD_NSA_IPlEElN6hipcub16HIPCUB_304000_NS3MaxENSH_8EqualityElEE10hipError_tPvRmT2_T3_T4_T5_mT6_T7_P12ihipStream_tbENKUlT_T0_E_clISt17integral_constantIbLb1EES10_EEDaSV_SW_EUlSV_E_NS1_11comp_targetILNS1_3genE3ELNS1_11target_archE908ELNS1_3gpuE7ELNS1_3repE0EEENS1_30default_config_static_selectorELNS0_4arch9wavefront6targetE0EEEvT1_.numbered_sgpr, 0
	.set _ZN7rocprim17ROCPRIM_400000_NS6detail17trampoline_kernelINS0_14default_configENS1_27scan_by_key_config_selectorIllEEZZNS1_16scan_by_key_implILNS1_25lookback_scan_determinismE0ELb0ES3_N6thrust23THRUST_200600_302600_NS16reverse_iteratorIPKlEESD_NSA_IPlEElN6hipcub16HIPCUB_304000_NS3MaxENSH_8EqualityElEE10hipError_tPvRmT2_T3_T4_T5_mT6_T7_P12ihipStream_tbENKUlT_T0_E_clISt17integral_constantIbLb1EES10_EEDaSV_SW_EUlSV_E_NS1_11comp_targetILNS1_3genE3ELNS1_11target_archE908ELNS1_3gpuE7ELNS1_3repE0EEENS1_30default_config_static_selectorELNS0_4arch9wavefront6targetE0EEEvT1_.num_named_barrier, 0
	.set _ZN7rocprim17ROCPRIM_400000_NS6detail17trampoline_kernelINS0_14default_configENS1_27scan_by_key_config_selectorIllEEZZNS1_16scan_by_key_implILNS1_25lookback_scan_determinismE0ELb0ES3_N6thrust23THRUST_200600_302600_NS16reverse_iteratorIPKlEESD_NSA_IPlEElN6hipcub16HIPCUB_304000_NS3MaxENSH_8EqualityElEE10hipError_tPvRmT2_T3_T4_T5_mT6_T7_P12ihipStream_tbENKUlT_T0_E_clISt17integral_constantIbLb1EES10_EEDaSV_SW_EUlSV_E_NS1_11comp_targetILNS1_3genE3ELNS1_11target_archE908ELNS1_3gpuE7ELNS1_3repE0EEENS1_30default_config_static_selectorELNS0_4arch9wavefront6targetE0EEEvT1_.private_seg_size, 0
	.set _ZN7rocprim17ROCPRIM_400000_NS6detail17trampoline_kernelINS0_14default_configENS1_27scan_by_key_config_selectorIllEEZZNS1_16scan_by_key_implILNS1_25lookback_scan_determinismE0ELb0ES3_N6thrust23THRUST_200600_302600_NS16reverse_iteratorIPKlEESD_NSA_IPlEElN6hipcub16HIPCUB_304000_NS3MaxENSH_8EqualityElEE10hipError_tPvRmT2_T3_T4_T5_mT6_T7_P12ihipStream_tbENKUlT_T0_E_clISt17integral_constantIbLb1EES10_EEDaSV_SW_EUlSV_E_NS1_11comp_targetILNS1_3genE3ELNS1_11target_archE908ELNS1_3gpuE7ELNS1_3repE0EEENS1_30default_config_static_selectorELNS0_4arch9wavefront6targetE0EEEvT1_.uses_vcc, 0
	.set _ZN7rocprim17ROCPRIM_400000_NS6detail17trampoline_kernelINS0_14default_configENS1_27scan_by_key_config_selectorIllEEZZNS1_16scan_by_key_implILNS1_25lookback_scan_determinismE0ELb0ES3_N6thrust23THRUST_200600_302600_NS16reverse_iteratorIPKlEESD_NSA_IPlEElN6hipcub16HIPCUB_304000_NS3MaxENSH_8EqualityElEE10hipError_tPvRmT2_T3_T4_T5_mT6_T7_P12ihipStream_tbENKUlT_T0_E_clISt17integral_constantIbLb1EES10_EEDaSV_SW_EUlSV_E_NS1_11comp_targetILNS1_3genE3ELNS1_11target_archE908ELNS1_3gpuE7ELNS1_3repE0EEENS1_30default_config_static_selectorELNS0_4arch9wavefront6targetE0EEEvT1_.uses_flat_scratch, 0
	.set _ZN7rocprim17ROCPRIM_400000_NS6detail17trampoline_kernelINS0_14default_configENS1_27scan_by_key_config_selectorIllEEZZNS1_16scan_by_key_implILNS1_25lookback_scan_determinismE0ELb0ES3_N6thrust23THRUST_200600_302600_NS16reverse_iteratorIPKlEESD_NSA_IPlEElN6hipcub16HIPCUB_304000_NS3MaxENSH_8EqualityElEE10hipError_tPvRmT2_T3_T4_T5_mT6_T7_P12ihipStream_tbENKUlT_T0_E_clISt17integral_constantIbLb1EES10_EEDaSV_SW_EUlSV_E_NS1_11comp_targetILNS1_3genE3ELNS1_11target_archE908ELNS1_3gpuE7ELNS1_3repE0EEENS1_30default_config_static_selectorELNS0_4arch9wavefront6targetE0EEEvT1_.has_dyn_sized_stack, 0
	.set _ZN7rocprim17ROCPRIM_400000_NS6detail17trampoline_kernelINS0_14default_configENS1_27scan_by_key_config_selectorIllEEZZNS1_16scan_by_key_implILNS1_25lookback_scan_determinismE0ELb0ES3_N6thrust23THRUST_200600_302600_NS16reverse_iteratorIPKlEESD_NSA_IPlEElN6hipcub16HIPCUB_304000_NS3MaxENSH_8EqualityElEE10hipError_tPvRmT2_T3_T4_T5_mT6_T7_P12ihipStream_tbENKUlT_T0_E_clISt17integral_constantIbLb1EES10_EEDaSV_SW_EUlSV_E_NS1_11comp_targetILNS1_3genE3ELNS1_11target_archE908ELNS1_3gpuE7ELNS1_3repE0EEENS1_30default_config_static_selectorELNS0_4arch9wavefront6targetE0EEEvT1_.has_recursion, 0
	.set _ZN7rocprim17ROCPRIM_400000_NS6detail17trampoline_kernelINS0_14default_configENS1_27scan_by_key_config_selectorIllEEZZNS1_16scan_by_key_implILNS1_25lookback_scan_determinismE0ELb0ES3_N6thrust23THRUST_200600_302600_NS16reverse_iteratorIPKlEESD_NSA_IPlEElN6hipcub16HIPCUB_304000_NS3MaxENSH_8EqualityElEE10hipError_tPvRmT2_T3_T4_T5_mT6_T7_P12ihipStream_tbENKUlT_T0_E_clISt17integral_constantIbLb1EES10_EEDaSV_SW_EUlSV_E_NS1_11comp_targetILNS1_3genE3ELNS1_11target_archE908ELNS1_3gpuE7ELNS1_3repE0EEENS1_30default_config_static_selectorELNS0_4arch9wavefront6targetE0EEEvT1_.has_indirect_call, 0
	.section	.AMDGPU.csdata,"",@progbits
; Kernel info:
; codeLenInByte = 0
; TotalNumSgprs: 0
; NumVgprs: 0
; ScratchSize: 0
; MemoryBound: 0
; FloatMode: 240
; IeeeMode: 1
; LDSByteSize: 0 bytes/workgroup (compile time only)
; SGPRBlocks: 0
; VGPRBlocks: 0
; NumSGPRsForWavesPerEU: 1
; NumVGPRsForWavesPerEU: 1
; NamedBarCnt: 0
; Occupancy: 16
; WaveLimiterHint : 0
; COMPUTE_PGM_RSRC2:SCRATCH_EN: 0
; COMPUTE_PGM_RSRC2:USER_SGPR: 2
; COMPUTE_PGM_RSRC2:TRAP_HANDLER: 0
; COMPUTE_PGM_RSRC2:TGID_X_EN: 1
; COMPUTE_PGM_RSRC2:TGID_Y_EN: 0
; COMPUTE_PGM_RSRC2:TGID_Z_EN: 0
; COMPUTE_PGM_RSRC2:TIDIG_COMP_CNT: 0
	.section	.text._ZN7rocprim17ROCPRIM_400000_NS6detail17trampoline_kernelINS0_14default_configENS1_27scan_by_key_config_selectorIllEEZZNS1_16scan_by_key_implILNS1_25lookback_scan_determinismE0ELb0ES3_N6thrust23THRUST_200600_302600_NS16reverse_iteratorIPKlEESD_NSA_IPlEElN6hipcub16HIPCUB_304000_NS3MaxENSH_8EqualityElEE10hipError_tPvRmT2_T3_T4_T5_mT6_T7_P12ihipStream_tbENKUlT_T0_E_clISt17integral_constantIbLb1EES10_EEDaSV_SW_EUlSV_E_NS1_11comp_targetILNS1_3genE2ELNS1_11target_archE906ELNS1_3gpuE6ELNS1_3repE0EEENS1_30default_config_static_selectorELNS0_4arch9wavefront6targetE0EEEvT1_,"axG",@progbits,_ZN7rocprim17ROCPRIM_400000_NS6detail17trampoline_kernelINS0_14default_configENS1_27scan_by_key_config_selectorIllEEZZNS1_16scan_by_key_implILNS1_25lookback_scan_determinismE0ELb0ES3_N6thrust23THRUST_200600_302600_NS16reverse_iteratorIPKlEESD_NSA_IPlEElN6hipcub16HIPCUB_304000_NS3MaxENSH_8EqualityElEE10hipError_tPvRmT2_T3_T4_T5_mT6_T7_P12ihipStream_tbENKUlT_T0_E_clISt17integral_constantIbLb1EES10_EEDaSV_SW_EUlSV_E_NS1_11comp_targetILNS1_3genE2ELNS1_11target_archE906ELNS1_3gpuE6ELNS1_3repE0EEENS1_30default_config_static_selectorELNS0_4arch9wavefront6targetE0EEEvT1_,comdat
	.protected	_ZN7rocprim17ROCPRIM_400000_NS6detail17trampoline_kernelINS0_14default_configENS1_27scan_by_key_config_selectorIllEEZZNS1_16scan_by_key_implILNS1_25lookback_scan_determinismE0ELb0ES3_N6thrust23THRUST_200600_302600_NS16reverse_iteratorIPKlEESD_NSA_IPlEElN6hipcub16HIPCUB_304000_NS3MaxENSH_8EqualityElEE10hipError_tPvRmT2_T3_T4_T5_mT6_T7_P12ihipStream_tbENKUlT_T0_E_clISt17integral_constantIbLb1EES10_EEDaSV_SW_EUlSV_E_NS1_11comp_targetILNS1_3genE2ELNS1_11target_archE906ELNS1_3gpuE6ELNS1_3repE0EEENS1_30default_config_static_selectorELNS0_4arch9wavefront6targetE0EEEvT1_ ; -- Begin function _ZN7rocprim17ROCPRIM_400000_NS6detail17trampoline_kernelINS0_14default_configENS1_27scan_by_key_config_selectorIllEEZZNS1_16scan_by_key_implILNS1_25lookback_scan_determinismE0ELb0ES3_N6thrust23THRUST_200600_302600_NS16reverse_iteratorIPKlEESD_NSA_IPlEElN6hipcub16HIPCUB_304000_NS3MaxENSH_8EqualityElEE10hipError_tPvRmT2_T3_T4_T5_mT6_T7_P12ihipStream_tbENKUlT_T0_E_clISt17integral_constantIbLb1EES10_EEDaSV_SW_EUlSV_E_NS1_11comp_targetILNS1_3genE2ELNS1_11target_archE906ELNS1_3gpuE6ELNS1_3repE0EEENS1_30default_config_static_selectorELNS0_4arch9wavefront6targetE0EEEvT1_
	.globl	_ZN7rocprim17ROCPRIM_400000_NS6detail17trampoline_kernelINS0_14default_configENS1_27scan_by_key_config_selectorIllEEZZNS1_16scan_by_key_implILNS1_25lookback_scan_determinismE0ELb0ES3_N6thrust23THRUST_200600_302600_NS16reverse_iteratorIPKlEESD_NSA_IPlEElN6hipcub16HIPCUB_304000_NS3MaxENSH_8EqualityElEE10hipError_tPvRmT2_T3_T4_T5_mT6_T7_P12ihipStream_tbENKUlT_T0_E_clISt17integral_constantIbLb1EES10_EEDaSV_SW_EUlSV_E_NS1_11comp_targetILNS1_3genE2ELNS1_11target_archE906ELNS1_3gpuE6ELNS1_3repE0EEENS1_30default_config_static_selectorELNS0_4arch9wavefront6targetE0EEEvT1_
	.p2align	8
	.type	_ZN7rocprim17ROCPRIM_400000_NS6detail17trampoline_kernelINS0_14default_configENS1_27scan_by_key_config_selectorIllEEZZNS1_16scan_by_key_implILNS1_25lookback_scan_determinismE0ELb0ES3_N6thrust23THRUST_200600_302600_NS16reverse_iteratorIPKlEESD_NSA_IPlEElN6hipcub16HIPCUB_304000_NS3MaxENSH_8EqualityElEE10hipError_tPvRmT2_T3_T4_T5_mT6_T7_P12ihipStream_tbENKUlT_T0_E_clISt17integral_constantIbLb1EES10_EEDaSV_SW_EUlSV_E_NS1_11comp_targetILNS1_3genE2ELNS1_11target_archE906ELNS1_3gpuE6ELNS1_3repE0EEENS1_30default_config_static_selectorELNS0_4arch9wavefront6targetE0EEEvT1_,@function
_ZN7rocprim17ROCPRIM_400000_NS6detail17trampoline_kernelINS0_14default_configENS1_27scan_by_key_config_selectorIllEEZZNS1_16scan_by_key_implILNS1_25lookback_scan_determinismE0ELb0ES3_N6thrust23THRUST_200600_302600_NS16reverse_iteratorIPKlEESD_NSA_IPlEElN6hipcub16HIPCUB_304000_NS3MaxENSH_8EqualityElEE10hipError_tPvRmT2_T3_T4_T5_mT6_T7_P12ihipStream_tbENKUlT_T0_E_clISt17integral_constantIbLb1EES10_EEDaSV_SW_EUlSV_E_NS1_11comp_targetILNS1_3genE2ELNS1_11target_archE906ELNS1_3gpuE6ELNS1_3repE0EEENS1_30default_config_static_selectorELNS0_4arch9wavefront6targetE0EEEvT1_: ; @_ZN7rocprim17ROCPRIM_400000_NS6detail17trampoline_kernelINS0_14default_configENS1_27scan_by_key_config_selectorIllEEZZNS1_16scan_by_key_implILNS1_25lookback_scan_determinismE0ELb0ES3_N6thrust23THRUST_200600_302600_NS16reverse_iteratorIPKlEESD_NSA_IPlEElN6hipcub16HIPCUB_304000_NS3MaxENSH_8EqualityElEE10hipError_tPvRmT2_T3_T4_T5_mT6_T7_P12ihipStream_tbENKUlT_T0_E_clISt17integral_constantIbLb1EES10_EEDaSV_SW_EUlSV_E_NS1_11comp_targetILNS1_3genE2ELNS1_11target_archE906ELNS1_3gpuE6ELNS1_3repE0EEENS1_30default_config_static_selectorELNS0_4arch9wavefront6targetE0EEEvT1_
; %bb.0:
	.section	.rodata,"a",@progbits
	.p2align	6, 0x0
	.amdhsa_kernel _ZN7rocprim17ROCPRIM_400000_NS6detail17trampoline_kernelINS0_14default_configENS1_27scan_by_key_config_selectorIllEEZZNS1_16scan_by_key_implILNS1_25lookback_scan_determinismE0ELb0ES3_N6thrust23THRUST_200600_302600_NS16reverse_iteratorIPKlEESD_NSA_IPlEElN6hipcub16HIPCUB_304000_NS3MaxENSH_8EqualityElEE10hipError_tPvRmT2_T3_T4_T5_mT6_T7_P12ihipStream_tbENKUlT_T0_E_clISt17integral_constantIbLb1EES10_EEDaSV_SW_EUlSV_E_NS1_11comp_targetILNS1_3genE2ELNS1_11target_archE906ELNS1_3gpuE6ELNS1_3repE0EEENS1_30default_config_static_selectorELNS0_4arch9wavefront6targetE0EEEvT1_
		.amdhsa_group_segment_fixed_size 0
		.amdhsa_private_segment_fixed_size 0
		.amdhsa_kernarg_size 136
		.amdhsa_user_sgpr_count 2
		.amdhsa_user_sgpr_dispatch_ptr 0
		.amdhsa_user_sgpr_queue_ptr 0
		.amdhsa_user_sgpr_kernarg_segment_ptr 1
		.amdhsa_user_sgpr_dispatch_id 0
		.amdhsa_user_sgpr_kernarg_preload_length 0
		.amdhsa_user_sgpr_kernarg_preload_offset 0
		.amdhsa_user_sgpr_private_segment_size 0
		.amdhsa_wavefront_size32 1
		.amdhsa_uses_dynamic_stack 0
		.amdhsa_enable_private_segment 0
		.amdhsa_system_sgpr_workgroup_id_x 1
		.amdhsa_system_sgpr_workgroup_id_y 0
		.amdhsa_system_sgpr_workgroup_id_z 0
		.amdhsa_system_sgpr_workgroup_info 0
		.amdhsa_system_vgpr_workitem_id 0
		.amdhsa_next_free_vgpr 1
		.amdhsa_next_free_sgpr 1
		.amdhsa_named_barrier_count 0
		.amdhsa_reserve_vcc 0
		.amdhsa_float_round_mode_32 0
		.amdhsa_float_round_mode_16_64 0
		.amdhsa_float_denorm_mode_32 3
		.amdhsa_float_denorm_mode_16_64 3
		.amdhsa_fp16_overflow 0
		.amdhsa_memory_ordered 1
		.amdhsa_forward_progress 1
		.amdhsa_inst_pref_size 0
		.amdhsa_round_robin_scheduling 0
		.amdhsa_exception_fp_ieee_invalid_op 0
		.amdhsa_exception_fp_denorm_src 0
		.amdhsa_exception_fp_ieee_div_zero 0
		.amdhsa_exception_fp_ieee_overflow 0
		.amdhsa_exception_fp_ieee_underflow 0
		.amdhsa_exception_fp_ieee_inexact 0
		.amdhsa_exception_int_div_zero 0
	.end_amdhsa_kernel
	.section	.text._ZN7rocprim17ROCPRIM_400000_NS6detail17trampoline_kernelINS0_14default_configENS1_27scan_by_key_config_selectorIllEEZZNS1_16scan_by_key_implILNS1_25lookback_scan_determinismE0ELb0ES3_N6thrust23THRUST_200600_302600_NS16reverse_iteratorIPKlEESD_NSA_IPlEElN6hipcub16HIPCUB_304000_NS3MaxENSH_8EqualityElEE10hipError_tPvRmT2_T3_T4_T5_mT6_T7_P12ihipStream_tbENKUlT_T0_E_clISt17integral_constantIbLb1EES10_EEDaSV_SW_EUlSV_E_NS1_11comp_targetILNS1_3genE2ELNS1_11target_archE906ELNS1_3gpuE6ELNS1_3repE0EEENS1_30default_config_static_selectorELNS0_4arch9wavefront6targetE0EEEvT1_,"axG",@progbits,_ZN7rocprim17ROCPRIM_400000_NS6detail17trampoline_kernelINS0_14default_configENS1_27scan_by_key_config_selectorIllEEZZNS1_16scan_by_key_implILNS1_25lookback_scan_determinismE0ELb0ES3_N6thrust23THRUST_200600_302600_NS16reverse_iteratorIPKlEESD_NSA_IPlEElN6hipcub16HIPCUB_304000_NS3MaxENSH_8EqualityElEE10hipError_tPvRmT2_T3_T4_T5_mT6_T7_P12ihipStream_tbENKUlT_T0_E_clISt17integral_constantIbLb1EES10_EEDaSV_SW_EUlSV_E_NS1_11comp_targetILNS1_3genE2ELNS1_11target_archE906ELNS1_3gpuE6ELNS1_3repE0EEENS1_30default_config_static_selectorELNS0_4arch9wavefront6targetE0EEEvT1_,comdat
.Lfunc_end152:
	.size	_ZN7rocprim17ROCPRIM_400000_NS6detail17trampoline_kernelINS0_14default_configENS1_27scan_by_key_config_selectorIllEEZZNS1_16scan_by_key_implILNS1_25lookback_scan_determinismE0ELb0ES3_N6thrust23THRUST_200600_302600_NS16reverse_iteratorIPKlEESD_NSA_IPlEElN6hipcub16HIPCUB_304000_NS3MaxENSH_8EqualityElEE10hipError_tPvRmT2_T3_T4_T5_mT6_T7_P12ihipStream_tbENKUlT_T0_E_clISt17integral_constantIbLb1EES10_EEDaSV_SW_EUlSV_E_NS1_11comp_targetILNS1_3genE2ELNS1_11target_archE906ELNS1_3gpuE6ELNS1_3repE0EEENS1_30default_config_static_selectorELNS0_4arch9wavefront6targetE0EEEvT1_, .Lfunc_end152-_ZN7rocprim17ROCPRIM_400000_NS6detail17trampoline_kernelINS0_14default_configENS1_27scan_by_key_config_selectorIllEEZZNS1_16scan_by_key_implILNS1_25lookback_scan_determinismE0ELb0ES3_N6thrust23THRUST_200600_302600_NS16reverse_iteratorIPKlEESD_NSA_IPlEElN6hipcub16HIPCUB_304000_NS3MaxENSH_8EqualityElEE10hipError_tPvRmT2_T3_T4_T5_mT6_T7_P12ihipStream_tbENKUlT_T0_E_clISt17integral_constantIbLb1EES10_EEDaSV_SW_EUlSV_E_NS1_11comp_targetILNS1_3genE2ELNS1_11target_archE906ELNS1_3gpuE6ELNS1_3repE0EEENS1_30default_config_static_selectorELNS0_4arch9wavefront6targetE0EEEvT1_
                                        ; -- End function
	.set _ZN7rocprim17ROCPRIM_400000_NS6detail17trampoline_kernelINS0_14default_configENS1_27scan_by_key_config_selectorIllEEZZNS1_16scan_by_key_implILNS1_25lookback_scan_determinismE0ELb0ES3_N6thrust23THRUST_200600_302600_NS16reverse_iteratorIPKlEESD_NSA_IPlEElN6hipcub16HIPCUB_304000_NS3MaxENSH_8EqualityElEE10hipError_tPvRmT2_T3_T4_T5_mT6_T7_P12ihipStream_tbENKUlT_T0_E_clISt17integral_constantIbLb1EES10_EEDaSV_SW_EUlSV_E_NS1_11comp_targetILNS1_3genE2ELNS1_11target_archE906ELNS1_3gpuE6ELNS1_3repE0EEENS1_30default_config_static_selectorELNS0_4arch9wavefront6targetE0EEEvT1_.num_vgpr, 0
	.set _ZN7rocprim17ROCPRIM_400000_NS6detail17trampoline_kernelINS0_14default_configENS1_27scan_by_key_config_selectorIllEEZZNS1_16scan_by_key_implILNS1_25lookback_scan_determinismE0ELb0ES3_N6thrust23THRUST_200600_302600_NS16reverse_iteratorIPKlEESD_NSA_IPlEElN6hipcub16HIPCUB_304000_NS3MaxENSH_8EqualityElEE10hipError_tPvRmT2_T3_T4_T5_mT6_T7_P12ihipStream_tbENKUlT_T0_E_clISt17integral_constantIbLb1EES10_EEDaSV_SW_EUlSV_E_NS1_11comp_targetILNS1_3genE2ELNS1_11target_archE906ELNS1_3gpuE6ELNS1_3repE0EEENS1_30default_config_static_selectorELNS0_4arch9wavefront6targetE0EEEvT1_.num_agpr, 0
	.set _ZN7rocprim17ROCPRIM_400000_NS6detail17trampoline_kernelINS0_14default_configENS1_27scan_by_key_config_selectorIllEEZZNS1_16scan_by_key_implILNS1_25lookback_scan_determinismE0ELb0ES3_N6thrust23THRUST_200600_302600_NS16reverse_iteratorIPKlEESD_NSA_IPlEElN6hipcub16HIPCUB_304000_NS3MaxENSH_8EqualityElEE10hipError_tPvRmT2_T3_T4_T5_mT6_T7_P12ihipStream_tbENKUlT_T0_E_clISt17integral_constantIbLb1EES10_EEDaSV_SW_EUlSV_E_NS1_11comp_targetILNS1_3genE2ELNS1_11target_archE906ELNS1_3gpuE6ELNS1_3repE0EEENS1_30default_config_static_selectorELNS0_4arch9wavefront6targetE0EEEvT1_.numbered_sgpr, 0
	.set _ZN7rocprim17ROCPRIM_400000_NS6detail17trampoline_kernelINS0_14default_configENS1_27scan_by_key_config_selectorIllEEZZNS1_16scan_by_key_implILNS1_25lookback_scan_determinismE0ELb0ES3_N6thrust23THRUST_200600_302600_NS16reverse_iteratorIPKlEESD_NSA_IPlEElN6hipcub16HIPCUB_304000_NS3MaxENSH_8EqualityElEE10hipError_tPvRmT2_T3_T4_T5_mT6_T7_P12ihipStream_tbENKUlT_T0_E_clISt17integral_constantIbLb1EES10_EEDaSV_SW_EUlSV_E_NS1_11comp_targetILNS1_3genE2ELNS1_11target_archE906ELNS1_3gpuE6ELNS1_3repE0EEENS1_30default_config_static_selectorELNS0_4arch9wavefront6targetE0EEEvT1_.num_named_barrier, 0
	.set _ZN7rocprim17ROCPRIM_400000_NS6detail17trampoline_kernelINS0_14default_configENS1_27scan_by_key_config_selectorIllEEZZNS1_16scan_by_key_implILNS1_25lookback_scan_determinismE0ELb0ES3_N6thrust23THRUST_200600_302600_NS16reverse_iteratorIPKlEESD_NSA_IPlEElN6hipcub16HIPCUB_304000_NS3MaxENSH_8EqualityElEE10hipError_tPvRmT2_T3_T4_T5_mT6_T7_P12ihipStream_tbENKUlT_T0_E_clISt17integral_constantIbLb1EES10_EEDaSV_SW_EUlSV_E_NS1_11comp_targetILNS1_3genE2ELNS1_11target_archE906ELNS1_3gpuE6ELNS1_3repE0EEENS1_30default_config_static_selectorELNS0_4arch9wavefront6targetE0EEEvT1_.private_seg_size, 0
	.set _ZN7rocprim17ROCPRIM_400000_NS6detail17trampoline_kernelINS0_14default_configENS1_27scan_by_key_config_selectorIllEEZZNS1_16scan_by_key_implILNS1_25lookback_scan_determinismE0ELb0ES3_N6thrust23THRUST_200600_302600_NS16reverse_iteratorIPKlEESD_NSA_IPlEElN6hipcub16HIPCUB_304000_NS3MaxENSH_8EqualityElEE10hipError_tPvRmT2_T3_T4_T5_mT6_T7_P12ihipStream_tbENKUlT_T0_E_clISt17integral_constantIbLb1EES10_EEDaSV_SW_EUlSV_E_NS1_11comp_targetILNS1_3genE2ELNS1_11target_archE906ELNS1_3gpuE6ELNS1_3repE0EEENS1_30default_config_static_selectorELNS0_4arch9wavefront6targetE0EEEvT1_.uses_vcc, 0
	.set _ZN7rocprim17ROCPRIM_400000_NS6detail17trampoline_kernelINS0_14default_configENS1_27scan_by_key_config_selectorIllEEZZNS1_16scan_by_key_implILNS1_25lookback_scan_determinismE0ELb0ES3_N6thrust23THRUST_200600_302600_NS16reverse_iteratorIPKlEESD_NSA_IPlEElN6hipcub16HIPCUB_304000_NS3MaxENSH_8EqualityElEE10hipError_tPvRmT2_T3_T4_T5_mT6_T7_P12ihipStream_tbENKUlT_T0_E_clISt17integral_constantIbLb1EES10_EEDaSV_SW_EUlSV_E_NS1_11comp_targetILNS1_3genE2ELNS1_11target_archE906ELNS1_3gpuE6ELNS1_3repE0EEENS1_30default_config_static_selectorELNS0_4arch9wavefront6targetE0EEEvT1_.uses_flat_scratch, 0
	.set _ZN7rocprim17ROCPRIM_400000_NS6detail17trampoline_kernelINS0_14default_configENS1_27scan_by_key_config_selectorIllEEZZNS1_16scan_by_key_implILNS1_25lookback_scan_determinismE0ELb0ES3_N6thrust23THRUST_200600_302600_NS16reverse_iteratorIPKlEESD_NSA_IPlEElN6hipcub16HIPCUB_304000_NS3MaxENSH_8EqualityElEE10hipError_tPvRmT2_T3_T4_T5_mT6_T7_P12ihipStream_tbENKUlT_T0_E_clISt17integral_constantIbLb1EES10_EEDaSV_SW_EUlSV_E_NS1_11comp_targetILNS1_3genE2ELNS1_11target_archE906ELNS1_3gpuE6ELNS1_3repE0EEENS1_30default_config_static_selectorELNS0_4arch9wavefront6targetE0EEEvT1_.has_dyn_sized_stack, 0
	.set _ZN7rocprim17ROCPRIM_400000_NS6detail17trampoline_kernelINS0_14default_configENS1_27scan_by_key_config_selectorIllEEZZNS1_16scan_by_key_implILNS1_25lookback_scan_determinismE0ELb0ES3_N6thrust23THRUST_200600_302600_NS16reverse_iteratorIPKlEESD_NSA_IPlEElN6hipcub16HIPCUB_304000_NS3MaxENSH_8EqualityElEE10hipError_tPvRmT2_T3_T4_T5_mT6_T7_P12ihipStream_tbENKUlT_T0_E_clISt17integral_constantIbLb1EES10_EEDaSV_SW_EUlSV_E_NS1_11comp_targetILNS1_3genE2ELNS1_11target_archE906ELNS1_3gpuE6ELNS1_3repE0EEENS1_30default_config_static_selectorELNS0_4arch9wavefront6targetE0EEEvT1_.has_recursion, 0
	.set _ZN7rocprim17ROCPRIM_400000_NS6detail17trampoline_kernelINS0_14default_configENS1_27scan_by_key_config_selectorIllEEZZNS1_16scan_by_key_implILNS1_25lookback_scan_determinismE0ELb0ES3_N6thrust23THRUST_200600_302600_NS16reverse_iteratorIPKlEESD_NSA_IPlEElN6hipcub16HIPCUB_304000_NS3MaxENSH_8EqualityElEE10hipError_tPvRmT2_T3_T4_T5_mT6_T7_P12ihipStream_tbENKUlT_T0_E_clISt17integral_constantIbLb1EES10_EEDaSV_SW_EUlSV_E_NS1_11comp_targetILNS1_3genE2ELNS1_11target_archE906ELNS1_3gpuE6ELNS1_3repE0EEENS1_30default_config_static_selectorELNS0_4arch9wavefront6targetE0EEEvT1_.has_indirect_call, 0
	.section	.AMDGPU.csdata,"",@progbits
; Kernel info:
; codeLenInByte = 0
; TotalNumSgprs: 0
; NumVgprs: 0
; ScratchSize: 0
; MemoryBound: 0
; FloatMode: 240
; IeeeMode: 1
; LDSByteSize: 0 bytes/workgroup (compile time only)
; SGPRBlocks: 0
; VGPRBlocks: 0
; NumSGPRsForWavesPerEU: 1
; NumVGPRsForWavesPerEU: 1
; NamedBarCnt: 0
; Occupancy: 16
; WaveLimiterHint : 0
; COMPUTE_PGM_RSRC2:SCRATCH_EN: 0
; COMPUTE_PGM_RSRC2:USER_SGPR: 2
; COMPUTE_PGM_RSRC2:TRAP_HANDLER: 0
; COMPUTE_PGM_RSRC2:TGID_X_EN: 1
; COMPUTE_PGM_RSRC2:TGID_Y_EN: 0
; COMPUTE_PGM_RSRC2:TGID_Z_EN: 0
; COMPUTE_PGM_RSRC2:TIDIG_COMP_CNT: 0
	.section	.text._ZN7rocprim17ROCPRIM_400000_NS6detail17trampoline_kernelINS0_14default_configENS1_27scan_by_key_config_selectorIllEEZZNS1_16scan_by_key_implILNS1_25lookback_scan_determinismE0ELb0ES3_N6thrust23THRUST_200600_302600_NS16reverse_iteratorIPKlEESD_NSA_IPlEElN6hipcub16HIPCUB_304000_NS3MaxENSH_8EqualityElEE10hipError_tPvRmT2_T3_T4_T5_mT6_T7_P12ihipStream_tbENKUlT_T0_E_clISt17integral_constantIbLb1EES10_EEDaSV_SW_EUlSV_E_NS1_11comp_targetILNS1_3genE10ELNS1_11target_archE1200ELNS1_3gpuE4ELNS1_3repE0EEENS1_30default_config_static_selectorELNS0_4arch9wavefront6targetE0EEEvT1_,"axG",@progbits,_ZN7rocprim17ROCPRIM_400000_NS6detail17trampoline_kernelINS0_14default_configENS1_27scan_by_key_config_selectorIllEEZZNS1_16scan_by_key_implILNS1_25lookback_scan_determinismE0ELb0ES3_N6thrust23THRUST_200600_302600_NS16reverse_iteratorIPKlEESD_NSA_IPlEElN6hipcub16HIPCUB_304000_NS3MaxENSH_8EqualityElEE10hipError_tPvRmT2_T3_T4_T5_mT6_T7_P12ihipStream_tbENKUlT_T0_E_clISt17integral_constantIbLb1EES10_EEDaSV_SW_EUlSV_E_NS1_11comp_targetILNS1_3genE10ELNS1_11target_archE1200ELNS1_3gpuE4ELNS1_3repE0EEENS1_30default_config_static_selectorELNS0_4arch9wavefront6targetE0EEEvT1_,comdat
	.protected	_ZN7rocprim17ROCPRIM_400000_NS6detail17trampoline_kernelINS0_14default_configENS1_27scan_by_key_config_selectorIllEEZZNS1_16scan_by_key_implILNS1_25lookback_scan_determinismE0ELb0ES3_N6thrust23THRUST_200600_302600_NS16reverse_iteratorIPKlEESD_NSA_IPlEElN6hipcub16HIPCUB_304000_NS3MaxENSH_8EqualityElEE10hipError_tPvRmT2_T3_T4_T5_mT6_T7_P12ihipStream_tbENKUlT_T0_E_clISt17integral_constantIbLb1EES10_EEDaSV_SW_EUlSV_E_NS1_11comp_targetILNS1_3genE10ELNS1_11target_archE1200ELNS1_3gpuE4ELNS1_3repE0EEENS1_30default_config_static_selectorELNS0_4arch9wavefront6targetE0EEEvT1_ ; -- Begin function _ZN7rocprim17ROCPRIM_400000_NS6detail17trampoline_kernelINS0_14default_configENS1_27scan_by_key_config_selectorIllEEZZNS1_16scan_by_key_implILNS1_25lookback_scan_determinismE0ELb0ES3_N6thrust23THRUST_200600_302600_NS16reverse_iteratorIPKlEESD_NSA_IPlEElN6hipcub16HIPCUB_304000_NS3MaxENSH_8EqualityElEE10hipError_tPvRmT2_T3_T4_T5_mT6_T7_P12ihipStream_tbENKUlT_T0_E_clISt17integral_constantIbLb1EES10_EEDaSV_SW_EUlSV_E_NS1_11comp_targetILNS1_3genE10ELNS1_11target_archE1200ELNS1_3gpuE4ELNS1_3repE0EEENS1_30default_config_static_selectorELNS0_4arch9wavefront6targetE0EEEvT1_
	.globl	_ZN7rocprim17ROCPRIM_400000_NS6detail17trampoline_kernelINS0_14default_configENS1_27scan_by_key_config_selectorIllEEZZNS1_16scan_by_key_implILNS1_25lookback_scan_determinismE0ELb0ES3_N6thrust23THRUST_200600_302600_NS16reverse_iteratorIPKlEESD_NSA_IPlEElN6hipcub16HIPCUB_304000_NS3MaxENSH_8EqualityElEE10hipError_tPvRmT2_T3_T4_T5_mT6_T7_P12ihipStream_tbENKUlT_T0_E_clISt17integral_constantIbLb1EES10_EEDaSV_SW_EUlSV_E_NS1_11comp_targetILNS1_3genE10ELNS1_11target_archE1200ELNS1_3gpuE4ELNS1_3repE0EEENS1_30default_config_static_selectorELNS0_4arch9wavefront6targetE0EEEvT1_
	.p2align	8
	.type	_ZN7rocprim17ROCPRIM_400000_NS6detail17trampoline_kernelINS0_14default_configENS1_27scan_by_key_config_selectorIllEEZZNS1_16scan_by_key_implILNS1_25lookback_scan_determinismE0ELb0ES3_N6thrust23THRUST_200600_302600_NS16reverse_iteratorIPKlEESD_NSA_IPlEElN6hipcub16HIPCUB_304000_NS3MaxENSH_8EqualityElEE10hipError_tPvRmT2_T3_T4_T5_mT6_T7_P12ihipStream_tbENKUlT_T0_E_clISt17integral_constantIbLb1EES10_EEDaSV_SW_EUlSV_E_NS1_11comp_targetILNS1_3genE10ELNS1_11target_archE1200ELNS1_3gpuE4ELNS1_3repE0EEENS1_30default_config_static_selectorELNS0_4arch9wavefront6targetE0EEEvT1_,@function
_ZN7rocprim17ROCPRIM_400000_NS6detail17trampoline_kernelINS0_14default_configENS1_27scan_by_key_config_selectorIllEEZZNS1_16scan_by_key_implILNS1_25lookback_scan_determinismE0ELb0ES3_N6thrust23THRUST_200600_302600_NS16reverse_iteratorIPKlEESD_NSA_IPlEElN6hipcub16HIPCUB_304000_NS3MaxENSH_8EqualityElEE10hipError_tPvRmT2_T3_T4_T5_mT6_T7_P12ihipStream_tbENKUlT_T0_E_clISt17integral_constantIbLb1EES10_EEDaSV_SW_EUlSV_E_NS1_11comp_targetILNS1_3genE10ELNS1_11target_archE1200ELNS1_3gpuE4ELNS1_3repE0EEENS1_30default_config_static_selectorELNS0_4arch9wavefront6targetE0EEEvT1_: ; @_ZN7rocprim17ROCPRIM_400000_NS6detail17trampoline_kernelINS0_14default_configENS1_27scan_by_key_config_selectorIllEEZZNS1_16scan_by_key_implILNS1_25lookback_scan_determinismE0ELb0ES3_N6thrust23THRUST_200600_302600_NS16reverse_iteratorIPKlEESD_NSA_IPlEElN6hipcub16HIPCUB_304000_NS3MaxENSH_8EqualityElEE10hipError_tPvRmT2_T3_T4_T5_mT6_T7_P12ihipStream_tbENKUlT_T0_E_clISt17integral_constantIbLb1EES10_EEDaSV_SW_EUlSV_E_NS1_11comp_targetILNS1_3genE10ELNS1_11target_archE1200ELNS1_3gpuE4ELNS1_3repE0EEENS1_30default_config_static_selectorELNS0_4arch9wavefront6targetE0EEEvT1_
; %bb.0:
	.section	.rodata,"a",@progbits
	.p2align	6, 0x0
	.amdhsa_kernel _ZN7rocprim17ROCPRIM_400000_NS6detail17trampoline_kernelINS0_14default_configENS1_27scan_by_key_config_selectorIllEEZZNS1_16scan_by_key_implILNS1_25lookback_scan_determinismE0ELb0ES3_N6thrust23THRUST_200600_302600_NS16reverse_iteratorIPKlEESD_NSA_IPlEElN6hipcub16HIPCUB_304000_NS3MaxENSH_8EqualityElEE10hipError_tPvRmT2_T3_T4_T5_mT6_T7_P12ihipStream_tbENKUlT_T0_E_clISt17integral_constantIbLb1EES10_EEDaSV_SW_EUlSV_E_NS1_11comp_targetILNS1_3genE10ELNS1_11target_archE1200ELNS1_3gpuE4ELNS1_3repE0EEENS1_30default_config_static_selectorELNS0_4arch9wavefront6targetE0EEEvT1_
		.amdhsa_group_segment_fixed_size 0
		.amdhsa_private_segment_fixed_size 0
		.amdhsa_kernarg_size 136
		.amdhsa_user_sgpr_count 2
		.amdhsa_user_sgpr_dispatch_ptr 0
		.amdhsa_user_sgpr_queue_ptr 0
		.amdhsa_user_sgpr_kernarg_segment_ptr 1
		.amdhsa_user_sgpr_dispatch_id 0
		.amdhsa_user_sgpr_kernarg_preload_length 0
		.amdhsa_user_sgpr_kernarg_preload_offset 0
		.amdhsa_user_sgpr_private_segment_size 0
		.amdhsa_wavefront_size32 1
		.amdhsa_uses_dynamic_stack 0
		.amdhsa_enable_private_segment 0
		.amdhsa_system_sgpr_workgroup_id_x 1
		.amdhsa_system_sgpr_workgroup_id_y 0
		.amdhsa_system_sgpr_workgroup_id_z 0
		.amdhsa_system_sgpr_workgroup_info 0
		.amdhsa_system_vgpr_workitem_id 0
		.amdhsa_next_free_vgpr 1
		.amdhsa_next_free_sgpr 1
		.amdhsa_named_barrier_count 0
		.amdhsa_reserve_vcc 0
		.amdhsa_float_round_mode_32 0
		.amdhsa_float_round_mode_16_64 0
		.amdhsa_float_denorm_mode_32 3
		.amdhsa_float_denorm_mode_16_64 3
		.amdhsa_fp16_overflow 0
		.amdhsa_memory_ordered 1
		.amdhsa_forward_progress 1
		.amdhsa_inst_pref_size 0
		.amdhsa_round_robin_scheduling 0
		.amdhsa_exception_fp_ieee_invalid_op 0
		.amdhsa_exception_fp_denorm_src 0
		.amdhsa_exception_fp_ieee_div_zero 0
		.amdhsa_exception_fp_ieee_overflow 0
		.amdhsa_exception_fp_ieee_underflow 0
		.amdhsa_exception_fp_ieee_inexact 0
		.amdhsa_exception_int_div_zero 0
	.end_amdhsa_kernel
	.section	.text._ZN7rocprim17ROCPRIM_400000_NS6detail17trampoline_kernelINS0_14default_configENS1_27scan_by_key_config_selectorIllEEZZNS1_16scan_by_key_implILNS1_25lookback_scan_determinismE0ELb0ES3_N6thrust23THRUST_200600_302600_NS16reverse_iteratorIPKlEESD_NSA_IPlEElN6hipcub16HIPCUB_304000_NS3MaxENSH_8EqualityElEE10hipError_tPvRmT2_T3_T4_T5_mT6_T7_P12ihipStream_tbENKUlT_T0_E_clISt17integral_constantIbLb1EES10_EEDaSV_SW_EUlSV_E_NS1_11comp_targetILNS1_3genE10ELNS1_11target_archE1200ELNS1_3gpuE4ELNS1_3repE0EEENS1_30default_config_static_selectorELNS0_4arch9wavefront6targetE0EEEvT1_,"axG",@progbits,_ZN7rocprim17ROCPRIM_400000_NS6detail17trampoline_kernelINS0_14default_configENS1_27scan_by_key_config_selectorIllEEZZNS1_16scan_by_key_implILNS1_25lookback_scan_determinismE0ELb0ES3_N6thrust23THRUST_200600_302600_NS16reverse_iteratorIPKlEESD_NSA_IPlEElN6hipcub16HIPCUB_304000_NS3MaxENSH_8EqualityElEE10hipError_tPvRmT2_T3_T4_T5_mT6_T7_P12ihipStream_tbENKUlT_T0_E_clISt17integral_constantIbLb1EES10_EEDaSV_SW_EUlSV_E_NS1_11comp_targetILNS1_3genE10ELNS1_11target_archE1200ELNS1_3gpuE4ELNS1_3repE0EEENS1_30default_config_static_selectorELNS0_4arch9wavefront6targetE0EEEvT1_,comdat
.Lfunc_end153:
	.size	_ZN7rocprim17ROCPRIM_400000_NS6detail17trampoline_kernelINS0_14default_configENS1_27scan_by_key_config_selectorIllEEZZNS1_16scan_by_key_implILNS1_25lookback_scan_determinismE0ELb0ES3_N6thrust23THRUST_200600_302600_NS16reverse_iteratorIPKlEESD_NSA_IPlEElN6hipcub16HIPCUB_304000_NS3MaxENSH_8EqualityElEE10hipError_tPvRmT2_T3_T4_T5_mT6_T7_P12ihipStream_tbENKUlT_T0_E_clISt17integral_constantIbLb1EES10_EEDaSV_SW_EUlSV_E_NS1_11comp_targetILNS1_3genE10ELNS1_11target_archE1200ELNS1_3gpuE4ELNS1_3repE0EEENS1_30default_config_static_selectorELNS0_4arch9wavefront6targetE0EEEvT1_, .Lfunc_end153-_ZN7rocprim17ROCPRIM_400000_NS6detail17trampoline_kernelINS0_14default_configENS1_27scan_by_key_config_selectorIllEEZZNS1_16scan_by_key_implILNS1_25lookback_scan_determinismE0ELb0ES3_N6thrust23THRUST_200600_302600_NS16reverse_iteratorIPKlEESD_NSA_IPlEElN6hipcub16HIPCUB_304000_NS3MaxENSH_8EqualityElEE10hipError_tPvRmT2_T3_T4_T5_mT6_T7_P12ihipStream_tbENKUlT_T0_E_clISt17integral_constantIbLb1EES10_EEDaSV_SW_EUlSV_E_NS1_11comp_targetILNS1_3genE10ELNS1_11target_archE1200ELNS1_3gpuE4ELNS1_3repE0EEENS1_30default_config_static_selectorELNS0_4arch9wavefront6targetE0EEEvT1_
                                        ; -- End function
	.set _ZN7rocprim17ROCPRIM_400000_NS6detail17trampoline_kernelINS0_14default_configENS1_27scan_by_key_config_selectorIllEEZZNS1_16scan_by_key_implILNS1_25lookback_scan_determinismE0ELb0ES3_N6thrust23THRUST_200600_302600_NS16reverse_iteratorIPKlEESD_NSA_IPlEElN6hipcub16HIPCUB_304000_NS3MaxENSH_8EqualityElEE10hipError_tPvRmT2_T3_T4_T5_mT6_T7_P12ihipStream_tbENKUlT_T0_E_clISt17integral_constantIbLb1EES10_EEDaSV_SW_EUlSV_E_NS1_11comp_targetILNS1_3genE10ELNS1_11target_archE1200ELNS1_3gpuE4ELNS1_3repE0EEENS1_30default_config_static_selectorELNS0_4arch9wavefront6targetE0EEEvT1_.num_vgpr, 0
	.set _ZN7rocprim17ROCPRIM_400000_NS6detail17trampoline_kernelINS0_14default_configENS1_27scan_by_key_config_selectorIllEEZZNS1_16scan_by_key_implILNS1_25lookback_scan_determinismE0ELb0ES3_N6thrust23THRUST_200600_302600_NS16reverse_iteratorIPKlEESD_NSA_IPlEElN6hipcub16HIPCUB_304000_NS3MaxENSH_8EqualityElEE10hipError_tPvRmT2_T3_T4_T5_mT6_T7_P12ihipStream_tbENKUlT_T0_E_clISt17integral_constantIbLb1EES10_EEDaSV_SW_EUlSV_E_NS1_11comp_targetILNS1_3genE10ELNS1_11target_archE1200ELNS1_3gpuE4ELNS1_3repE0EEENS1_30default_config_static_selectorELNS0_4arch9wavefront6targetE0EEEvT1_.num_agpr, 0
	.set _ZN7rocprim17ROCPRIM_400000_NS6detail17trampoline_kernelINS0_14default_configENS1_27scan_by_key_config_selectorIllEEZZNS1_16scan_by_key_implILNS1_25lookback_scan_determinismE0ELb0ES3_N6thrust23THRUST_200600_302600_NS16reverse_iteratorIPKlEESD_NSA_IPlEElN6hipcub16HIPCUB_304000_NS3MaxENSH_8EqualityElEE10hipError_tPvRmT2_T3_T4_T5_mT6_T7_P12ihipStream_tbENKUlT_T0_E_clISt17integral_constantIbLb1EES10_EEDaSV_SW_EUlSV_E_NS1_11comp_targetILNS1_3genE10ELNS1_11target_archE1200ELNS1_3gpuE4ELNS1_3repE0EEENS1_30default_config_static_selectorELNS0_4arch9wavefront6targetE0EEEvT1_.numbered_sgpr, 0
	.set _ZN7rocprim17ROCPRIM_400000_NS6detail17trampoline_kernelINS0_14default_configENS1_27scan_by_key_config_selectorIllEEZZNS1_16scan_by_key_implILNS1_25lookback_scan_determinismE0ELb0ES3_N6thrust23THRUST_200600_302600_NS16reverse_iteratorIPKlEESD_NSA_IPlEElN6hipcub16HIPCUB_304000_NS3MaxENSH_8EqualityElEE10hipError_tPvRmT2_T3_T4_T5_mT6_T7_P12ihipStream_tbENKUlT_T0_E_clISt17integral_constantIbLb1EES10_EEDaSV_SW_EUlSV_E_NS1_11comp_targetILNS1_3genE10ELNS1_11target_archE1200ELNS1_3gpuE4ELNS1_3repE0EEENS1_30default_config_static_selectorELNS0_4arch9wavefront6targetE0EEEvT1_.num_named_barrier, 0
	.set _ZN7rocprim17ROCPRIM_400000_NS6detail17trampoline_kernelINS0_14default_configENS1_27scan_by_key_config_selectorIllEEZZNS1_16scan_by_key_implILNS1_25lookback_scan_determinismE0ELb0ES3_N6thrust23THRUST_200600_302600_NS16reverse_iteratorIPKlEESD_NSA_IPlEElN6hipcub16HIPCUB_304000_NS3MaxENSH_8EqualityElEE10hipError_tPvRmT2_T3_T4_T5_mT6_T7_P12ihipStream_tbENKUlT_T0_E_clISt17integral_constantIbLb1EES10_EEDaSV_SW_EUlSV_E_NS1_11comp_targetILNS1_3genE10ELNS1_11target_archE1200ELNS1_3gpuE4ELNS1_3repE0EEENS1_30default_config_static_selectorELNS0_4arch9wavefront6targetE0EEEvT1_.private_seg_size, 0
	.set _ZN7rocprim17ROCPRIM_400000_NS6detail17trampoline_kernelINS0_14default_configENS1_27scan_by_key_config_selectorIllEEZZNS1_16scan_by_key_implILNS1_25lookback_scan_determinismE0ELb0ES3_N6thrust23THRUST_200600_302600_NS16reverse_iteratorIPKlEESD_NSA_IPlEElN6hipcub16HIPCUB_304000_NS3MaxENSH_8EqualityElEE10hipError_tPvRmT2_T3_T4_T5_mT6_T7_P12ihipStream_tbENKUlT_T0_E_clISt17integral_constantIbLb1EES10_EEDaSV_SW_EUlSV_E_NS1_11comp_targetILNS1_3genE10ELNS1_11target_archE1200ELNS1_3gpuE4ELNS1_3repE0EEENS1_30default_config_static_selectorELNS0_4arch9wavefront6targetE0EEEvT1_.uses_vcc, 0
	.set _ZN7rocprim17ROCPRIM_400000_NS6detail17trampoline_kernelINS0_14default_configENS1_27scan_by_key_config_selectorIllEEZZNS1_16scan_by_key_implILNS1_25lookback_scan_determinismE0ELb0ES3_N6thrust23THRUST_200600_302600_NS16reverse_iteratorIPKlEESD_NSA_IPlEElN6hipcub16HIPCUB_304000_NS3MaxENSH_8EqualityElEE10hipError_tPvRmT2_T3_T4_T5_mT6_T7_P12ihipStream_tbENKUlT_T0_E_clISt17integral_constantIbLb1EES10_EEDaSV_SW_EUlSV_E_NS1_11comp_targetILNS1_3genE10ELNS1_11target_archE1200ELNS1_3gpuE4ELNS1_3repE0EEENS1_30default_config_static_selectorELNS0_4arch9wavefront6targetE0EEEvT1_.uses_flat_scratch, 0
	.set _ZN7rocprim17ROCPRIM_400000_NS6detail17trampoline_kernelINS0_14default_configENS1_27scan_by_key_config_selectorIllEEZZNS1_16scan_by_key_implILNS1_25lookback_scan_determinismE0ELb0ES3_N6thrust23THRUST_200600_302600_NS16reverse_iteratorIPKlEESD_NSA_IPlEElN6hipcub16HIPCUB_304000_NS3MaxENSH_8EqualityElEE10hipError_tPvRmT2_T3_T4_T5_mT6_T7_P12ihipStream_tbENKUlT_T0_E_clISt17integral_constantIbLb1EES10_EEDaSV_SW_EUlSV_E_NS1_11comp_targetILNS1_3genE10ELNS1_11target_archE1200ELNS1_3gpuE4ELNS1_3repE0EEENS1_30default_config_static_selectorELNS0_4arch9wavefront6targetE0EEEvT1_.has_dyn_sized_stack, 0
	.set _ZN7rocprim17ROCPRIM_400000_NS6detail17trampoline_kernelINS0_14default_configENS1_27scan_by_key_config_selectorIllEEZZNS1_16scan_by_key_implILNS1_25lookback_scan_determinismE0ELb0ES3_N6thrust23THRUST_200600_302600_NS16reverse_iteratorIPKlEESD_NSA_IPlEElN6hipcub16HIPCUB_304000_NS3MaxENSH_8EqualityElEE10hipError_tPvRmT2_T3_T4_T5_mT6_T7_P12ihipStream_tbENKUlT_T0_E_clISt17integral_constantIbLb1EES10_EEDaSV_SW_EUlSV_E_NS1_11comp_targetILNS1_3genE10ELNS1_11target_archE1200ELNS1_3gpuE4ELNS1_3repE0EEENS1_30default_config_static_selectorELNS0_4arch9wavefront6targetE0EEEvT1_.has_recursion, 0
	.set _ZN7rocprim17ROCPRIM_400000_NS6detail17trampoline_kernelINS0_14default_configENS1_27scan_by_key_config_selectorIllEEZZNS1_16scan_by_key_implILNS1_25lookback_scan_determinismE0ELb0ES3_N6thrust23THRUST_200600_302600_NS16reverse_iteratorIPKlEESD_NSA_IPlEElN6hipcub16HIPCUB_304000_NS3MaxENSH_8EqualityElEE10hipError_tPvRmT2_T3_T4_T5_mT6_T7_P12ihipStream_tbENKUlT_T0_E_clISt17integral_constantIbLb1EES10_EEDaSV_SW_EUlSV_E_NS1_11comp_targetILNS1_3genE10ELNS1_11target_archE1200ELNS1_3gpuE4ELNS1_3repE0EEENS1_30default_config_static_selectorELNS0_4arch9wavefront6targetE0EEEvT1_.has_indirect_call, 0
	.section	.AMDGPU.csdata,"",@progbits
; Kernel info:
; codeLenInByte = 0
; TotalNumSgprs: 0
; NumVgprs: 0
; ScratchSize: 0
; MemoryBound: 0
; FloatMode: 240
; IeeeMode: 1
; LDSByteSize: 0 bytes/workgroup (compile time only)
; SGPRBlocks: 0
; VGPRBlocks: 0
; NumSGPRsForWavesPerEU: 1
; NumVGPRsForWavesPerEU: 1
; NamedBarCnt: 0
; Occupancy: 16
; WaveLimiterHint : 0
; COMPUTE_PGM_RSRC2:SCRATCH_EN: 0
; COMPUTE_PGM_RSRC2:USER_SGPR: 2
; COMPUTE_PGM_RSRC2:TRAP_HANDLER: 0
; COMPUTE_PGM_RSRC2:TGID_X_EN: 1
; COMPUTE_PGM_RSRC2:TGID_Y_EN: 0
; COMPUTE_PGM_RSRC2:TGID_Z_EN: 0
; COMPUTE_PGM_RSRC2:TIDIG_COMP_CNT: 0
	.section	.text._ZN7rocprim17ROCPRIM_400000_NS6detail17trampoline_kernelINS0_14default_configENS1_27scan_by_key_config_selectorIllEEZZNS1_16scan_by_key_implILNS1_25lookback_scan_determinismE0ELb0ES3_N6thrust23THRUST_200600_302600_NS16reverse_iteratorIPKlEESD_NSA_IPlEElN6hipcub16HIPCUB_304000_NS3MaxENSH_8EqualityElEE10hipError_tPvRmT2_T3_T4_T5_mT6_T7_P12ihipStream_tbENKUlT_T0_E_clISt17integral_constantIbLb1EES10_EEDaSV_SW_EUlSV_E_NS1_11comp_targetILNS1_3genE9ELNS1_11target_archE1100ELNS1_3gpuE3ELNS1_3repE0EEENS1_30default_config_static_selectorELNS0_4arch9wavefront6targetE0EEEvT1_,"axG",@progbits,_ZN7rocprim17ROCPRIM_400000_NS6detail17trampoline_kernelINS0_14default_configENS1_27scan_by_key_config_selectorIllEEZZNS1_16scan_by_key_implILNS1_25lookback_scan_determinismE0ELb0ES3_N6thrust23THRUST_200600_302600_NS16reverse_iteratorIPKlEESD_NSA_IPlEElN6hipcub16HIPCUB_304000_NS3MaxENSH_8EqualityElEE10hipError_tPvRmT2_T3_T4_T5_mT6_T7_P12ihipStream_tbENKUlT_T0_E_clISt17integral_constantIbLb1EES10_EEDaSV_SW_EUlSV_E_NS1_11comp_targetILNS1_3genE9ELNS1_11target_archE1100ELNS1_3gpuE3ELNS1_3repE0EEENS1_30default_config_static_selectorELNS0_4arch9wavefront6targetE0EEEvT1_,comdat
	.protected	_ZN7rocprim17ROCPRIM_400000_NS6detail17trampoline_kernelINS0_14default_configENS1_27scan_by_key_config_selectorIllEEZZNS1_16scan_by_key_implILNS1_25lookback_scan_determinismE0ELb0ES3_N6thrust23THRUST_200600_302600_NS16reverse_iteratorIPKlEESD_NSA_IPlEElN6hipcub16HIPCUB_304000_NS3MaxENSH_8EqualityElEE10hipError_tPvRmT2_T3_T4_T5_mT6_T7_P12ihipStream_tbENKUlT_T0_E_clISt17integral_constantIbLb1EES10_EEDaSV_SW_EUlSV_E_NS1_11comp_targetILNS1_3genE9ELNS1_11target_archE1100ELNS1_3gpuE3ELNS1_3repE0EEENS1_30default_config_static_selectorELNS0_4arch9wavefront6targetE0EEEvT1_ ; -- Begin function _ZN7rocprim17ROCPRIM_400000_NS6detail17trampoline_kernelINS0_14default_configENS1_27scan_by_key_config_selectorIllEEZZNS1_16scan_by_key_implILNS1_25lookback_scan_determinismE0ELb0ES3_N6thrust23THRUST_200600_302600_NS16reverse_iteratorIPKlEESD_NSA_IPlEElN6hipcub16HIPCUB_304000_NS3MaxENSH_8EqualityElEE10hipError_tPvRmT2_T3_T4_T5_mT6_T7_P12ihipStream_tbENKUlT_T0_E_clISt17integral_constantIbLb1EES10_EEDaSV_SW_EUlSV_E_NS1_11comp_targetILNS1_3genE9ELNS1_11target_archE1100ELNS1_3gpuE3ELNS1_3repE0EEENS1_30default_config_static_selectorELNS0_4arch9wavefront6targetE0EEEvT1_
	.globl	_ZN7rocprim17ROCPRIM_400000_NS6detail17trampoline_kernelINS0_14default_configENS1_27scan_by_key_config_selectorIllEEZZNS1_16scan_by_key_implILNS1_25lookback_scan_determinismE0ELb0ES3_N6thrust23THRUST_200600_302600_NS16reverse_iteratorIPKlEESD_NSA_IPlEElN6hipcub16HIPCUB_304000_NS3MaxENSH_8EqualityElEE10hipError_tPvRmT2_T3_T4_T5_mT6_T7_P12ihipStream_tbENKUlT_T0_E_clISt17integral_constantIbLb1EES10_EEDaSV_SW_EUlSV_E_NS1_11comp_targetILNS1_3genE9ELNS1_11target_archE1100ELNS1_3gpuE3ELNS1_3repE0EEENS1_30default_config_static_selectorELNS0_4arch9wavefront6targetE0EEEvT1_
	.p2align	8
	.type	_ZN7rocprim17ROCPRIM_400000_NS6detail17trampoline_kernelINS0_14default_configENS1_27scan_by_key_config_selectorIllEEZZNS1_16scan_by_key_implILNS1_25lookback_scan_determinismE0ELb0ES3_N6thrust23THRUST_200600_302600_NS16reverse_iteratorIPKlEESD_NSA_IPlEElN6hipcub16HIPCUB_304000_NS3MaxENSH_8EqualityElEE10hipError_tPvRmT2_T3_T4_T5_mT6_T7_P12ihipStream_tbENKUlT_T0_E_clISt17integral_constantIbLb1EES10_EEDaSV_SW_EUlSV_E_NS1_11comp_targetILNS1_3genE9ELNS1_11target_archE1100ELNS1_3gpuE3ELNS1_3repE0EEENS1_30default_config_static_selectorELNS0_4arch9wavefront6targetE0EEEvT1_,@function
_ZN7rocprim17ROCPRIM_400000_NS6detail17trampoline_kernelINS0_14default_configENS1_27scan_by_key_config_selectorIllEEZZNS1_16scan_by_key_implILNS1_25lookback_scan_determinismE0ELb0ES3_N6thrust23THRUST_200600_302600_NS16reverse_iteratorIPKlEESD_NSA_IPlEElN6hipcub16HIPCUB_304000_NS3MaxENSH_8EqualityElEE10hipError_tPvRmT2_T3_T4_T5_mT6_T7_P12ihipStream_tbENKUlT_T0_E_clISt17integral_constantIbLb1EES10_EEDaSV_SW_EUlSV_E_NS1_11comp_targetILNS1_3genE9ELNS1_11target_archE1100ELNS1_3gpuE3ELNS1_3repE0EEENS1_30default_config_static_selectorELNS0_4arch9wavefront6targetE0EEEvT1_: ; @_ZN7rocprim17ROCPRIM_400000_NS6detail17trampoline_kernelINS0_14default_configENS1_27scan_by_key_config_selectorIllEEZZNS1_16scan_by_key_implILNS1_25lookback_scan_determinismE0ELb0ES3_N6thrust23THRUST_200600_302600_NS16reverse_iteratorIPKlEESD_NSA_IPlEElN6hipcub16HIPCUB_304000_NS3MaxENSH_8EqualityElEE10hipError_tPvRmT2_T3_T4_T5_mT6_T7_P12ihipStream_tbENKUlT_T0_E_clISt17integral_constantIbLb1EES10_EEDaSV_SW_EUlSV_E_NS1_11comp_targetILNS1_3genE9ELNS1_11target_archE1100ELNS1_3gpuE3ELNS1_3repE0EEENS1_30default_config_static_selectorELNS0_4arch9wavefront6targetE0EEEvT1_
; %bb.0:
	.section	.rodata,"a",@progbits
	.p2align	6, 0x0
	.amdhsa_kernel _ZN7rocprim17ROCPRIM_400000_NS6detail17trampoline_kernelINS0_14default_configENS1_27scan_by_key_config_selectorIllEEZZNS1_16scan_by_key_implILNS1_25lookback_scan_determinismE0ELb0ES3_N6thrust23THRUST_200600_302600_NS16reverse_iteratorIPKlEESD_NSA_IPlEElN6hipcub16HIPCUB_304000_NS3MaxENSH_8EqualityElEE10hipError_tPvRmT2_T3_T4_T5_mT6_T7_P12ihipStream_tbENKUlT_T0_E_clISt17integral_constantIbLb1EES10_EEDaSV_SW_EUlSV_E_NS1_11comp_targetILNS1_3genE9ELNS1_11target_archE1100ELNS1_3gpuE3ELNS1_3repE0EEENS1_30default_config_static_selectorELNS0_4arch9wavefront6targetE0EEEvT1_
		.amdhsa_group_segment_fixed_size 0
		.amdhsa_private_segment_fixed_size 0
		.amdhsa_kernarg_size 136
		.amdhsa_user_sgpr_count 2
		.amdhsa_user_sgpr_dispatch_ptr 0
		.amdhsa_user_sgpr_queue_ptr 0
		.amdhsa_user_sgpr_kernarg_segment_ptr 1
		.amdhsa_user_sgpr_dispatch_id 0
		.amdhsa_user_sgpr_kernarg_preload_length 0
		.amdhsa_user_sgpr_kernarg_preload_offset 0
		.amdhsa_user_sgpr_private_segment_size 0
		.amdhsa_wavefront_size32 1
		.amdhsa_uses_dynamic_stack 0
		.amdhsa_enable_private_segment 0
		.amdhsa_system_sgpr_workgroup_id_x 1
		.amdhsa_system_sgpr_workgroup_id_y 0
		.amdhsa_system_sgpr_workgroup_id_z 0
		.amdhsa_system_sgpr_workgroup_info 0
		.amdhsa_system_vgpr_workitem_id 0
		.amdhsa_next_free_vgpr 1
		.amdhsa_next_free_sgpr 1
		.amdhsa_named_barrier_count 0
		.amdhsa_reserve_vcc 0
		.amdhsa_float_round_mode_32 0
		.amdhsa_float_round_mode_16_64 0
		.amdhsa_float_denorm_mode_32 3
		.amdhsa_float_denorm_mode_16_64 3
		.amdhsa_fp16_overflow 0
		.amdhsa_memory_ordered 1
		.amdhsa_forward_progress 1
		.amdhsa_inst_pref_size 0
		.amdhsa_round_robin_scheduling 0
		.amdhsa_exception_fp_ieee_invalid_op 0
		.amdhsa_exception_fp_denorm_src 0
		.amdhsa_exception_fp_ieee_div_zero 0
		.amdhsa_exception_fp_ieee_overflow 0
		.amdhsa_exception_fp_ieee_underflow 0
		.amdhsa_exception_fp_ieee_inexact 0
		.amdhsa_exception_int_div_zero 0
	.end_amdhsa_kernel
	.section	.text._ZN7rocprim17ROCPRIM_400000_NS6detail17trampoline_kernelINS0_14default_configENS1_27scan_by_key_config_selectorIllEEZZNS1_16scan_by_key_implILNS1_25lookback_scan_determinismE0ELb0ES3_N6thrust23THRUST_200600_302600_NS16reverse_iteratorIPKlEESD_NSA_IPlEElN6hipcub16HIPCUB_304000_NS3MaxENSH_8EqualityElEE10hipError_tPvRmT2_T3_T4_T5_mT6_T7_P12ihipStream_tbENKUlT_T0_E_clISt17integral_constantIbLb1EES10_EEDaSV_SW_EUlSV_E_NS1_11comp_targetILNS1_3genE9ELNS1_11target_archE1100ELNS1_3gpuE3ELNS1_3repE0EEENS1_30default_config_static_selectorELNS0_4arch9wavefront6targetE0EEEvT1_,"axG",@progbits,_ZN7rocprim17ROCPRIM_400000_NS6detail17trampoline_kernelINS0_14default_configENS1_27scan_by_key_config_selectorIllEEZZNS1_16scan_by_key_implILNS1_25lookback_scan_determinismE0ELb0ES3_N6thrust23THRUST_200600_302600_NS16reverse_iteratorIPKlEESD_NSA_IPlEElN6hipcub16HIPCUB_304000_NS3MaxENSH_8EqualityElEE10hipError_tPvRmT2_T3_T4_T5_mT6_T7_P12ihipStream_tbENKUlT_T0_E_clISt17integral_constantIbLb1EES10_EEDaSV_SW_EUlSV_E_NS1_11comp_targetILNS1_3genE9ELNS1_11target_archE1100ELNS1_3gpuE3ELNS1_3repE0EEENS1_30default_config_static_selectorELNS0_4arch9wavefront6targetE0EEEvT1_,comdat
.Lfunc_end154:
	.size	_ZN7rocprim17ROCPRIM_400000_NS6detail17trampoline_kernelINS0_14default_configENS1_27scan_by_key_config_selectorIllEEZZNS1_16scan_by_key_implILNS1_25lookback_scan_determinismE0ELb0ES3_N6thrust23THRUST_200600_302600_NS16reverse_iteratorIPKlEESD_NSA_IPlEElN6hipcub16HIPCUB_304000_NS3MaxENSH_8EqualityElEE10hipError_tPvRmT2_T3_T4_T5_mT6_T7_P12ihipStream_tbENKUlT_T0_E_clISt17integral_constantIbLb1EES10_EEDaSV_SW_EUlSV_E_NS1_11comp_targetILNS1_3genE9ELNS1_11target_archE1100ELNS1_3gpuE3ELNS1_3repE0EEENS1_30default_config_static_selectorELNS0_4arch9wavefront6targetE0EEEvT1_, .Lfunc_end154-_ZN7rocprim17ROCPRIM_400000_NS6detail17trampoline_kernelINS0_14default_configENS1_27scan_by_key_config_selectorIllEEZZNS1_16scan_by_key_implILNS1_25lookback_scan_determinismE0ELb0ES3_N6thrust23THRUST_200600_302600_NS16reverse_iteratorIPKlEESD_NSA_IPlEElN6hipcub16HIPCUB_304000_NS3MaxENSH_8EqualityElEE10hipError_tPvRmT2_T3_T4_T5_mT6_T7_P12ihipStream_tbENKUlT_T0_E_clISt17integral_constantIbLb1EES10_EEDaSV_SW_EUlSV_E_NS1_11comp_targetILNS1_3genE9ELNS1_11target_archE1100ELNS1_3gpuE3ELNS1_3repE0EEENS1_30default_config_static_selectorELNS0_4arch9wavefront6targetE0EEEvT1_
                                        ; -- End function
	.set _ZN7rocprim17ROCPRIM_400000_NS6detail17trampoline_kernelINS0_14default_configENS1_27scan_by_key_config_selectorIllEEZZNS1_16scan_by_key_implILNS1_25lookback_scan_determinismE0ELb0ES3_N6thrust23THRUST_200600_302600_NS16reverse_iteratorIPKlEESD_NSA_IPlEElN6hipcub16HIPCUB_304000_NS3MaxENSH_8EqualityElEE10hipError_tPvRmT2_T3_T4_T5_mT6_T7_P12ihipStream_tbENKUlT_T0_E_clISt17integral_constantIbLb1EES10_EEDaSV_SW_EUlSV_E_NS1_11comp_targetILNS1_3genE9ELNS1_11target_archE1100ELNS1_3gpuE3ELNS1_3repE0EEENS1_30default_config_static_selectorELNS0_4arch9wavefront6targetE0EEEvT1_.num_vgpr, 0
	.set _ZN7rocprim17ROCPRIM_400000_NS6detail17trampoline_kernelINS0_14default_configENS1_27scan_by_key_config_selectorIllEEZZNS1_16scan_by_key_implILNS1_25lookback_scan_determinismE0ELb0ES3_N6thrust23THRUST_200600_302600_NS16reverse_iteratorIPKlEESD_NSA_IPlEElN6hipcub16HIPCUB_304000_NS3MaxENSH_8EqualityElEE10hipError_tPvRmT2_T3_T4_T5_mT6_T7_P12ihipStream_tbENKUlT_T0_E_clISt17integral_constantIbLb1EES10_EEDaSV_SW_EUlSV_E_NS1_11comp_targetILNS1_3genE9ELNS1_11target_archE1100ELNS1_3gpuE3ELNS1_3repE0EEENS1_30default_config_static_selectorELNS0_4arch9wavefront6targetE0EEEvT1_.num_agpr, 0
	.set _ZN7rocprim17ROCPRIM_400000_NS6detail17trampoline_kernelINS0_14default_configENS1_27scan_by_key_config_selectorIllEEZZNS1_16scan_by_key_implILNS1_25lookback_scan_determinismE0ELb0ES3_N6thrust23THRUST_200600_302600_NS16reverse_iteratorIPKlEESD_NSA_IPlEElN6hipcub16HIPCUB_304000_NS3MaxENSH_8EqualityElEE10hipError_tPvRmT2_T3_T4_T5_mT6_T7_P12ihipStream_tbENKUlT_T0_E_clISt17integral_constantIbLb1EES10_EEDaSV_SW_EUlSV_E_NS1_11comp_targetILNS1_3genE9ELNS1_11target_archE1100ELNS1_3gpuE3ELNS1_3repE0EEENS1_30default_config_static_selectorELNS0_4arch9wavefront6targetE0EEEvT1_.numbered_sgpr, 0
	.set _ZN7rocprim17ROCPRIM_400000_NS6detail17trampoline_kernelINS0_14default_configENS1_27scan_by_key_config_selectorIllEEZZNS1_16scan_by_key_implILNS1_25lookback_scan_determinismE0ELb0ES3_N6thrust23THRUST_200600_302600_NS16reverse_iteratorIPKlEESD_NSA_IPlEElN6hipcub16HIPCUB_304000_NS3MaxENSH_8EqualityElEE10hipError_tPvRmT2_T3_T4_T5_mT6_T7_P12ihipStream_tbENKUlT_T0_E_clISt17integral_constantIbLb1EES10_EEDaSV_SW_EUlSV_E_NS1_11comp_targetILNS1_3genE9ELNS1_11target_archE1100ELNS1_3gpuE3ELNS1_3repE0EEENS1_30default_config_static_selectorELNS0_4arch9wavefront6targetE0EEEvT1_.num_named_barrier, 0
	.set _ZN7rocprim17ROCPRIM_400000_NS6detail17trampoline_kernelINS0_14default_configENS1_27scan_by_key_config_selectorIllEEZZNS1_16scan_by_key_implILNS1_25lookback_scan_determinismE0ELb0ES3_N6thrust23THRUST_200600_302600_NS16reverse_iteratorIPKlEESD_NSA_IPlEElN6hipcub16HIPCUB_304000_NS3MaxENSH_8EqualityElEE10hipError_tPvRmT2_T3_T4_T5_mT6_T7_P12ihipStream_tbENKUlT_T0_E_clISt17integral_constantIbLb1EES10_EEDaSV_SW_EUlSV_E_NS1_11comp_targetILNS1_3genE9ELNS1_11target_archE1100ELNS1_3gpuE3ELNS1_3repE0EEENS1_30default_config_static_selectorELNS0_4arch9wavefront6targetE0EEEvT1_.private_seg_size, 0
	.set _ZN7rocprim17ROCPRIM_400000_NS6detail17trampoline_kernelINS0_14default_configENS1_27scan_by_key_config_selectorIllEEZZNS1_16scan_by_key_implILNS1_25lookback_scan_determinismE0ELb0ES3_N6thrust23THRUST_200600_302600_NS16reverse_iteratorIPKlEESD_NSA_IPlEElN6hipcub16HIPCUB_304000_NS3MaxENSH_8EqualityElEE10hipError_tPvRmT2_T3_T4_T5_mT6_T7_P12ihipStream_tbENKUlT_T0_E_clISt17integral_constantIbLb1EES10_EEDaSV_SW_EUlSV_E_NS1_11comp_targetILNS1_3genE9ELNS1_11target_archE1100ELNS1_3gpuE3ELNS1_3repE0EEENS1_30default_config_static_selectorELNS0_4arch9wavefront6targetE0EEEvT1_.uses_vcc, 0
	.set _ZN7rocprim17ROCPRIM_400000_NS6detail17trampoline_kernelINS0_14default_configENS1_27scan_by_key_config_selectorIllEEZZNS1_16scan_by_key_implILNS1_25lookback_scan_determinismE0ELb0ES3_N6thrust23THRUST_200600_302600_NS16reverse_iteratorIPKlEESD_NSA_IPlEElN6hipcub16HIPCUB_304000_NS3MaxENSH_8EqualityElEE10hipError_tPvRmT2_T3_T4_T5_mT6_T7_P12ihipStream_tbENKUlT_T0_E_clISt17integral_constantIbLb1EES10_EEDaSV_SW_EUlSV_E_NS1_11comp_targetILNS1_3genE9ELNS1_11target_archE1100ELNS1_3gpuE3ELNS1_3repE0EEENS1_30default_config_static_selectorELNS0_4arch9wavefront6targetE0EEEvT1_.uses_flat_scratch, 0
	.set _ZN7rocprim17ROCPRIM_400000_NS6detail17trampoline_kernelINS0_14default_configENS1_27scan_by_key_config_selectorIllEEZZNS1_16scan_by_key_implILNS1_25lookback_scan_determinismE0ELb0ES3_N6thrust23THRUST_200600_302600_NS16reverse_iteratorIPKlEESD_NSA_IPlEElN6hipcub16HIPCUB_304000_NS3MaxENSH_8EqualityElEE10hipError_tPvRmT2_T3_T4_T5_mT6_T7_P12ihipStream_tbENKUlT_T0_E_clISt17integral_constantIbLb1EES10_EEDaSV_SW_EUlSV_E_NS1_11comp_targetILNS1_3genE9ELNS1_11target_archE1100ELNS1_3gpuE3ELNS1_3repE0EEENS1_30default_config_static_selectorELNS0_4arch9wavefront6targetE0EEEvT1_.has_dyn_sized_stack, 0
	.set _ZN7rocprim17ROCPRIM_400000_NS6detail17trampoline_kernelINS0_14default_configENS1_27scan_by_key_config_selectorIllEEZZNS1_16scan_by_key_implILNS1_25lookback_scan_determinismE0ELb0ES3_N6thrust23THRUST_200600_302600_NS16reverse_iteratorIPKlEESD_NSA_IPlEElN6hipcub16HIPCUB_304000_NS3MaxENSH_8EqualityElEE10hipError_tPvRmT2_T3_T4_T5_mT6_T7_P12ihipStream_tbENKUlT_T0_E_clISt17integral_constantIbLb1EES10_EEDaSV_SW_EUlSV_E_NS1_11comp_targetILNS1_3genE9ELNS1_11target_archE1100ELNS1_3gpuE3ELNS1_3repE0EEENS1_30default_config_static_selectorELNS0_4arch9wavefront6targetE0EEEvT1_.has_recursion, 0
	.set _ZN7rocprim17ROCPRIM_400000_NS6detail17trampoline_kernelINS0_14default_configENS1_27scan_by_key_config_selectorIllEEZZNS1_16scan_by_key_implILNS1_25lookback_scan_determinismE0ELb0ES3_N6thrust23THRUST_200600_302600_NS16reverse_iteratorIPKlEESD_NSA_IPlEElN6hipcub16HIPCUB_304000_NS3MaxENSH_8EqualityElEE10hipError_tPvRmT2_T3_T4_T5_mT6_T7_P12ihipStream_tbENKUlT_T0_E_clISt17integral_constantIbLb1EES10_EEDaSV_SW_EUlSV_E_NS1_11comp_targetILNS1_3genE9ELNS1_11target_archE1100ELNS1_3gpuE3ELNS1_3repE0EEENS1_30default_config_static_selectorELNS0_4arch9wavefront6targetE0EEEvT1_.has_indirect_call, 0
	.section	.AMDGPU.csdata,"",@progbits
; Kernel info:
; codeLenInByte = 0
; TotalNumSgprs: 0
; NumVgprs: 0
; ScratchSize: 0
; MemoryBound: 0
; FloatMode: 240
; IeeeMode: 1
; LDSByteSize: 0 bytes/workgroup (compile time only)
; SGPRBlocks: 0
; VGPRBlocks: 0
; NumSGPRsForWavesPerEU: 1
; NumVGPRsForWavesPerEU: 1
; NamedBarCnt: 0
; Occupancy: 16
; WaveLimiterHint : 0
; COMPUTE_PGM_RSRC2:SCRATCH_EN: 0
; COMPUTE_PGM_RSRC2:USER_SGPR: 2
; COMPUTE_PGM_RSRC2:TRAP_HANDLER: 0
; COMPUTE_PGM_RSRC2:TGID_X_EN: 1
; COMPUTE_PGM_RSRC2:TGID_Y_EN: 0
; COMPUTE_PGM_RSRC2:TGID_Z_EN: 0
; COMPUTE_PGM_RSRC2:TIDIG_COMP_CNT: 0
	.section	.text._ZN7rocprim17ROCPRIM_400000_NS6detail17trampoline_kernelINS0_14default_configENS1_27scan_by_key_config_selectorIllEEZZNS1_16scan_by_key_implILNS1_25lookback_scan_determinismE0ELb0ES3_N6thrust23THRUST_200600_302600_NS16reverse_iteratorIPKlEESD_NSA_IPlEElN6hipcub16HIPCUB_304000_NS3MaxENSH_8EqualityElEE10hipError_tPvRmT2_T3_T4_T5_mT6_T7_P12ihipStream_tbENKUlT_T0_E_clISt17integral_constantIbLb1EES10_EEDaSV_SW_EUlSV_E_NS1_11comp_targetILNS1_3genE8ELNS1_11target_archE1030ELNS1_3gpuE2ELNS1_3repE0EEENS1_30default_config_static_selectorELNS0_4arch9wavefront6targetE0EEEvT1_,"axG",@progbits,_ZN7rocprim17ROCPRIM_400000_NS6detail17trampoline_kernelINS0_14default_configENS1_27scan_by_key_config_selectorIllEEZZNS1_16scan_by_key_implILNS1_25lookback_scan_determinismE0ELb0ES3_N6thrust23THRUST_200600_302600_NS16reverse_iteratorIPKlEESD_NSA_IPlEElN6hipcub16HIPCUB_304000_NS3MaxENSH_8EqualityElEE10hipError_tPvRmT2_T3_T4_T5_mT6_T7_P12ihipStream_tbENKUlT_T0_E_clISt17integral_constantIbLb1EES10_EEDaSV_SW_EUlSV_E_NS1_11comp_targetILNS1_3genE8ELNS1_11target_archE1030ELNS1_3gpuE2ELNS1_3repE0EEENS1_30default_config_static_selectorELNS0_4arch9wavefront6targetE0EEEvT1_,comdat
	.protected	_ZN7rocprim17ROCPRIM_400000_NS6detail17trampoline_kernelINS0_14default_configENS1_27scan_by_key_config_selectorIllEEZZNS1_16scan_by_key_implILNS1_25lookback_scan_determinismE0ELb0ES3_N6thrust23THRUST_200600_302600_NS16reverse_iteratorIPKlEESD_NSA_IPlEElN6hipcub16HIPCUB_304000_NS3MaxENSH_8EqualityElEE10hipError_tPvRmT2_T3_T4_T5_mT6_T7_P12ihipStream_tbENKUlT_T0_E_clISt17integral_constantIbLb1EES10_EEDaSV_SW_EUlSV_E_NS1_11comp_targetILNS1_3genE8ELNS1_11target_archE1030ELNS1_3gpuE2ELNS1_3repE0EEENS1_30default_config_static_selectorELNS0_4arch9wavefront6targetE0EEEvT1_ ; -- Begin function _ZN7rocprim17ROCPRIM_400000_NS6detail17trampoline_kernelINS0_14default_configENS1_27scan_by_key_config_selectorIllEEZZNS1_16scan_by_key_implILNS1_25lookback_scan_determinismE0ELb0ES3_N6thrust23THRUST_200600_302600_NS16reverse_iteratorIPKlEESD_NSA_IPlEElN6hipcub16HIPCUB_304000_NS3MaxENSH_8EqualityElEE10hipError_tPvRmT2_T3_T4_T5_mT6_T7_P12ihipStream_tbENKUlT_T0_E_clISt17integral_constantIbLb1EES10_EEDaSV_SW_EUlSV_E_NS1_11comp_targetILNS1_3genE8ELNS1_11target_archE1030ELNS1_3gpuE2ELNS1_3repE0EEENS1_30default_config_static_selectorELNS0_4arch9wavefront6targetE0EEEvT1_
	.globl	_ZN7rocprim17ROCPRIM_400000_NS6detail17trampoline_kernelINS0_14default_configENS1_27scan_by_key_config_selectorIllEEZZNS1_16scan_by_key_implILNS1_25lookback_scan_determinismE0ELb0ES3_N6thrust23THRUST_200600_302600_NS16reverse_iteratorIPKlEESD_NSA_IPlEElN6hipcub16HIPCUB_304000_NS3MaxENSH_8EqualityElEE10hipError_tPvRmT2_T3_T4_T5_mT6_T7_P12ihipStream_tbENKUlT_T0_E_clISt17integral_constantIbLb1EES10_EEDaSV_SW_EUlSV_E_NS1_11comp_targetILNS1_3genE8ELNS1_11target_archE1030ELNS1_3gpuE2ELNS1_3repE0EEENS1_30default_config_static_selectorELNS0_4arch9wavefront6targetE0EEEvT1_
	.p2align	8
	.type	_ZN7rocprim17ROCPRIM_400000_NS6detail17trampoline_kernelINS0_14default_configENS1_27scan_by_key_config_selectorIllEEZZNS1_16scan_by_key_implILNS1_25lookback_scan_determinismE0ELb0ES3_N6thrust23THRUST_200600_302600_NS16reverse_iteratorIPKlEESD_NSA_IPlEElN6hipcub16HIPCUB_304000_NS3MaxENSH_8EqualityElEE10hipError_tPvRmT2_T3_T4_T5_mT6_T7_P12ihipStream_tbENKUlT_T0_E_clISt17integral_constantIbLb1EES10_EEDaSV_SW_EUlSV_E_NS1_11comp_targetILNS1_3genE8ELNS1_11target_archE1030ELNS1_3gpuE2ELNS1_3repE0EEENS1_30default_config_static_selectorELNS0_4arch9wavefront6targetE0EEEvT1_,@function
_ZN7rocprim17ROCPRIM_400000_NS6detail17trampoline_kernelINS0_14default_configENS1_27scan_by_key_config_selectorIllEEZZNS1_16scan_by_key_implILNS1_25lookback_scan_determinismE0ELb0ES3_N6thrust23THRUST_200600_302600_NS16reverse_iteratorIPKlEESD_NSA_IPlEElN6hipcub16HIPCUB_304000_NS3MaxENSH_8EqualityElEE10hipError_tPvRmT2_T3_T4_T5_mT6_T7_P12ihipStream_tbENKUlT_T0_E_clISt17integral_constantIbLb1EES10_EEDaSV_SW_EUlSV_E_NS1_11comp_targetILNS1_3genE8ELNS1_11target_archE1030ELNS1_3gpuE2ELNS1_3repE0EEENS1_30default_config_static_selectorELNS0_4arch9wavefront6targetE0EEEvT1_: ; @_ZN7rocprim17ROCPRIM_400000_NS6detail17trampoline_kernelINS0_14default_configENS1_27scan_by_key_config_selectorIllEEZZNS1_16scan_by_key_implILNS1_25lookback_scan_determinismE0ELb0ES3_N6thrust23THRUST_200600_302600_NS16reverse_iteratorIPKlEESD_NSA_IPlEElN6hipcub16HIPCUB_304000_NS3MaxENSH_8EqualityElEE10hipError_tPvRmT2_T3_T4_T5_mT6_T7_P12ihipStream_tbENKUlT_T0_E_clISt17integral_constantIbLb1EES10_EEDaSV_SW_EUlSV_E_NS1_11comp_targetILNS1_3genE8ELNS1_11target_archE1030ELNS1_3gpuE2ELNS1_3repE0EEENS1_30default_config_static_selectorELNS0_4arch9wavefront6targetE0EEEvT1_
; %bb.0:
	.section	.rodata,"a",@progbits
	.p2align	6, 0x0
	.amdhsa_kernel _ZN7rocprim17ROCPRIM_400000_NS6detail17trampoline_kernelINS0_14default_configENS1_27scan_by_key_config_selectorIllEEZZNS1_16scan_by_key_implILNS1_25lookback_scan_determinismE0ELb0ES3_N6thrust23THRUST_200600_302600_NS16reverse_iteratorIPKlEESD_NSA_IPlEElN6hipcub16HIPCUB_304000_NS3MaxENSH_8EqualityElEE10hipError_tPvRmT2_T3_T4_T5_mT6_T7_P12ihipStream_tbENKUlT_T0_E_clISt17integral_constantIbLb1EES10_EEDaSV_SW_EUlSV_E_NS1_11comp_targetILNS1_3genE8ELNS1_11target_archE1030ELNS1_3gpuE2ELNS1_3repE0EEENS1_30default_config_static_selectorELNS0_4arch9wavefront6targetE0EEEvT1_
		.amdhsa_group_segment_fixed_size 0
		.amdhsa_private_segment_fixed_size 0
		.amdhsa_kernarg_size 136
		.amdhsa_user_sgpr_count 2
		.amdhsa_user_sgpr_dispatch_ptr 0
		.amdhsa_user_sgpr_queue_ptr 0
		.amdhsa_user_sgpr_kernarg_segment_ptr 1
		.amdhsa_user_sgpr_dispatch_id 0
		.amdhsa_user_sgpr_kernarg_preload_length 0
		.amdhsa_user_sgpr_kernarg_preload_offset 0
		.amdhsa_user_sgpr_private_segment_size 0
		.amdhsa_wavefront_size32 1
		.amdhsa_uses_dynamic_stack 0
		.amdhsa_enable_private_segment 0
		.amdhsa_system_sgpr_workgroup_id_x 1
		.amdhsa_system_sgpr_workgroup_id_y 0
		.amdhsa_system_sgpr_workgroup_id_z 0
		.amdhsa_system_sgpr_workgroup_info 0
		.amdhsa_system_vgpr_workitem_id 0
		.amdhsa_next_free_vgpr 1
		.amdhsa_next_free_sgpr 1
		.amdhsa_named_barrier_count 0
		.amdhsa_reserve_vcc 0
		.amdhsa_float_round_mode_32 0
		.amdhsa_float_round_mode_16_64 0
		.amdhsa_float_denorm_mode_32 3
		.amdhsa_float_denorm_mode_16_64 3
		.amdhsa_fp16_overflow 0
		.amdhsa_memory_ordered 1
		.amdhsa_forward_progress 1
		.amdhsa_inst_pref_size 0
		.amdhsa_round_robin_scheduling 0
		.amdhsa_exception_fp_ieee_invalid_op 0
		.amdhsa_exception_fp_denorm_src 0
		.amdhsa_exception_fp_ieee_div_zero 0
		.amdhsa_exception_fp_ieee_overflow 0
		.amdhsa_exception_fp_ieee_underflow 0
		.amdhsa_exception_fp_ieee_inexact 0
		.amdhsa_exception_int_div_zero 0
	.end_amdhsa_kernel
	.section	.text._ZN7rocprim17ROCPRIM_400000_NS6detail17trampoline_kernelINS0_14default_configENS1_27scan_by_key_config_selectorIllEEZZNS1_16scan_by_key_implILNS1_25lookback_scan_determinismE0ELb0ES3_N6thrust23THRUST_200600_302600_NS16reverse_iteratorIPKlEESD_NSA_IPlEElN6hipcub16HIPCUB_304000_NS3MaxENSH_8EqualityElEE10hipError_tPvRmT2_T3_T4_T5_mT6_T7_P12ihipStream_tbENKUlT_T0_E_clISt17integral_constantIbLb1EES10_EEDaSV_SW_EUlSV_E_NS1_11comp_targetILNS1_3genE8ELNS1_11target_archE1030ELNS1_3gpuE2ELNS1_3repE0EEENS1_30default_config_static_selectorELNS0_4arch9wavefront6targetE0EEEvT1_,"axG",@progbits,_ZN7rocprim17ROCPRIM_400000_NS6detail17trampoline_kernelINS0_14default_configENS1_27scan_by_key_config_selectorIllEEZZNS1_16scan_by_key_implILNS1_25lookback_scan_determinismE0ELb0ES3_N6thrust23THRUST_200600_302600_NS16reverse_iteratorIPKlEESD_NSA_IPlEElN6hipcub16HIPCUB_304000_NS3MaxENSH_8EqualityElEE10hipError_tPvRmT2_T3_T4_T5_mT6_T7_P12ihipStream_tbENKUlT_T0_E_clISt17integral_constantIbLb1EES10_EEDaSV_SW_EUlSV_E_NS1_11comp_targetILNS1_3genE8ELNS1_11target_archE1030ELNS1_3gpuE2ELNS1_3repE0EEENS1_30default_config_static_selectorELNS0_4arch9wavefront6targetE0EEEvT1_,comdat
.Lfunc_end155:
	.size	_ZN7rocprim17ROCPRIM_400000_NS6detail17trampoline_kernelINS0_14default_configENS1_27scan_by_key_config_selectorIllEEZZNS1_16scan_by_key_implILNS1_25lookback_scan_determinismE0ELb0ES3_N6thrust23THRUST_200600_302600_NS16reverse_iteratorIPKlEESD_NSA_IPlEElN6hipcub16HIPCUB_304000_NS3MaxENSH_8EqualityElEE10hipError_tPvRmT2_T3_T4_T5_mT6_T7_P12ihipStream_tbENKUlT_T0_E_clISt17integral_constantIbLb1EES10_EEDaSV_SW_EUlSV_E_NS1_11comp_targetILNS1_3genE8ELNS1_11target_archE1030ELNS1_3gpuE2ELNS1_3repE0EEENS1_30default_config_static_selectorELNS0_4arch9wavefront6targetE0EEEvT1_, .Lfunc_end155-_ZN7rocprim17ROCPRIM_400000_NS6detail17trampoline_kernelINS0_14default_configENS1_27scan_by_key_config_selectorIllEEZZNS1_16scan_by_key_implILNS1_25lookback_scan_determinismE0ELb0ES3_N6thrust23THRUST_200600_302600_NS16reverse_iteratorIPKlEESD_NSA_IPlEElN6hipcub16HIPCUB_304000_NS3MaxENSH_8EqualityElEE10hipError_tPvRmT2_T3_T4_T5_mT6_T7_P12ihipStream_tbENKUlT_T0_E_clISt17integral_constantIbLb1EES10_EEDaSV_SW_EUlSV_E_NS1_11comp_targetILNS1_3genE8ELNS1_11target_archE1030ELNS1_3gpuE2ELNS1_3repE0EEENS1_30default_config_static_selectorELNS0_4arch9wavefront6targetE0EEEvT1_
                                        ; -- End function
	.set _ZN7rocprim17ROCPRIM_400000_NS6detail17trampoline_kernelINS0_14default_configENS1_27scan_by_key_config_selectorIllEEZZNS1_16scan_by_key_implILNS1_25lookback_scan_determinismE0ELb0ES3_N6thrust23THRUST_200600_302600_NS16reverse_iteratorIPKlEESD_NSA_IPlEElN6hipcub16HIPCUB_304000_NS3MaxENSH_8EqualityElEE10hipError_tPvRmT2_T3_T4_T5_mT6_T7_P12ihipStream_tbENKUlT_T0_E_clISt17integral_constantIbLb1EES10_EEDaSV_SW_EUlSV_E_NS1_11comp_targetILNS1_3genE8ELNS1_11target_archE1030ELNS1_3gpuE2ELNS1_3repE0EEENS1_30default_config_static_selectorELNS0_4arch9wavefront6targetE0EEEvT1_.num_vgpr, 0
	.set _ZN7rocprim17ROCPRIM_400000_NS6detail17trampoline_kernelINS0_14default_configENS1_27scan_by_key_config_selectorIllEEZZNS1_16scan_by_key_implILNS1_25lookback_scan_determinismE0ELb0ES3_N6thrust23THRUST_200600_302600_NS16reverse_iteratorIPKlEESD_NSA_IPlEElN6hipcub16HIPCUB_304000_NS3MaxENSH_8EqualityElEE10hipError_tPvRmT2_T3_T4_T5_mT6_T7_P12ihipStream_tbENKUlT_T0_E_clISt17integral_constantIbLb1EES10_EEDaSV_SW_EUlSV_E_NS1_11comp_targetILNS1_3genE8ELNS1_11target_archE1030ELNS1_3gpuE2ELNS1_3repE0EEENS1_30default_config_static_selectorELNS0_4arch9wavefront6targetE0EEEvT1_.num_agpr, 0
	.set _ZN7rocprim17ROCPRIM_400000_NS6detail17trampoline_kernelINS0_14default_configENS1_27scan_by_key_config_selectorIllEEZZNS1_16scan_by_key_implILNS1_25lookback_scan_determinismE0ELb0ES3_N6thrust23THRUST_200600_302600_NS16reverse_iteratorIPKlEESD_NSA_IPlEElN6hipcub16HIPCUB_304000_NS3MaxENSH_8EqualityElEE10hipError_tPvRmT2_T3_T4_T5_mT6_T7_P12ihipStream_tbENKUlT_T0_E_clISt17integral_constantIbLb1EES10_EEDaSV_SW_EUlSV_E_NS1_11comp_targetILNS1_3genE8ELNS1_11target_archE1030ELNS1_3gpuE2ELNS1_3repE0EEENS1_30default_config_static_selectorELNS0_4arch9wavefront6targetE0EEEvT1_.numbered_sgpr, 0
	.set _ZN7rocprim17ROCPRIM_400000_NS6detail17trampoline_kernelINS0_14default_configENS1_27scan_by_key_config_selectorIllEEZZNS1_16scan_by_key_implILNS1_25lookback_scan_determinismE0ELb0ES3_N6thrust23THRUST_200600_302600_NS16reverse_iteratorIPKlEESD_NSA_IPlEElN6hipcub16HIPCUB_304000_NS3MaxENSH_8EqualityElEE10hipError_tPvRmT2_T3_T4_T5_mT6_T7_P12ihipStream_tbENKUlT_T0_E_clISt17integral_constantIbLb1EES10_EEDaSV_SW_EUlSV_E_NS1_11comp_targetILNS1_3genE8ELNS1_11target_archE1030ELNS1_3gpuE2ELNS1_3repE0EEENS1_30default_config_static_selectorELNS0_4arch9wavefront6targetE0EEEvT1_.num_named_barrier, 0
	.set _ZN7rocprim17ROCPRIM_400000_NS6detail17trampoline_kernelINS0_14default_configENS1_27scan_by_key_config_selectorIllEEZZNS1_16scan_by_key_implILNS1_25lookback_scan_determinismE0ELb0ES3_N6thrust23THRUST_200600_302600_NS16reverse_iteratorIPKlEESD_NSA_IPlEElN6hipcub16HIPCUB_304000_NS3MaxENSH_8EqualityElEE10hipError_tPvRmT2_T3_T4_T5_mT6_T7_P12ihipStream_tbENKUlT_T0_E_clISt17integral_constantIbLb1EES10_EEDaSV_SW_EUlSV_E_NS1_11comp_targetILNS1_3genE8ELNS1_11target_archE1030ELNS1_3gpuE2ELNS1_3repE0EEENS1_30default_config_static_selectorELNS0_4arch9wavefront6targetE0EEEvT1_.private_seg_size, 0
	.set _ZN7rocprim17ROCPRIM_400000_NS6detail17trampoline_kernelINS0_14default_configENS1_27scan_by_key_config_selectorIllEEZZNS1_16scan_by_key_implILNS1_25lookback_scan_determinismE0ELb0ES3_N6thrust23THRUST_200600_302600_NS16reverse_iteratorIPKlEESD_NSA_IPlEElN6hipcub16HIPCUB_304000_NS3MaxENSH_8EqualityElEE10hipError_tPvRmT2_T3_T4_T5_mT6_T7_P12ihipStream_tbENKUlT_T0_E_clISt17integral_constantIbLb1EES10_EEDaSV_SW_EUlSV_E_NS1_11comp_targetILNS1_3genE8ELNS1_11target_archE1030ELNS1_3gpuE2ELNS1_3repE0EEENS1_30default_config_static_selectorELNS0_4arch9wavefront6targetE0EEEvT1_.uses_vcc, 0
	.set _ZN7rocprim17ROCPRIM_400000_NS6detail17trampoline_kernelINS0_14default_configENS1_27scan_by_key_config_selectorIllEEZZNS1_16scan_by_key_implILNS1_25lookback_scan_determinismE0ELb0ES3_N6thrust23THRUST_200600_302600_NS16reverse_iteratorIPKlEESD_NSA_IPlEElN6hipcub16HIPCUB_304000_NS3MaxENSH_8EqualityElEE10hipError_tPvRmT2_T3_T4_T5_mT6_T7_P12ihipStream_tbENKUlT_T0_E_clISt17integral_constantIbLb1EES10_EEDaSV_SW_EUlSV_E_NS1_11comp_targetILNS1_3genE8ELNS1_11target_archE1030ELNS1_3gpuE2ELNS1_3repE0EEENS1_30default_config_static_selectorELNS0_4arch9wavefront6targetE0EEEvT1_.uses_flat_scratch, 0
	.set _ZN7rocprim17ROCPRIM_400000_NS6detail17trampoline_kernelINS0_14default_configENS1_27scan_by_key_config_selectorIllEEZZNS1_16scan_by_key_implILNS1_25lookback_scan_determinismE0ELb0ES3_N6thrust23THRUST_200600_302600_NS16reverse_iteratorIPKlEESD_NSA_IPlEElN6hipcub16HIPCUB_304000_NS3MaxENSH_8EqualityElEE10hipError_tPvRmT2_T3_T4_T5_mT6_T7_P12ihipStream_tbENKUlT_T0_E_clISt17integral_constantIbLb1EES10_EEDaSV_SW_EUlSV_E_NS1_11comp_targetILNS1_3genE8ELNS1_11target_archE1030ELNS1_3gpuE2ELNS1_3repE0EEENS1_30default_config_static_selectorELNS0_4arch9wavefront6targetE0EEEvT1_.has_dyn_sized_stack, 0
	.set _ZN7rocprim17ROCPRIM_400000_NS6detail17trampoline_kernelINS0_14default_configENS1_27scan_by_key_config_selectorIllEEZZNS1_16scan_by_key_implILNS1_25lookback_scan_determinismE0ELb0ES3_N6thrust23THRUST_200600_302600_NS16reverse_iteratorIPKlEESD_NSA_IPlEElN6hipcub16HIPCUB_304000_NS3MaxENSH_8EqualityElEE10hipError_tPvRmT2_T3_T4_T5_mT6_T7_P12ihipStream_tbENKUlT_T0_E_clISt17integral_constantIbLb1EES10_EEDaSV_SW_EUlSV_E_NS1_11comp_targetILNS1_3genE8ELNS1_11target_archE1030ELNS1_3gpuE2ELNS1_3repE0EEENS1_30default_config_static_selectorELNS0_4arch9wavefront6targetE0EEEvT1_.has_recursion, 0
	.set _ZN7rocprim17ROCPRIM_400000_NS6detail17trampoline_kernelINS0_14default_configENS1_27scan_by_key_config_selectorIllEEZZNS1_16scan_by_key_implILNS1_25lookback_scan_determinismE0ELb0ES3_N6thrust23THRUST_200600_302600_NS16reverse_iteratorIPKlEESD_NSA_IPlEElN6hipcub16HIPCUB_304000_NS3MaxENSH_8EqualityElEE10hipError_tPvRmT2_T3_T4_T5_mT6_T7_P12ihipStream_tbENKUlT_T0_E_clISt17integral_constantIbLb1EES10_EEDaSV_SW_EUlSV_E_NS1_11comp_targetILNS1_3genE8ELNS1_11target_archE1030ELNS1_3gpuE2ELNS1_3repE0EEENS1_30default_config_static_selectorELNS0_4arch9wavefront6targetE0EEEvT1_.has_indirect_call, 0
	.section	.AMDGPU.csdata,"",@progbits
; Kernel info:
; codeLenInByte = 0
; TotalNumSgprs: 0
; NumVgprs: 0
; ScratchSize: 0
; MemoryBound: 0
; FloatMode: 240
; IeeeMode: 1
; LDSByteSize: 0 bytes/workgroup (compile time only)
; SGPRBlocks: 0
; VGPRBlocks: 0
; NumSGPRsForWavesPerEU: 1
; NumVGPRsForWavesPerEU: 1
; NamedBarCnt: 0
; Occupancy: 16
; WaveLimiterHint : 0
; COMPUTE_PGM_RSRC2:SCRATCH_EN: 0
; COMPUTE_PGM_RSRC2:USER_SGPR: 2
; COMPUTE_PGM_RSRC2:TRAP_HANDLER: 0
; COMPUTE_PGM_RSRC2:TGID_X_EN: 1
; COMPUTE_PGM_RSRC2:TGID_Y_EN: 0
; COMPUTE_PGM_RSRC2:TGID_Z_EN: 0
; COMPUTE_PGM_RSRC2:TIDIG_COMP_CNT: 0
	.section	.text._ZN7rocprim17ROCPRIM_400000_NS6detail30init_device_scan_by_key_kernelINS1_19lookback_scan_stateINS0_5tupleIJlbEEELb1ELb0EEEN6thrust23THRUST_200600_302600_NS16reverse_iteratorIPKlEEjNS1_16block_id_wrapperIjLb0EEEEEvT_jjPNSF_10value_typeET0_PNSt15iterator_traitsISI_E10value_typeEmT1_T2_,"axG",@progbits,_ZN7rocprim17ROCPRIM_400000_NS6detail30init_device_scan_by_key_kernelINS1_19lookback_scan_stateINS0_5tupleIJlbEEELb1ELb0EEEN6thrust23THRUST_200600_302600_NS16reverse_iteratorIPKlEEjNS1_16block_id_wrapperIjLb0EEEEEvT_jjPNSF_10value_typeET0_PNSt15iterator_traitsISI_E10value_typeEmT1_T2_,comdat
	.protected	_ZN7rocprim17ROCPRIM_400000_NS6detail30init_device_scan_by_key_kernelINS1_19lookback_scan_stateINS0_5tupleIJlbEEELb1ELb0EEEN6thrust23THRUST_200600_302600_NS16reverse_iteratorIPKlEEjNS1_16block_id_wrapperIjLb0EEEEEvT_jjPNSF_10value_typeET0_PNSt15iterator_traitsISI_E10value_typeEmT1_T2_ ; -- Begin function _ZN7rocprim17ROCPRIM_400000_NS6detail30init_device_scan_by_key_kernelINS1_19lookback_scan_stateINS0_5tupleIJlbEEELb1ELb0EEEN6thrust23THRUST_200600_302600_NS16reverse_iteratorIPKlEEjNS1_16block_id_wrapperIjLb0EEEEEvT_jjPNSF_10value_typeET0_PNSt15iterator_traitsISI_E10value_typeEmT1_T2_
	.globl	_ZN7rocprim17ROCPRIM_400000_NS6detail30init_device_scan_by_key_kernelINS1_19lookback_scan_stateINS0_5tupleIJlbEEELb1ELb0EEEN6thrust23THRUST_200600_302600_NS16reverse_iteratorIPKlEEjNS1_16block_id_wrapperIjLb0EEEEEvT_jjPNSF_10value_typeET0_PNSt15iterator_traitsISI_E10value_typeEmT1_T2_
	.p2align	8
	.type	_ZN7rocprim17ROCPRIM_400000_NS6detail30init_device_scan_by_key_kernelINS1_19lookback_scan_stateINS0_5tupleIJlbEEELb1ELb0EEEN6thrust23THRUST_200600_302600_NS16reverse_iteratorIPKlEEjNS1_16block_id_wrapperIjLb0EEEEEvT_jjPNSF_10value_typeET0_PNSt15iterator_traitsISI_E10value_typeEmT1_T2_,@function
_ZN7rocprim17ROCPRIM_400000_NS6detail30init_device_scan_by_key_kernelINS1_19lookback_scan_stateINS0_5tupleIJlbEEELb1ELb0EEEN6thrust23THRUST_200600_302600_NS16reverse_iteratorIPKlEEjNS1_16block_id_wrapperIjLb0EEEEEvT_jjPNSF_10value_typeET0_PNSt15iterator_traitsISI_E10value_typeEmT1_T2_: ; @_ZN7rocprim17ROCPRIM_400000_NS6detail30init_device_scan_by_key_kernelINS1_19lookback_scan_stateINS0_5tupleIJlbEEELb1ELb0EEEN6thrust23THRUST_200600_302600_NS16reverse_iteratorIPKlEEjNS1_16block_id_wrapperIjLb0EEEEEvT_jjPNSF_10value_typeET0_PNSt15iterator_traitsISI_E10value_typeEmT1_T2_
; %bb.0:
	s_clause 0x2
	s_load_b32 s2, s[0:1], 0x54
	s_load_b32 s18, s[0:1], 0x48
	s_load_b256 s[4:11], s[0:1], 0x10
	s_bfe_u32 s3, ttmp6, 0x4000c
	s_and_b32 s12, ttmp6, 15
	s_add_co_i32 s3, s3, 1
	s_getreg_b32 s13, hwreg(HW_REG_IB_STS2, 6, 4)
	s_mul_i32 s3, ttmp9, s3
	s_delay_alu instid0(SALU_CYCLE_1)
	s_add_co_i32 s12, s12, s3
	s_wait_kmcnt 0x0
	s_and_b32 s19, s2, 0xffff
	s_cmp_eq_u32 s13, 0
	s_cselect_b32 s2, ttmp9, s12
	s_cmp_eq_u64 s[8:9], 0
	v_mad_u32 v0, s2, s19, v0
	s_cbranch_scc1 .LBB156_9
; %bb.1:
	s_cmp_lt_u32 s7, s6
	s_mov_b32 s20, exec_lo
	s_cselect_b32 s2, s7, 0
	s_delay_alu instid0(VALU_DEP_1) | instid1(SALU_CYCLE_1)
	v_cmpx_eq_u32_e64 s2, v0
	s_cbranch_execz .LBB156_8
; %bb.2:
	s_add_co_i32 s2, s7, 32
	s_load_b128 s[12:15], s[0:1], 0x0
	v_mov_b32_e32 v1, s2
	s_mov_b32 s3, 0
	global_load_u8 v1, v1, s[4:5] scope:SCOPE_DEV
	s_wait_loadcnt 0x0
	v_and_b32_e32 v2, 0xffff, v1
	v_readfirstlane_b32 s21, v1
	s_delay_alu instid0(VALU_DEP_2)
	v_cmp_ne_u32_e32 vcc_lo, 0, v2
	s_cbranch_vccnz .LBB156_7
; %bb.3:
	v_mov_b32_e32 v1, 0
	s_add_nc_u64 s[16:17], s[4:5], s[2:3]
	s_mov_b32 s7, 1
.LBB156_4:                              ; =>This Loop Header: Depth=1
                                        ;     Child Loop BB156_5 Depth 2
	s_delay_alu instid0(SALU_CYCLE_1)
	s_mov_b32 s21, s7
.LBB156_5:                              ;   Parent Loop BB156_4 Depth=1
                                        ; =>  This Inner Loop Header: Depth=2
	s_delay_alu instid0(SALU_CYCLE_1)
	s_add_co_i32 s21, s21, -1
	s_sleep 1
	s_cmp_eq_u32 s21, 0
	s_cbranch_scc0 .LBB156_5
; %bb.6:                                ;   in Loop: Header=BB156_4 Depth=1
	global_load_u8 v2, v1, s[16:17] scope:SCOPE_DEV
	s_cmp_lt_u32 s7, 32
	s_cselect_b32 s21, -1, 0
	s_delay_alu instid0(SALU_CYCLE_1) | instskip(SKIP_4) | instid1(VALU_DEP_2)
	s_cmp_lg_u32 s21, 0
	s_add_co_ci_u32 s7, s7, 0
	s_wait_loadcnt 0x0
	v_and_b32_e32 v3, 0xffff, v2
	v_readfirstlane_b32 s21, v2
	v_cmp_ne_u32_e32 vcc_lo, 0, v3
	s_cbranch_vccz .LBB156_4
.LBB156_7:
	s_and_b32 s7, 0xffff, s21
	v_mov_b32_e32 v1, 0
	s_cmp_eq_u32 s7, 1
	global_wb scope:SCOPE_DEV
	s_wait_storecnt 0x0
	global_inv scope:SCOPE_DEV
	s_wait_kmcnt 0x0
	s_cselect_b32 s13, s13, s15
	s_cselect_b32 s12, s12, s14
	s_lshl_b64 s[2:3], s[2:3], 4
	s_delay_alu instid0(SALU_CYCLE_1)
	s_add_nc_u64 s[2:3], s[12:13], s[2:3]
	s_clause 0x1
	global_load_b64 v[2:3], v1, s[2:3]
	global_load_u8 v4, v1, s[2:3] offset:8
	s_wait_loadcnt 0x1
	global_store_b64 v1, v[2:3], s[8:9]
	s_wait_loadcnt 0x0
	global_store_b8 v1, v4, s[8:9] offset:8
.LBB156_8:
	s_wait_xcnt 0x0
	s_or_b32 exec_lo, exec_lo, s20
.LBB156_9:
	s_delay_alu instid0(SALU_CYCLE_1) | instskip(NEXT) | instid1(VALU_DEP_1)
	s_mov_b32 s2, exec_lo
	v_cmpx_gt_u32_e64 s6, v0
	s_cbranch_execz .LBB156_11
; %bb.10:
	v_dual_mov_b32 v2, 0 :: v_dual_add_nc_u32 v1, 32, v0
	global_store_b8 v1, v2, s[4:5]
.LBB156_11:
	s_wait_xcnt 0x0
	s_or_b32 exec_lo, exec_lo, s2
	v_mov_b32_e32 v1, 0
	s_mov_b32 s2, exec_lo
	v_cmpx_gt_u32_e32 32, v0
	s_cbranch_execz .LBB156_13
; %bb.12:
	s_delay_alu instid0(VALU_DEP_2)
	v_add_nc_u64_e32 v[2:3], s[4:5], v[0:1]
	v_mov_b32_e32 v4, 0xff
	global_store_b8 v[2:3], v4, off
.LBB156_13:
	s_wait_xcnt 0x0
	s_or_b32 exec_lo, exec_lo, s2
	s_load_b64 s[2:3], s[0:1], 0x38
	s_mov_b32 s4, exec_lo
	s_wait_kmcnt 0x0
	v_cmpx_gt_u64_e64 s[2:3], v[0:1]
	s_cbranch_execz .LBB156_16
; %bb.14:
	s_clause 0x1
	s_load_b32 s4, s[0:1], 0x40
	s_load_b64 s[6:7], s[0:1], 0x30
	s_mov_b32 s5, 0
	s_wait_xcnt 0x0
	s_mov_b32 s1, s5
	s_wait_kmcnt 0x0
	s_add_co_i32 s0, s4, -1
	v_lshl_add_u64 v[4:5], v[0:1], 3, s[6:7]
	v_mad_nc_u64_u32 v[2:3], s4, v0, s[0:1]
	s_mul_i32 s0, s18, s19
	s_delay_alu instid0(SALU_CYCLE_1) | instskip(NEXT) | instid1(SALU_CYCLE_1)
	s_mul_u64 s[8:9], s[4:5], s[0:1]
	s_lshl_b64 s[8:9], s[8:9], 3
	s_delay_alu instid0(SALU_CYCLE_1) | instskip(SKIP_1) | instid1(VALU_DEP_1)
	s_sub_nc_u64 s[6:7], 0, s[8:9]
	s_lshl_b64 s[8:9], s[0:1], 3
	v_not_b32_e32 v3, v3
	s_delay_alu instid0(VALU_DEP_2) | instskip(NEXT) | instid1(VALU_DEP_1)
	v_not_b32_e32 v2, v2
	v_lshl_add_u64 v[2:3], v[2:3], 3, s[10:11]
.LBB156_15:                             ; =>This Inner Loop Header: Depth=1
	global_load_b64 v[6:7], v[2:3], off
	v_add_nc_u64_e32 v[0:1], s[0:1], v[0:1]
	s_wait_xcnt 0x0
	v_add_nc_u64_e32 v[2:3], s[6:7], v[2:3]
	s_delay_alu instid0(VALU_DEP_2)
	v_cmp_le_u64_e32 vcc_lo, s[2:3], v[0:1]
	s_or_b32 s5, vcc_lo, s5
	s_wait_loadcnt 0x0
	global_store_b64 v[4:5], v[6:7], off
	s_wait_xcnt 0x0
	v_add_nc_u64_e32 v[4:5], s[8:9], v[4:5]
	s_and_not1_b32 exec_lo, exec_lo, s5
	s_cbranch_execnz .LBB156_15
.LBB156_16:
	s_endpgm
	.section	.rodata,"a",@progbits
	.p2align	6, 0x0
	.amdhsa_kernel _ZN7rocprim17ROCPRIM_400000_NS6detail30init_device_scan_by_key_kernelINS1_19lookback_scan_stateINS0_5tupleIJlbEEELb1ELb0EEEN6thrust23THRUST_200600_302600_NS16reverse_iteratorIPKlEEjNS1_16block_id_wrapperIjLb0EEEEEvT_jjPNSF_10value_typeET0_PNSt15iterator_traitsISI_E10value_typeEmT1_T2_
		.amdhsa_group_segment_fixed_size 0
		.amdhsa_private_segment_fixed_size 0
		.amdhsa_kernarg_size 328
		.amdhsa_user_sgpr_count 2
		.amdhsa_user_sgpr_dispatch_ptr 0
		.amdhsa_user_sgpr_queue_ptr 0
		.amdhsa_user_sgpr_kernarg_segment_ptr 1
		.amdhsa_user_sgpr_dispatch_id 0
		.amdhsa_user_sgpr_kernarg_preload_length 0
		.amdhsa_user_sgpr_kernarg_preload_offset 0
		.amdhsa_user_sgpr_private_segment_size 0
		.amdhsa_wavefront_size32 1
		.amdhsa_uses_dynamic_stack 0
		.amdhsa_enable_private_segment 0
		.amdhsa_system_sgpr_workgroup_id_x 1
		.amdhsa_system_sgpr_workgroup_id_y 0
		.amdhsa_system_sgpr_workgroup_id_z 0
		.amdhsa_system_sgpr_workgroup_info 0
		.amdhsa_system_vgpr_workitem_id 0
		.amdhsa_next_free_vgpr 8
		.amdhsa_next_free_sgpr 22
		.amdhsa_named_barrier_count 0
		.amdhsa_reserve_vcc 1
		.amdhsa_float_round_mode_32 0
		.amdhsa_float_round_mode_16_64 0
		.amdhsa_float_denorm_mode_32 3
		.amdhsa_float_denorm_mode_16_64 3
		.amdhsa_fp16_overflow 0
		.amdhsa_memory_ordered 1
		.amdhsa_forward_progress 1
		.amdhsa_inst_pref_size 6
		.amdhsa_round_robin_scheduling 0
		.amdhsa_exception_fp_ieee_invalid_op 0
		.amdhsa_exception_fp_denorm_src 0
		.amdhsa_exception_fp_ieee_div_zero 0
		.amdhsa_exception_fp_ieee_overflow 0
		.amdhsa_exception_fp_ieee_underflow 0
		.amdhsa_exception_fp_ieee_inexact 0
		.amdhsa_exception_int_div_zero 0
	.end_amdhsa_kernel
	.section	.text._ZN7rocprim17ROCPRIM_400000_NS6detail30init_device_scan_by_key_kernelINS1_19lookback_scan_stateINS0_5tupleIJlbEEELb1ELb0EEEN6thrust23THRUST_200600_302600_NS16reverse_iteratorIPKlEEjNS1_16block_id_wrapperIjLb0EEEEEvT_jjPNSF_10value_typeET0_PNSt15iterator_traitsISI_E10value_typeEmT1_T2_,"axG",@progbits,_ZN7rocprim17ROCPRIM_400000_NS6detail30init_device_scan_by_key_kernelINS1_19lookback_scan_stateINS0_5tupleIJlbEEELb1ELb0EEEN6thrust23THRUST_200600_302600_NS16reverse_iteratorIPKlEEjNS1_16block_id_wrapperIjLb0EEEEEvT_jjPNSF_10value_typeET0_PNSt15iterator_traitsISI_E10value_typeEmT1_T2_,comdat
.Lfunc_end156:
	.size	_ZN7rocprim17ROCPRIM_400000_NS6detail30init_device_scan_by_key_kernelINS1_19lookback_scan_stateINS0_5tupleIJlbEEELb1ELb0EEEN6thrust23THRUST_200600_302600_NS16reverse_iteratorIPKlEEjNS1_16block_id_wrapperIjLb0EEEEEvT_jjPNSF_10value_typeET0_PNSt15iterator_traitsISI_E10value_typeEmT1_T2_, .Lfunc_end156-_ZN7rocprim17ROCPRIM_400000_NS6detail30init_device_scan_by_key_kernelINS1_19lookback_scan_stateINS0_5tupleIJlbEEELb1ELb0EEEN6thrust23THRUST_200600_302600_NS16reverse_iteratorIPKlEEjNS1_16block_id_wrapperIjLb0EEEEEvT_jjPNSF_10value_typeET0_PNSt15iterator_traitsISI_E10value_typeEmT1_T2_
                                        ; -- End function
	.set _ZN7rocprim17ROCPRIM_400000_NS6detail30init_device_scan_by_key_kernelINS1_19lookback_scan_stateINS0_5tupleIJlbEEELb1ELb0EEEN6thrust23THRUST_200600_302600_NS16reverse_iteratorIPKlEEjNS1_16block_id_wrapperIjLb0EEEEEvT_jjPNSF_10value_typeET0_PNSt15iterator_traitsISI_E10value_typeEmT1_T2_.num_vgpr, 8
	.set _ZN7rocprim17ROCPRIM_400000_NS6detail30init_device_scan_by_key_kernelINS1_19lookback_scan_stateINS0_5tupleIJlbEEELb1ELb0EEEN6thrust23THRUST_200600_302600_NS16reverse_iteratorIPKlEEjNS1_16block_id_wrapperIjLb0EEEEEvT_jjPNSF_10value_typeET0_PNSt15iterator_traitsISI_E10value_typeEmT1_T2_.num_agpr, 0
	.set _ZN7rocprim17ROCPRIM_400000_NS6detail30init_device_scan_by_key_kernelINS1_19lookback_scan_stateINS0_5tupleIJlbEEELb1ELb0EEEN6thrust23THRUST_200600_302600_NS16reverse_iteratorIPKlEEjNS1_16block_id_wrapperIjLb0EEEEEvT_jjPNSF_10value_typeET0_PNSt15iterator_traitsISI_E10value_typeEmT1_T2_.numbered_sgpr, 22
	.set _ZN7rocprim17ROCPRIM_400000_NS6detail30init_device_scan_by_key_kernelINS1_19lookback_scan_stateINS0_5tupleIJlbEEELb1ELb0EEEN6thrust23THRUST_200600_302600_NS16reverse_iteratorIPKlEEjNS1_16block_id_wrapperIjLb0EEEEEvT_jjPNSF_10value_typeET0_PNSt15iterator_traitsISI_E10value_typeEmT1_T2_.num_named_barrier, 0
	.set _ZN7rocprim17ROCPRIM_400000_NS6detail30init_device_scan_by_key_kernelINS1_19lookback_scan_stateINS0_5tupleIJlbEEELb1ELb0EEEN6thrust23THRUST_200600_302600_NS16reverse_iteratorIPKlEEjNS1_16block_id_wrapperIjLb0EEEEEvT_jjPNSF_10value_typeET0_PNSt15iterator_traitsISI_E10value_typeEmT1_T2_.private_seg_size, 0
	.set _ZN7rocprim17ROCPRIM_400000_NS6detail30init_device_scan_by_key_kernelINS1_19lookback_scan_stateINS0_5tupleIJlbEEELb1ELb0EEEN6thrust23THRUST_200600_302600_NS16reverse_iteratorIPKlEEjNS1_16block_id_wrapperIjLb0EEEEEvT_jjPNSF_10value_typeET0_PNSt15iterator_traitsISI_E10value_typeEmT1_T2_.uses_vcc, 1
	.set _ZN7rocprim17ROCPRIM_400000_NS6detail30init_device_scan_by_key_kernelINS1_19lookback_scan_stateINS0_5tupleIJlbEEELb1ELb0EEEN6thrust23THRUST_200600_302600_NS16reverse_iteratorIPKlEEjNS1_16block_id_wrapperIjLb0EEEEEvT_jjPNSF_10value_typeET0_PNSt15iterator_traitsISI_E10value_typeEmT1_T2_.uses_flat_scratch, 0
	.set _ZN7rocprim17ROCPRIM_400000_NS6detail30init_device_scan_by_key_kernelINS1_19lookback_scan_stateINS0_5tupleIJlbEEELb1ELb0EEEN6thrust23THRUST_200600_302600_NS16reverse_iteratorIPKlEEjNS1_16block_id_wrapperIjLb0EEEEEvT_jjPNSF_10value_typeET0_PNSt15iterator_traitsISI_E10value_typeEmT1_T2_.has_dyn_sized_stack, 0
	.set _ZN7rocprim17ROCPRIM_400000_NS6detail30init_device_scan_by_key_kernelINS1_19lookback_scan_stateINS0_5tupleIJlbEEELb1ELb0EEEN6thrust23THRUST_200600_302600_NS16reverse_iteratorIPKlEEjNS1_16block_id_wrapperIjLb0EEEEEvT_jjPNSF_10value_typeET0_PNSt15iterator_traitsISI_E10value_typeEmT1_T2_.has_recursion, 0
	.set _ZN7rocprim17ROCPRIM_400000_NS6detail30init_device_scan_by_key_kernelINS1_19lookback_scan_stateINS0_5tupleIJlbEEELb1ELb0EEEN6thrust23THRUST_200600_302600_NS16reverse_iteratorIPKlEEjNS1_16block_id_wrapperIjLb0EEEEEvT_jjPNSF_10value_typeET0_PNSt15iterator_traitsISI_E10value_typeEmT1_T2_.has_indirect_call, 0
	.section	.AMDGPU.csdata,"",@progbits
; Kernel info:
; codeLenInByte = 720
; TotalNumSgprs: 24
; NumVgprs: 8
; ScratchSize: 0
; MemoryBound: 0
; FloatMode: 240
; IeeeMode: 1
; LDSByteSize: 0 bytes/workgroup (compile time only)
; SGPRBlocks: 0
; VGPRBlocks: 0
; NumSGPRsForWavesPerEU: 24
; NumVGPRsForWavesPerEU: 8
; NamedBarCnt: 0
; Occupancy: 16
; WaveLimiterHint : 0
; COMPUTE_PGM_RSRC2:SCRATCH_EN: 0
; COMPUTE_PGM_RSRC2:USER_SGPR: 2
; COMPUTE_PGM_RSRC2:TRAP_HANDLER: 0
; COMPUTE_PGM_RSRC2:TGID_X_EN: 1
; COMPUTE_PGM_RSRC2:TGID_Y_EN: 0
; COMPUTE_PGM_RSRC2:TGID_Z_EN: 0
; COMPUTE_PGM_RSRC2:TIDIG_COMP_CNT: 0
	.section	.text._ZN7rocprim17ROCPRIM_400000_NS6detail17trampoline_kernelINS0_14default_configENS1_27scan_by_key_config_selectorIllEEZZNS1_16scan_by_key_implILNS1_25lookback_scan_determinismE0ELb0ES3_N6thrust23THRUST_200600_302600_NS16reverse_iteratorIPKlEESD_NSA_IPlEElN6hipcub16HIPCUB_304000_NS3MaxENSH_8EqualityElEE10hipError_tPvRmT2_T3_T4_T5_mT6_T7_P12ihipStream_tbENKUlT_T0_E_clISt17integral_constantIbLb1EESZ_IbLb0EEEEDaSV_SW_EUlSV_E_NS1_11comp_targetILNS1_3genE0ELNS1_11target_archE4294967295ELNS1_3gpuE0ELNS1_3repE0EEENS1_30default_config_static_selectorELNS0_4arch9wavefront6targetE0EEEvT1_,"axG",@progbits,_ZN7rocprim17ROCPRIM_400000_NS6detail17trampoline_kernelINS0_14default_configENS1_27scan_by_key_config_selectorIllEEZZNS1_16scan_by_key_implILNS1_25lookback_scan_determinismE0ELb0ES3_N6thrust23THRUST_200600_302600_NS16reverse_iteratorIPKlEESD_NSA_IPlEElN6hipcub16HIPCUB_304000_NS3MaxENSH_8EqualityElEE10hipError_tPvRmT2_T3_T4_T5_mT6_T7_P12ihipStream_tbENKUlT_T0_E_clISt17integral_constantIbLb1EESZ_IbLb0EEEEDaSV_SW_EUlSV_E_NS1_11comp_targetILNS1_3genE0ELNS1_11target_archE4294967295ELNS1_3gpuE0ELNS1_3repE0EEENS1_30default_config_static_selectorELNS0_4arch9wavefront6targetE0EEEvT1_,comdat
	.protected	_ZN7rocprim17ROCPRIM_400000_NS6detail17trampoline_kernelINS0_14default_configENS1_27scan_by_key_config_selectorIllEEZZNS1_16scan_by_key_implILNS1_25lookback_scan_determinismE0ELb0ES3_N6thrust23THRUST_200600_302600_NS16reverse_iteratorIPKlEESD_NSA_IPlEElN6hipcub16HIPCUB_304000_NS3MaxENSH_8EqualityElEE10hipError_tPvRmT2_T3_T4_T5_mT6_T7_P12ihipStream_tbENKUlT_T0_E_clISt17integral_constantIbLb1EESZ_IbLb0EEEEDaSV_SW_EUlSV_E_NS1_11comp_targetILNS1_3genE0ELNS1_11target_archE4294967295ELNS1_3gpuE0ELNS1_3repE0EEENS1_30default_config_static_selectorELNS0_4arch9wavefront6targetE0EEEvT1_ ; -- Begin function _ZN7rocprim17ROCPRIM_400000_NS6detail17trampoline_kernelINS0_14default_configENS1_27scan_by_key_config_selectorIllEEZZNS1_16scan_by_key_implILNS1_25lookback_scan_determinismE0ELb0ES3_N6thrust23THRUST_200600_302600_NS16reverse_iteratorIPKlEESD_NSA_IPlEElN6hipcub16HIPCUB_304000_NS3MaxENSH_8EqualityElEE10hipError_tPvRmT2_T3_T4_T5_mT6_T7_P12ihipStream_tbENKUlT_T0_E_clISt17integral_constantIbLb1EESZ_IbLb0EEEEDaSV_SW_EUlSV_E_NS1_11comp_targetILNS1_3genE0ELNS1_11target_archE4294967295ELNS1_3gpuE0ELNS1_3repE0EEENS1_30default_config_static_selectorELNS0_4arch9wavefront6targetE0EEEvT1_
	.globl	_ZN7rocprim17ROCPRIM_400000_NS6detail17trampoline_kernelINS0_14default_configENS1_27scan_by_key_config_selectorIllEEZZNS1_16scan_by_key_implILNS1_25lookback_scan_determinismE0ELb0ES3_N6thrust23THRUST_200600_302600_NS16reverse_iteratorIPKlEESD_NSA_IPlEElN6hipcub16HIPCUB_304000_NS3MaxENSH_8EqualityElEE10hipError_tPvRmT2_T3_T4_T5_mT6_T7_P12ihipStream_tbENKUlT_T0_E_clISt17integral_constantIbLb1EESZ_IbLb0EEEEDaSV_SW_EUlSV_E_NS1_11comp_targetILNS1_3genE0ELNS1_11target_archE4294967295ELNS1_3gpuE0ELNS1_3repE0EEENS1_30default_config_static_selectorELNS0_4arch9wavefront6targetE0EEEvT1_
	.p2align	8
	.type	_ZN7rocprim17ROCPRIM_400000_NS6detail17trampoline_kernelINS0_14default_configENS1_27scan_by_key_config_selectorIllEEZZNS1_16scan_by_key_implILNS1_25lookback_scan_determinismE0ELb0ES3_N6thrust23THRUST_200600_302600_NS16reverse_iteratorIPKlEESD_NSA_IPlEElN6hipcub16HIPCUB_304000_NS3MaxENSH_8EqualityElEE10hipError_tPvRmT2_T3_T4_T5_mT6_T7_P12ihipStream_tbENKUlT_T0_E_clISt17integral_constantIbLb1EESZ_IbLb0EEEEDaSV_SW_EUlSV_E_NS1_11comp_targetILNS1_3genE0ELNS1_11target_archE4294967295ELNS1_3gpuE0ELNS1_3repE0EEENS1_30default_config_static_selectorELNS0_4arch9wavefront6targetE0EEEvT1_,@function
_ZN7rocprim17ROCPRIM_400000_NS6detail17trampoline_kernelINS0_14default_configENS1_27scan_by_key_config_selectorIllEEZZNS1_16scan_by_key_implILNS1_25lookback_scan_determinismE0ELb0ES3_N6thrust23THRUST_200600_302600_NS16reverse_iteratorIPKlEESD_NSA_IPlEElN6hipcub16HIPCUB_304000_NS3MaxENSH_8EqualityElEE10hipError_tPvRmT2_T3_T4_T5_mT6_T7_P12ihipStream_tbENKUlT_T0_E_clISt17integral_constantIbLb1EESZ_IbLb0EEEEDaSV_SW_EUlSV_E_NS1_11comp_targetILNS1_3genE0ELNS1_11target_archE4294967295ELNS1_3gpuE0ELNS1_3repE0EEENS1_30default_config_static_selectorELNS0_4arch9wavefront6targetE0EEEvT1_: ; @_ZN7rocprim17ROCPRIM_400000_NS6detail17trampoline_kernelINS0_14default_configENS1_27scan_by_key_config_selectorIllEEZZNS1_16scan_by_key_implILNS1_25lookback_scan_determinismE0ELb0ES3_N6thrust23THRUST_200600_302600_NS16reverse_iteratorIPKlEESD_NSA_IPlEElN6hipcub16HIPCUB_304000_NS3MaxENSH_8EqualityElEE10hipError_tPvRmT2_T3_T4_T5_mT6_T7_P12ihipStream_tbENKUlT_T0_E_clISt17integral_constantIbLb1EESZ_IbLb0EEEEDaSV_SW_EUlSV_E_NS1_11comp_targetILNS1_3genE0ELNS1_11target_archE4294967295ELNS1_3gpuE0ELNS1_3repE0EEENS1_30default_config_static_selectorELNS0_4arch9wavefront6targetE0EEEvT1_
; %bb.0:
	s_endpgm
	.section	.rodata,"a",@progbits
	.p2align	6, 0x0
	.amdhsa_kernel _ZN7rocprim17ROCPRIM_400000_NS6detail17trampoline_kernelINS0_14default_configENS1_27scan_by_key_config_selectorIllEEZZNS1_16scan_by_key_implILNS1_25lookback_scan_determinismE0ELb0ES3_N6thrust23THRUST_200600_302600_NS16reverse_iteratorIPKlEESD_NSA_IPlEElN6hipcub16HIPCUB_304000_NS3MaxENSH_8EqualityElEE10hipError_tPvRmT2_T3_T4_T5_mT6_T7_P12ihipStream_tbENKUlT_T0_E_clISt17integral_constantIbLb1EESZ_IbLb0EEEEDaSV_SW_EUlSV_E_NS1_11comp_targetILNS1_3genE0ELNS1_11target_archE4294967295ELNS1_3gpuE0ELNS1_3repE0EEENS1_30default_config_static_selectorELNS0_4arch9wavefront6targetE0EEEvT1_
		.amdhsa_group_segment_fixed_size 0
		.amdhsa_private_segment_fixed_size 0
		.amdhsa_kernarg_size 136
		.amdhsa_user_sgpr_count 2
		.amdhsa_user_sgpr_dispatch_ptr 0
		.amdhsa_user_sgpr_queue_ptr 0
		.amdhsa_user_sgpr_kernarg_segment_ptr 1
		.amdhsa_user_sgpr_dispatch_id 0
		.amdhsa_user_sgpr_kernarg_preload_length 0
		.amdhsa_user_sgpr_kernarg_preload_offset 0
		.amdhsa_user_sgpr_private_segment_size 0
		.amdhsa_wavefront_size32 1
		.amdhsa_uses_dynamic_stack 0
		.amdhsa_enable_private_segment 0
		.amdhsa_system_sgpr_workgroup_id_x 1
		.amdhsa_system_sgpr_workgroup_id_y 0
		.amdhsa_system_sgpr_workgroup_id_z 0
		.amdhsa_system_sgpr_workgroup_info 0
		.amdhsa_system_vgpr_workitem_id 0
		.amdhsa_next_free_vgpr 1
		.amdhsa_next_free_sgpr 1
		.amdhsa_named_barrier_count 0
		.amdhsa_reserve_vcc 0
		.amdhsa_float_round_mode_32 0
		.amdhsa_float_round_mode_16_64 0
		.amdhsa_float_denorm_mode_32 3
		.amdhsa_float_denorm_mode_16_64 3
		.amdhsa_fp16_overflow 0
		.amdhsa_memory_ordered 1
		.amdhsa_forward_progress 1
		.amdhsa_inst_pref_size 1
		.amdhsa_round_robin_scheduling 0
		.amdhsa_exception_fp_ieee_invalid_op 0
		.amdhsa_exception_fp_denorm_src 0
		.amdhsa_exception_fp_ieee_div_zero 0
		.amdhsa_exception_fp_ieee_overflow 0
		.amdhsa_exception_fp_ieee_underflow 0
		.amdhsa_exception_fp_ieee_inexact 0
		.amdhsa_exception_int_div_zero 0
	.end_amdhsa_kernel
	.section	.text._ZN7rocprim17ROCPRIM_400000_NS6detail17trampoline_kernelINS0_14default_configENS1_27scan_by_key_config_selectorIllEEZZNS1_16scan_by_key_implILNS1_25lookback_scan_determinismE0ELb0ES3_N6thrust23THRUST_200600_302600_NS16reverse_iteratorIPKlEESD_NSA_IPlEElN6hipcub16HIPCUB_304000_NS3MaxENSH_8EqualityElEE10hipError_tPvRmT2_T3_T4_T5_mT6_T7_P12ihipStream_tbENKUlT_T0_E_clISt17integral_constantIbLb1EESZ_IbLb0EEEEDaSV_SW_EUlSV_E_NS1_11comp_targetILNS1_3genE0ELNS1_11target_archE4294967295ELNS1_3gpuE0ELNS1_3repE0EEENS1_30default_config_static_selectorELNS0_4arch9wavefront6targetE0EEEvT1_,"axG",@progbits,_ZN7rocprim17ROCPRIM_400000_NS6detail17trampoline_kernelINS0_14default_configENS1_27scan_by_key_config_selectorIllEEZZNS1_16scan_by_key_implILNS1_25lookback_scan_determinismE0ELb0ES3_N6thrust23THRUST_200600_302600_NS16reverse_iteratorIPKlEESD_NSA_IPlEElN6hipcub16HIPCUB_304000_NS3MaxENSH_8EqualityElEE10hipError_tPvRmT2_T3_T4_T5_mT6_T7_P12ihipStream_tbENKUlT_T0_E_clISt17integral_constantIbLb1EESZ_IbLb0EEEEDaSV_SW_EUlSV_E_NS1_11comp_targetILNS1_3genE0ELNS1_11target_archE4294967295ELNS1_3gpuE0ELNS1_3repE0EEENS1_30default_config_static_selectorELNS0_4arch9wavefront6targetE0EEEvT1_,comdat
.Lfunc_end157:
	.size	_ZN7rocprim17ROCPRIM_400000_NS6detail17trampoline_kernelINS0_14default_configENS1_27scan_by_key_config_selectorIllEEZZNS1_16scan_by_key_implILNS1_25lookback_scan_determinismE0ELb0ES3_N6thrust23THRUST_200600_302600_NS16reverse_iteratorIPKlEESD_NSA_IPlEElN6hipcub16HIPCUB_304000_NS3MaxENSH_8EqualityElEE10hipError_tPvRmT2_T3_T4_T5_mT6_T7_P12ihipStream_tbENKUlT_T0_E_clISt17integral_constantIbLb1EESZ_IbLb0EEEEDaSV_SW_EUlSV_E_NS1_11comp_targetILNS1_3genE0ELNS1_11target_archE4294967295ELNS1_3gpuE0ELNS1_3repE0EEENS1_30default_config_static_selectorELNS0_4arch9wavefront6targetE0EEEvT1_, .Lfunc_end157-_ZN7rocprim17ROCPRIM_400000_NS6detail17trampoline_kernelINS0_14default_configENS1_27scan_by_key_config_selectorIllEEZZNS1_16scan_by_key_implILNS1_25lookback_scan_determinismE0ELb0ES3_N6thrust23THRUST_200600_302600_NS16reverse_iteratorIPKlEESD_NSA_IPlEElN6hipcub16HIPCUB_304000_NS3MaxENSH_8EqualityElEE10hipError_tPvRmT2_T3_T4_T5_mT6_T7_P12ihipStream_tbENKUlT_T0_E_clISt17integral_constantIbLb1EESZ_IbLb0EEEEDaSV_SW_EUlSV_E_NS1_11comp_targetILNS1_3genE0ELNS1_11target_archE4294967295ELNS1_3gpuE0ELNS1_3repE0EEENS1_30default_config_static_selectorELNS0_4arch9wavefront6targetE0EEEvT1_
                                        ; -- End function
	.set _ZN7rocprim17ROCPRIM_400000_NS6detail17trampoline_kernelINS0_14default_configENS1_27scan_by_key_config_selectorIllEEZZNS1_16scan_by_key_implILNS1_25lookback_scan_determinismE0ELb0ES3_N6thrust23THRUST_200600_302600_NS16reverse_iteratorIPKlEESD_NSA_IPlEElN6hipcub16HIPCUB_304000_NS3MaxENSH_8EqualityElEE10hipError_tPvRmT2_T3_T4_T5_mT6_T7_P12ihipStream_tbENKUlT_T0_E_clISt17integral_constantIbLb1EESZ_IbLb0EEEEDaSV_SW_EUlSV_E_NS1_11comp_targetILNS1_3genE0ELNS1_11target_archE4294967295ELNS1_3gpuE0ELNS1_3repE0EEENS1_30default_config_static_selectorELNS0_4arch9wavefront6targetE0EEEvT1_.num_vgpr, 0
	.set _ZN7rocprim17ROCPRIM_400000_NS6detail17trampoline_kernelINS0_14default_configENS1_27scan_by_key_config_selectorIllEEZZNS1_16scan_by_key_implILNS1_25lookback_scan_determinismE0ELb0ES3_N6thrust23THRUST_200600_302600_NS16reverse_iteratorIPKlEESD_NSA_IPlEElN6hipcub16HIPCUB_304000_NS3MaxENSH_8EqualityElEE10hipError_tPvRmT2_T3_T4_T5_mT6_T7_P12ihipStream_tbENKUlT_T0_E_clISt17integral_constantIbLb1EESZ_IbLb0EEEEDaSV_SW_EUlSV_E_NS1_11comp_targetILNS1_3genE0ELNS1_11target_archE4294967295ELNS1_3gpuE0ELNS1_3repE0EEENS1_30default_config_static_selectorELNS0_4arch9wavefront6targetE0EEEvT1_.num_agpr, 0
	.set _ZN7rocprim17ROCPRIM_400000_NS6detail17trampoline_kernelINS0_14default_configENS1_27scan_by_key_config_selectorIllEEZZNS1_16scan_by_key_implILNS1_25lookback_scan_determinismE0ELb0ES3_N6thrust23THRUST_200600_302600_NS16reverse_iteratorIPKlEESD_NSA_IPlEElN6hipcub16HIPCUB_304000_NS3MaxENSH_8EqualityElEE10hipError_tPvRmT2_T3_T4_T5_mT6_T7_P12ihipStream_tbENKUlT_T0_E_clISt17integral_constantIbLb1EESZ_IbLb0EEEEDaSV_SW_EUlSV_E_NS1_11comp_targetILNS1_3genE0ELNS1_11target_archE4294967295ELNS1_3gpuE0ELNS1_3repE0EEENS1_30default_config_static_selectorELNS0_4arch9wavefront6targetE0EEEvT1_.numbered_sgpr, 0
	.set _ZN7rocprim17ROCPRIM_400000_NS6detail17trampoline_kernelINS0_14default_configENS1_27scan_by_key_config_selectorIllEEZZNS1_16scan_by_key_implILNS1_25lookback_scan_determinismE0ELb0ES3_N6thrust23THRUST_200600_302600_NS16reverse_iteratorIPKlEESD_NSA_IPlEElN6hipcub16HIPCUB_304000_NS3MaxENSH_8EqualityElEE10hipError_tPvRmT2_T3_T4_T5_mT6_T7_P12ihipStream_tbENKUlT_T0_E_clISt17integral_constantIbLb1EESZ_IbLb0EEEEDaSV_SW_EUlSV_E_NS1_11comp_targetILNS1_3genE0ELNS1_11target_archE4294967295ELNS1_3gpuE0ELNS1_3repE0EEENS1_30default_config_static_selectorELNS0_4arch9wavefront6targetE0EEEvT1_.num_named_barrier, 0
	.set _ZN7rocprim17ROCPRIM_400000_NS6detail17trampoline_kernelINS0_14default_configENS1_27scan_by_key_config_selectorIllEEZZNS1_16scan_by_key_implILNS1_25lookback_scan_determinismE0ELb0ES3_N6thrust23THRUST_200600_302600_NS16reverse_iteratorIPKlEESD_NSA_IPlEElN6hipcub16HIPCUB_304000_NS3MaxENSH_8EqualityElEE10hipError_tPvRmT2_T3_T4_T5_mT6_T7_P12ihipStream_tbENKUlT_T0_E_clISt17integral_constantIbLb1EESZ_IbLb0EEEEDaSV_SW_EUlSV_E_NS1_11comp_targetILNS1_3genE0ELNS1_11target_archE4294967295ELNS1_3gpuE0ELNS1_3repE0EEENS1_30default_config_static_selectorELNS0_4arch9wavefront6targetE0EEEvT1_.private_seg_size, 0
	.set _ZN7rocprim17ROCPRIM_400000_NS6detail17trampoline_kernelINS0_14default_configENS1_27scan_by_key_config_selectorIllEEZZNS1_16scan_by_key_implILNS1_25lookback_scan_determinismE0ELb0ES3_N6thrust23THRUST_200600_302600_NS16reverse_iteratorIPKlEESD_NSA_IPlEElN6hipcub16HIPCUB_304000_NS3MaxENSH_8EqualityElEE10hipError_tPvRmT2_T3_T4_T5_mT6_T7_P12ihipStream_tbENKUlT_T0_E_clISt17integral_constantIbLb1EESZ_IbLb0EEEEDaSV_SW_EUlSV_E_NS1_11comp_targetILNS1_3genE0ELNS1_11target_archE4294967295ELNS1_3gpuE0ELNS1_3repE0EEENS1_30default_config_static_selectorELNS0_4arch9wavefront6targetE0EEEvT1_.uses_vcc, 0
	.set _ZN7rocprim17ROCPRIM_400000_NS6detail17trampoline_kernelINS0_14default_configENS1_27scan_by_key_config_selectorIllEEZZNS1_16scan_by_key_implILNS1_25lookback_scan_determinismE0ELb0ES3_N6thrust23THRUST_200600_302600_NS16reverse_iteratorIPKlEESD_NSA_IPlEElN6hipcub16HIPCUB_304000_NS3MaxENSH_8EqualityElEE10hipError_tPvRmT2_T3_T4_T5_mT6_T7_P12ihipStream_tbENKUlT_T0_E_clISt17integral_constantIbLb1EESZ_IbLb0EEEEDaSV_SW_EUlSV_E_NS1_11comp_targetILNS1_3genE0ELNS1_11target_archE4294967295ELNS1_3gpuE0ELNS1_3repE0EEENS1_30default_config_static_selectorELNS0_4arch9wavefront6targetE0EEEvT1_.uses_flat_scratch, 0
	.set _ZN7rocprim17ROCPRIM_400000_NS6detail17trampoline_kernelINS0_14default_configENS1_27scan_by_key_config_selectorIllEEZZNS1_16scan_by_key_implILNS1_25lookback_scan_determinismE0ELb0ES3_N6thrust23THRUST_200600_302600_NS16reverse_iteratorIPKlEESD_NSA_IPlEElN6hipcub16HIPCUB_304000_NS3MaxENSH_8EqualityElEE10hipError_tPvRmT2_T3_T4_T5_mT6_T7_P12ihipStream_tbENKUlT_T0_E_clISt17integral_constantIbLb1EESZ_IbLb0EEEEDaSV_SW_EUlSV_E_NS1_11comp_targetILNS1_3genE0ELNS1_11target_archE4294967295ELNS1_3gpuE0ELNS1_3repE0EEENS1_30default_config_static_selectorELNS0_4arch9wavefront6targetE0EEEvT1_.has_dyn_sized_stack, 0
	.set _ZN7rocprim17ROCPRIM_400000_NS6detail17trampoline_kernelINS0_14default_configENS1_27scan_by_key_config_selectorIllEEZZNS1_16scan_by_key_implILNS1_25lookback_scan_determinismE0ELb0ES3_N6thrust23THRUST_200600_302600_NS16reverse_iteratorIPKlEESD_NSA_IPlEElN6hipcub16HIPCUB_304000_NS3MaxENSH_8EqualityElEE10hipError_tPvRmT2_T3_T4_T5_mT6_T7_P12ihipStream_tbENKUlT_T0_E_clISt17integral_constantIbLb1EESZ_IbLb0EEEEDaSV_SW_EUlSV_E_NS1_11comp_targetILNS1_3genE0ELNS1_11target_archE4294967295ELNS1_3gpuE0ELNS1_3repE0EEENS1_30default_config_static_selectorELNS0_4arch9wavefront6targetE0EEEvT1_.has_recursion, 0
	.set _ZN7rocprim17ROCPRIM_400000_NS6detail17trampoline_kernelINS0_14default_configENS1_27scan_by_key_config_selectorIllEEZZNS1_16scan_by_key_implILNS1_25lookback_scan_determinismE0ELb0ES3_N6thrust23THRUST_200600_302600_NS16reverse_iteratorIPKlEESD_NSA_IPlEElN6hipcub16HIPCUB_304000_NS3MaxENSH_8EqualityElEE10hipError_tPvRmT2_T3_T4_T5_mT6_T7_P12ihipStream_tbENKUlT_T0_E_clISt17integral_constantIbLb1EESZ_IbLb0EEEEDaSV_SW_EUlSV_E_NS1_11comp_targetILNS1_3genE0ELNS1_11target_archE4294967295ELNS1_3gpuE0ELNS1_3repE0EEENS1_30default_config_static_selectorELNS0_4arch9wavefront6targetE0EEEvT1_.has_indirect_call, 0
	.section	.AMDGPU.csdata,"",@progbits
; Kernel info:
; codeLenInByte = 4
; TotalNumSgprs: 0
; NumVgprs: 0
; ScratchSize: 0
; MemoryBound: 0
; FloatMode: 240
; IeeeMode: 1
; LDSByteSize: 0 bytes/workgroup (compile time only)
; SGPRBlocks: 0
; VGPRBlocks: 0
; NumSGPRsForWavesPerEU: 1
; NumVGPRsForWavesPerEU: 1
; NamedBarCnt: 0
; Occupancy: 16
; WaveLimiterHint : 0
; COMPUTE_PGM_RSRC2:SCRATCH_EN: 0
; COMPUTE_PGM_RSRC2:USER_SGPR: 2
; COMPUTE_PGM_RSRC2:TRAP_HANDLER: 0
; COMPUTE_PGM_RSRC2:TGID_X_EN: 1
; COMPUTE_PGM_RSRC2:TGID_Y_EN: 0
; COMPUTE_PGM_RSRC2:TGID_Z_EN: 0
; COMPUTE_PGM_RSRC2:TIDIG_COMP_CNT: 0
	.section	.text._ZN7rocprim17ROCPRIM_400000_NS6detail17trampoline_kernelINS0_14default_configENS1_27scan_by_key_config_selectorIllEEZZNS1_16scan_by_key_implILNS1_25lookback_scan_determinismE0ELb0ES3_N6thrust23THRUST_200600_302600_NS16reverse_iteratorIPKlEESD_NSA_IPlEElN6hipcub16HIPCUB_304000_NS3MaxENSH_8EqualityElEE10hipError_tPvRmT2_T3_T4_T5_mT6_T7_P12ihipStream_tbENKUlT_T0_E_clISt17integral_constantIbLb1EESZ_IbLb0EEEEDaSV_SW_EUlSV_E_NS1_11comp_targetILNS1_3genE10ELNS1_11target_archE1201ELNS1_3gpuE5ELNS1_3repE0EEENS1_30default_config_static_selectorELNS0_4arch9wavefront6targetE0EEEvT1_,"axG",@progbits,_ZN7rocprim17ROCPRIM_400000_NS6detail17trampoline_kernelINS0_14default_configENS1_27scan_by_key_config_selectorIllEEZZNS1_16scan_by_key_implILNS1_25lookback_scan_determinismE0ELb0ES3_N6thrust23THRUST_200600_302600_NS16reverse_iteratorIPKlEESD_NSA_IPlEElN6hipcub16HIPCUB_304000_NS3MaxENSH_8EqualityElEE10hipError_tPvRmT2_T3_T4_T5_mT6_T7_P12ihipStream_tbENKUlT_T0_E_clISt17integral_constantIbLb1EESZ_IbLb0EEEEDaSV_SW_EUlSV_E_NS1_11comp_targetILNS1_3genE10ELNS1_11target_archE1201ELNS1_3gpuE5ELNS1_3repE0EEENS1_30default_config_static_selectorELNS0_4arch9wavefront6targetE0EEEvT1_,comdat
	.protected	_ZN7rocprim17ROCPRIM_400000_NS6detail17trampoline_kernelINS0_14default_configENS1_27scan_by_key_config_selectorIllEEZZNS1_16scan_by_key_implILNS1_25lookback_scan_determinismE0ELb0ES3_N6thrust23THRUST_200600_302600_NS16reverse_iteratorIPKlEESD_NSA_IPlEElN6hipcub16HIPCUB_304000_NS3MaxENSH_8EqualityElEE10hipError_tPvRmT2_T3_T4_T5_mT6_T7_P12ihipStream_tbENKUlT_T0_E_clISt17integral_constantIbLb1EESZ_IbLb0EEEEDaSV_SW_EUlSV_E_NS1_11comp_targetILNS1_3genE10ELNS1_11target_archE1201ELNS1_3gpuE5ELNS1_3repE0EEENS1_30default_config_static_selectorELNS0_4arch9wavefront6targetE0EEEvT1_ ; -- Begin function _ZN7rocprim17ROCPRIM_400000_NS6detail17trampoline_kernelINS0_14default_configENS1_27scan_by_key_config_selectorIllEEZZNS1_16scan_by_key_implILNS1_25lookback_scan_determinismE0ELb0ES3_N6thrust23THRUST_200600_302600_NS16reverse_iteratorIPKlEESD_NSA_IPlEElN6hipcub16HIPCUB_304000_NS3MaxENSH_8EqualityElEE10hipError_tPvRmT2_T3_T4_T5_mT6_T7_P12ihipStream_tbENKUlT_T0_E_clISt17integral_constantIbLb1EESZ_IbLb0EEEEDaSV_SW_EUlSV_E_NS1_11comp_targetILNS1_3genE10ELNS1_11target_archE1201ELNS1_3gpuE5ELNS1_3repE0EEENS1_30default_config_static_selectorELNS0_4arch9wavefront6targetE0EEEvT1_
	.globl	_ZN7rocprim17ROCPRIM_400000_NS6detail17trampoline_kernelINS0_14default_configENS1_27scan_by_key_config_selectorIllEEZZNS1_16scan_by_key_implILNS1_25lookback_scan_determinismE0ELb0ES3_N6thrust23THRUST_200600_302600_NS16reverse_iteratorIPKlEESD_NSA_IPlEElN6hipcub16HIPCUB_304000_NS3MaxENSH_8EqualityElEE10hipError_tPvRmT2_T3_T4_T5_mT6_T7_P12ihipStream_tbENKUlT_T0_E_clISt17integral_constantIbLb1EESZ_IbLb0EEEEDaSV_SW_EUlSV_E_NS1_11comp_targetILNS1_3genE10ELNS1_11target_archE1201ELNS1_3gpuE5ELNS1_3repE0EEENS1_30default_config_static_selectorELNS0_4arch9wavefront6targetE0EEEvT1_
	.p2align	8
	.type	_ZN7rocprim17ROCPRIM_400000_NS6detail17trampoline_kernelINS0_14default_configENS1_27scan_by_key_config_selectorIllEEZZNS1_16scan_by_key_implILNS1_25lookback_scan_determinismE0ELb0ES3_N6thrust23THRUST_200600_302600_NS16reverse_iteratorIPKlEESD_NSA_IPlEElN6hipcub16HIPCUB_304000_NS3MaxENSH_8EqualityElEE10hipError_tPvRmT2_T3_T4_T5_mT6_T7_P12ihipStream_tbENKUlT_T0_E_clISt17integral_constantIbLb1EESZ_IbLb0EEEEDaSV_SW_EUlSV_E_NS1_11comp_targetILNS1_3genE10ELNS1_11target_archE1201ELNS1_3gpuE5ELNS1_3repE0EEENS1_30default_config_static_selectorELNS0_4arch9wavefront6targetE0EEEvT1_,@function
_ZN7rocprim17ROCPRIM_400000_NS6detail17trampoline_kernelINS0_14default_configENS1_27scan_by_key_config_selectorIllEEZZNS1_16scan_by_key_implILNS1_25lookback_scan_determinismE0ELb0ES3_N6thrust23THRUST_200600_302600_NS16reverse_iteratorIPKlEESD_NSA_IPlEElN6hipcub16HIPCUB_304000_NS3MaxENSH_8EqualityElEE10hipError_tPvRmT2_T3_T4_T5_mT6_T7_P12ihipStream_tbENKUlT_T0_E_clISt17integral_constantIbLb1EESZ_IbLb0EEEEDaSV_SW_EUlSV_E_NS1_11comp_targetILNS1_3genE10ELNS1_11target_archE1201ELNS1_3gpuE5ELNS1_3repE0EEENS1_30default_config_static_selectorELNS0_4arch9wavefront6targetE0EEEvT1_: ; @_ZN7rocprim17ROCPRIM_400000_NS6detail17trampoline_kernelINS0_14default_configENS1_27scan_by_key_config_selectorIllEEZZNS1_16scan_by_key_implILNS1_25lookback_scan_determinismE0ELb0ES3_N6thrust23THRUST_200600_302600_NS16reverse_iteratorIPKlEESD_NSA_IPlEElN6hipcub16HIPCUB_304000_NS3MaxENSH_8EqualityElEE10hipError_tPvRmT2_T3_T4_T5_mT6_T7_P12ihipStream_tbENKUlT_T0_E_clISt17integral_constantIbLb1EESZ_IbLb0EEEEDaSV_SW_EUlSV_E_NS1_11comp_targetILNS1_3genE10ELNS1_11target_archE1201ELNS1_3gpuE5ELNS1_3repE0EEENS1_30default_config_static_selectorELNS0_4arch9wavefront6targetE0EEEvT1_
; %bb.0:
	.section	.rodata,"a",@progbits
	.p2align	6, 0x0
	.amdhsa_kernel _ZN7rocprim17ROCPRIM_400000_NS6detail17trampoline_kernelINS0_14default_configENS1_27scan_by_key_config_selectorIllEEZZNS1_16scan_by_key_implILNS1_25lookback_scan_determinismE0ELb0ES3_N6thrust23THRUST_200600_302600_NS16reverse_iteratorIPKlEESD_NSA_IPlEElN6hipcub16HIPCUB_304000_NS3MaxENSH_8EqualityElEE10hipError_tPvRmT2_T3_T4_T5_mT6_T7_P12ihipStream_tbENKUlT_T0_E_clISt17integral_constantIbLb1EESZ_IbLb0EEEEDaSV_SW_EUlSV_E_NS1_11comp_targetILNS1_3genE10ELNS1_11target_archE1201ELNS1_3gpuE5ELNS1_3repE0EEENS1_30default_config_static_selectorELNS0_4arch9wavefront6targetE0EEEvT1_
		.amdhsa_group_segment_fixed_size 0
		.amdhsa_private_segment_fixed_size 0
		.amdhsa_kernarg_size 136
		.amdhsa_user_sgpr_count 2
		.amdhsa_user_sgpr_dispatch_ptr 0
		.amdhsa_user_sgpr_queue_ptr 0
		.amdhsa_user_sgpr_kernarg_segment_ptr 1
		.amdhsa_user_sgpr_dispatch_id 0
		.amdhsa_user_sgpr_kernarg_preload_length 0
		.amdhsa_user_sgpr_kernarg_preload_offset 0
		.amdhsa_user_sgpr_private_segment_size 0
		.amdhsa_wavefront_size32 1
		.amdhsa_uses_dynamic_stack 0
		.amdhsa_enable_private_segment 0
		.amdhsa_system_sgpr_workgroup_id_x 1
		.amdhsa_system_sgpr_workgroup_id_y 0
		.amdhsa_system_sgpr_workgroup_id_z 0
		.amdhsa_system_sgpr_workgroup_info 0
		.amdhsa_system_vgpr_workitem_id 0
		.amdhsa_next_free_vgpr 1
		.amdhsa_next_free_sgpr 1
		.amdhsa_named_barrier_count 0
		.amdhsa_reserve_vcc 0
		.amdhsa_float_round_mode_32 0
		.amdhsa_float_round_mode_16_64 0
		.amdhsa_float_denorm_mode_32 3
		.amdhsa_float_denorm_mode_16_64 3
		.amdhsa_fp16_overflow 0
		.amdhsa_memory_ordered 1
		.amdhsa_forward_progress 1
		.amdhsa_inst_pref_size 0
		.amdhsa_round_robin_scheduling 0
		.amdhsa_exception_fp_ieee_invalid_op 0
		.amdhsa_exception_fp_denorm_src 0
		.amdhsa_exception_fp_ieee_div_zero 0
		.amdhsa_exception_fp_ieee_overflow 0
		.amdhsa_exception_fp_ieee_underflow 0
		.amdhsa_exception_fp_ieee_inexact 0
		.amdhsa_exception_int_div_zero 0
	.end_amdhsa_kernel
	.section	.text._ZN7rocprim17ROCPRIM_400000_NS6detail17trampoline_kernelINS0_14default_configENS1_27scan_by_key_config_selectorIllEEZZNS1_16scan_by_key_implILNS1_25lookback_scan_determinismE0ELb0ES3_N6thrust23THRUST_200600_302600_NS16reverse_iteratorIPKlEESD_NSA_IPlEElN6hipcub16HIPCUB_304000_NS3MaxENSH_8EqualityElEE10hipError_tPvRmT2_T3_T4_T5_mT6_T7_P12ihipStream_tbENKUlT_T0_E_clISt17integral_constantIbLb1EESZ_IbLb0EEEEDaSV_SW_EUlSV_E_NS1_11comp_targetILNS1_3genE10ELNS1_11target_archE1201ELNS1_3gpuE5ELNS1_3repE0EEENS1_30default_config_static_selectorELNS0_4arch9wavefront6targetE0EEEvT1_,"axG",@progbits,_ZN7rocprim17ROCPRIM_400000_NS6detail17trampoline_kernelINS0_14default_configENS1_27scan_by_key_config_selectorIllEEZZNS1_16scan_by_key_implILNS1_25lookback_scan_determinismE0ELb0ES3_N6thrust23THRUST_200600_302600_NS16reverse_iteratorIPKlEESD_NSA_IPlEElN6hipcub16HIPCUB_304000_NS3MaxENSH_8EqualityElEE10hipError_tPvRmT2_T3_T4_T5_mT6_T7_P12ihipStream_tbENKUlT_T0_E_clISt17integral_constantIbLb1EESZ_IbLb0EEEEDaSV_SW_EUlSV_E_NS1_11comp_targetILNS1_3genE10ELNS1_11target_archE1201ELNS1_3gpuE5ELNS1_3repE0EEENS1_30default_config_static_selectorELNS0_4arch9wavefront6targetE0EEEvT1_,comdat
.Lfunc_end158:
	.size	_ZN7rocprim17ROCPRIM_400000_NS6detail17trampoline_kernelINS0_14default_configENS1_27scan_by_key_config_selectorIllEEZZNS1_16scan_by_key_implILNS1_25lookback_scan_determinismE0ELb0ES3_N6thrust23THRUST_200600_302600_NS16reverse_iteratorIPKlEESD_NSA_IPlEElN6hipcub16HIPCUB_304000_NS3MaxENSH_8EqualityElEE10hipError_tPvRmT2_T3_T4_T5_mT6_T7_P12ihipStream_tbENKUlT_T0_E_clISt17integral_constantIbLb1EESZ_IbLb0EEEEDaSV_SW_EUlSV_E_NS1_11comp_targetILNS1_3genE10ELNS1_11target_archE1201ELNS1_3gpuE5ELNS1_3repE0EEENS1_30default_config_static_selectorELNS0_4arch9wavefront6targetE0EEEvT1_, .Lfunc_end158-_ZN7rocprim17ROCPRIM_400000_NS6detail17trampoline_kernelINS0_14default_configENS1_27scan_by_key_config_selectorIllEEZZNS1_16scan_by_key_implILNS1_25lookback_scan_determinismE0ELb0ES3_N6thrust23THRUST_200600_302600_NS16reverse_iteratorIPKlEESD_NSA_IPlEElN6hipcub16HIPCUB_304000_NS3MaxENSH_8EqualityElEE10hipError_tPvRmT2_T3_T4_T5_mT6_T7_P12ihipStream_tbENKUlT_T0_E_clISt17integral_constantIbLb1EESZ_IbLb0EEEEDaSV_SW_EUlSV_E_NS1_11comp_targetILNS1_3genE10ELNS1_11target_archE1201ELNS1_3gpuE5ELNS1_3repE0EEENS1_30default_config_static_selectorELNS0_4arch9wavefront6targetE0EEEvT1_
                                        ; -- End function
	.set _ZN7rocprim17ROCPRIM_400000_NS6detail17trampoline_kernelINS0_14default_configENS1_27scan_by_key_config_selectorIllEEZZNS1_16scan_by_key_implILNS1_25lookback_scan_determinismE0ELb0ES3_N6thrust23THRUST_200600_302600_NS16reverse_iteratorIPKlEESD_NSA_IPlEElN6hipcub16HIPCUB_304000_NS3MaxENSH_8EqualityElEE10hipError_tPvRmT2_T3_T4_T5_mT6_T7_P12ihipStream_tbENKUlT_T0_E_clISt17integral_constantIbLb1EESZ_IbLb0EEEEDaSV_SW_EUlSV_E_NS1_11comp_targetILNS1_3genE10ELNS1_11target_archE1201ELNS1_3gpuE5ELNS1_3repE0EEENS1_30default_config_static_selectorELNS0_4arch9wavefront6targetE0EEEvT1_.num_vgpr, 0
	.set _ZN7rocprim17ROCPRIM_400000_NS6detail17trampoline_kernelINS0_14default_configENS1_27scan_by_key_config_selectorIllEEZZNS1_16scan_by_key_implILNS1_25lookback_scan_determinismE0ELb0ES3_N6thrust23THRUST_200600_302600_NS16reverse_iteratorIPKlEESD_NSA_IPlEElN6hipcub16HIPCUB_304000_NS3MaxENSH_8EqualityElEE10hipError_tPvRmT2_T3_T4_T5_mT6_T7_P12ihipStream_tbENKUlT_T0_E_clISt17integral_constantIbLb1EESZ_IbLb0EEEEDaSV_SW_EUlSV_E_NS1_11comp_targetILNS1_3genE10ELNS1_11target_archE1201ELNS1_3gpuE5ELNS1_3repE0EEENS1_30default_config_static_selectorELNS0_4arch9wavefront6targetE0EEEvT1_.num_agpr, 0
	.set _ZN7rocprim17ROCPRIM_400000_NS6detail17trampoline_kernelINS0_14default_configENS1_27scan_by_key_config_selectorIllEEZZNS1_16scan_by_key_implILNS1_25lookback_scan_determinismE0ELb0ES3_N6thrust23THRUST_200600_302600_NS16reverse_iteratorIPKlEESD_NSA_IPlEElN6hipcub16HIPCUB_304000_NS3MaxENSH_8EqualityElEE10hipError_tPvRmT2_T3_T4_T5_mT6_T7_P12ihipStream_tbENKUlT_T0_E_clISt17integral_constantIbLb1EESZ_IbLb0EEEEDaSV_SW_EUlSV_E_NS1_11comp_targetILNS1_3genE10ELNS1_11target_archE1201ELNS1_3gpuE5ELNS1_3repE0EEENS1_30default_config_static_selectorELNS0_4arch9wavefront6targetE0EEEvT1_.numbered_sgpr, 0
	.set _ZN7rocprim17ROCPRIM_400000_NS6detail17trampoline_kernelINS0_14default_configENS1_27scan_by_key_config_selectorIllEEZZNS1_16scan_by_key_implILNS1_25lookback_scan_determinismE0ELb0ES3_N6thrust23THRUST_200600_302600_NS16reverse_iteratorIPKlEESD_NSA_IPlEElN6hipcub16HIPCUB_304000_NS3MaxENSH_8EqualityElEE10hipError_tPvRmT2_T3_T4_T5_mT6_T7_P12ihipStream_tbENKUlT_T0_E_clISt17integral_constantIbLb1EESZ_IbLb0EEEEDaSV_SW_EUlSV_E_NS1_11comp_targetILNS1_3genE10ELNS1_11target_archE1201ELNS1_3gpuE5ELNS1_3repE0EEENS1_30default_config_static_selectorELNS0_4arch9wavefront6targetE0EEEvT1_.num_named_barrier, 0
	.set _ZN7rocprim17ROCPRIM_400000_NS6detail17trampoline_kernelINS0_14default_configENS1_27scan_by_key_config_selectorIllEEZZNS1_16scan_by_key_implILNS1_25lookback_scan_determinismE0ELb0ES3_N6thrust23THRUST_200600_302600_NS16reverse_iteratorIPKlEESD_NSA_IPlEElN6hipcub16HIPCUB_304000_NS3MaxENSH_8EqualityElEE10hipError_tPvRmT2_T3_T4_T5_mT6_T7_P12ihipStream_tbENKUlT_T0_E_clISt17integral_constantIbLb1EESZ_IbLb0EEEEDaSV_SW_EUlSV_E_NS1_11comp_targetILNS1_3genE10ELNS1_11target_archE1201ELNS1_3gpuE5ELNS1_3repE0EEENS1_30default_config_static_selectorELNS0_4arch9wavefront6targetE0EEEvT1_.private_seg_size, 0
	.set _ZN7rocprim17ROCPRIM_400000_NS6detail17trampoline_kernelINS0_14default_configENS1_27scan_by_key_config_selectorIllEEZZNS1_16scan_by_key_implILNS1_25lookback_scan_determinismE0ELb0ES3_N6thrust23THRUST_200600_302600_NS16reverse_iteratorIPKlEESD_NSA_IPlEElN6hipcub16HIPCUB_304000_NS3MaxENSH_8EqualityElEE10hipError_tPvRmT2_T3_T4_T5_mT6_T7_P12ihipStream_tbENKUlT_T0_E_clISt17integral_constantIbLb1EESZ_IbLb0EEEEDaSV_SW_EUlSV_E_NS1_11comp_targetILNS1_3genE10ELNS1_11target_archE1201ELNS1_3gpuE5ELNS1_3repE0EEENS1_30default_config_static_selectorELNS0_4arch9wavefront6targetE0EEEvT1_.uses_vcc, 0
	.set _ZN7rocprim17ROCPRIM_400000_NS6detail17trampoline_kernelINS0_14default_configENS1_27scan_by_key_config_selectorIllEEZZNS1_16scan_by_key_implILNS1_25lookback_scan_determinismE0ELb0ES3_N6thrust23THRUST_200600_302600_NS16reverse_iteratorIPKlEESD_NSA_IPlEElN6hipcub16HIPCUB_304000_NS3MaxENSH_8EqualityElEE10hipError_tPvRmT2_T3_T4_T5_mT6_T7_P12ihipStream_tbENKUlT_T0_E_clISt17integral_constantIbLb1EESZ_IbLb0EEEEDaSV_SW_EUlSV_E_NS1_11comp_targetILNS1_3genE10ELNS1_11target_archE1201ELNS1_3gpuE5ELNS1_3repE0EEENS1_30default_config_static_selectorELNS0_4arch9wavefront6targetE0EEEvT1_.uses_flat_scratch, 0
	.set _ZN7rocprim17ROCPRIM_400000_NS6detail17trampoline_kernelINS0_14default_configENS1_27scan_by_key_config_selectorIllEEZZNS1_16scan_by_key_implILNS1_25lookback_scan_determinismE0ELb0ES3_N6thrust23THRUST_200600_302600_NS16reverse_iteratorIPKlEESD_NSA_IPlEElN6hipcub16HIPCUB_304000_NS3MaxENSH_8EqualityElEE10hipError_tPvRmT2_T3_T4_T5_mT6_T7_P12ihipStream_tbENKUlT_T0_E_clISt17integral_constantIbLb1EESZ_IbLb0EEEEDaSV_SW_EUlSV_E_NS1_11comp_targetILNS1_3genE10ELNS1_11target_archE1201ELNS1_3gpuE5ELNS1_3repE0EEENS1_30default_config_static_selectorELNS0_4arch9wavefront6targetE0EEEvT1_.has_dyn_sized_stack, 0
	.set _ZN7rocprim17ROCPRIM_400000_NS6detail17trampoline_kernelINS0_14default_configENS1_27scan_by_key_config_selectorIllEEZZNS1_16scan_by_key_implILNS1_25lookback_scan_determinismE0ELb0ES3_N6thrust23THRUST_200600_302600_NS16reverse_iteratorIPKlEESD_NSA_IPlEElN6hipcub16HIPCUB_304000_NS3MaxENSH_8EqualityElEE10hipError_tPvRmT2_T3_T4_T5_mT6_T7_P12ihipStream_tbENKUlT_T0_E_clISt17integral_constantIbLb1EESZ_IbLb0EEEEDaSV_SW_EUlSV_E_NS1_11comp_targetILNS1_3genE10ELNS1_11target_archE1201ELNS1_3gpuE5ELNS1_3repE0EEENS1_30default_config_static_selectorELNS0_4arch9wavefront6targetE0EEEvT1_.has_recursion, 0
	.set _ZN7rocprim17ROCPRIM_400000_NS6detail17trampoline_kernelINS0_14default_configENS1_27scan_by_key_config_selectorIllEEZZNS1_16scan_by_key_implILNS1_25lookback_scan_determinismE0ELb0ES3_N6thrust23THRUST_200600_302600_NS16reverse_iteratorIPKlEESD_NSA_IPlEElN6hipcub16HIPCUB_304000_NS3MaxENSH_8EqualityElEE10hipError_tPvRmT2_T3_T4_T5_mT6_T7_P12ihipStream_tbENKUlT_T0_E_clISt17integral_constantIbLb1EESZ_IbLb0EEEEDaSV_SW_EUlSV_E_NS1_11comp_targetILNS1_3genE10ELNS1_11target_archE1201ELNS1_3gpuE5ELNS1_3repE0EEENS1_30default_config_static_selectorELNS0_4arch9wavefront6targetE0EEEvT1_.has_indirect_call, 0
	.section	.AMDGPU.csdata,"",@progbits
; Kernel info:
; codeLenInByte = 0
; TotalNumSgprs: 0
; NumVgprs: 0
; ScratchSize: 0
; MemoryBound: 0
; FloatMode: 240
; IeeeMode: 1
; LDSByteSize: 0 bytes/workgroup (compile time only)
; SGPRBlocks: 0
; VGPRBlocks: 0
; NumSGPRsForWavesPerEU: 1
; NumVGPRsForWavesPerEU: 1
; NamedBarCnt: 0
; Occupancy: 16
; WaveLimiterHint : 0
; COMPUTE_PGM_RSRC2:SCRATCH_EN: 0
; COMPUTE_PGM_RSRC2:USER_SGPR: 2
; COMPUTE_PGM_RSRC2:TRAP_HANDLER: 0
; COMPUTE_PGM_RSRC2:TGID_X_EN: 1
; COMPUTE_PGM_RSRC2:TGID_Y_EN: 0
; COMPUTE_PGM_RSRC2:TGID_Z_EN: 0
; COMPUTE_PGM_RSRC2:TIDIG_COMP_CNT: 0
	.section	.text._ZN7rocprim17ROCPRIM_400000_NS6detail17trampoline_kernelINS0_14default_configENS1_27scan_by_key_config_selectorIllEEZZNS1_16scan_by_key_implILNS1_25lookback_scan_determinismE0ELb0ES3_N6thrust23THRUST_200600_302600_NS16reverse_iteratorIPKlEESD_NSA_IPlEElN6hipcub16HIPCUB_304000_NS3MaxENSH_8EqualityElEE10hipError_tPvRmT2_T3_T4_T5_mT6_T7_P12ihipStream_tbENKUlT_T0_E_clISt17integral_constantIbLb1EESZ_IbLb0EEEEDaSV_SW_EUlSV_E_NS1_11comp_targetILNS1_3genE5ELNS1_11target_archE942ELNS1_3gpuE9ELNS1_3repE0EEENS1_30default_config_static_selectorELNS0_4arch9wavefront6targetE0EEEvT1_,"axG",@progbits,_ZN7rocprim17ROCPRIM_400000_NS6detail17trampoline_kernelINS0_14default_configENS1_27scan_by_key_config_selectorIllEEZZNS1_16scan_by_key_implILNS1_25lookback_scan_determinismE0ELb0ES3_N6thrust23THRUST_200600_302600_NS16reverse_iteratorIPKlEESD_NSA_IPlEElN6hipcub16HIPCUB_304000_NS3MaxENSH_8EqualityElEE10hipError_tPvRmT2_T3_T4_T5_mT6_T7_P12ihipStream_tbENKUlT_T0_E_clISt17integral_constantIbLb1EESZ_IbLb0EEEEDaSV_SW_EUlSV_E_NS1_11comp_targetILNS1_3genE5ELNS1_11target_archE942ELNS1_3gpuE9ELNS1_3repE0EEENS1_30default_config_static_selectorELNS0_4arch9wavefront6targetE0EEEvT1_,comdat
	.protected	_ZN7rocprim17ROCPRIM_400000_NS6detail17trampoline_kernelINS0_14default_configENS1_27scan_by_key_config_selectorIllEEZZNS1_16scan_by_key_implILNS1_25lookback_scan_determinismE0ELb0ES3_N6thrust23THRUST_200600_302600_NS16reverse_iteratorIPKlEESD_NSA_IPlEElN6hipcub16HIPCUB_304000_NS3MaxENSH_8EqualityElEE10hipError_tPvRmT2_T3_T4_T5_mT6_T7_P12ihipStream_tbENKUlT_T0_E_clISt17integral_constantIbLb1EESZ_IbLb0EEEEDaSV_SW_EUlSV_E_NS1_11comp_targetILNS1_3genE5ELNS1_11target_archE942ELNS1_3gpuE9ELNS1_3repE0EEENS1_30default_config_static_selectorELNS0_4arch9wavefront6targetE0EEEvT1_ ; -- Begin function _ZN7rocprim17ROCPRIM_400000_NS6detail17trampoline_kernelINS0_14default_configENS1_27scan_by_key_config_selectorIllEEZZNS1_16scan_by_key_implILNS1_25lookback_scan_determinismE0ELb0ES3_N6thrust23THRUST_200600_302600_NS16reverse_iteratorIPKlEESD_NSA_IPlEElN6hipcub16HIPCUB_304000_NS3MaxENSH_8EqualityElEE10hipError_tPvRmT2_T3_T4_T5_mT6_T7_P12ihipStream_tbENKUlT_T0_E_clISt17integral_constantIbLb1EESZ_IbLb0EEEEDaSV_SW_EUlSV_E_NS1_11comp_targetILNS1_3genE5ELNS1_11target_archE942ELNS1_3gpuE9ELNS1_3repE0EEENS1_30default_config_static_selectorELNS0_4arch9wavefront6targetE0EEEvT1_
	.globl	_ZN7rocprim17ROCPRIM_400000_NS6detail17trampoline_kernelINS0_14default_configENS1_27scan_by_key_config_selectorIllEEZZNS1_16scan_by_key_implILNS1_25lookback_scan_determinismE0ELb0ES3_N6thrust23THRUST_200600_302600_NS16reverse_iteratorIPKlEESD_NSA_IPlEElN6hipcub16HIPCUB_304000_NS3MaxENSH_8EqualityElEE10hipError_tPvRmT2_T3_T4_T5_mT6_T7_P12ihipStream_tbENKUlT_T0_E_clISt17integral_constantIbLb1EESZ_IbLb0EEEEDaSV_SW_EUlSV_E_NS1_11comp_targetILNS1_3genE5ELNS1_11target_archE942ELNS1_3gpuE9ELNS1_3repE0EEENS1_30default_config_static_selectorELNS0_4arch9wavefront6targetE0EEEvT1_
	.p2align	8
	.type	_ZN7rocprim17ROCPRIM_400000_NS6detail17trampoline_kernelINS0_14default_configENS1_27scan_by_key_config_selectorIllEEZZNS1_16scan_by_key_implILNS1_25lookback_scan_determinismE0ELb0ES3_N6thrust23THRUST_200600_302600_NS16reverse_iteratorIPKlEESD_NSA_IPlEElN6hipcub16HIPCUB_304000_NS3MaxENSH_8EqualityElEE10hipError_tPvRmT2_T3_T4_T5_mT6_T7_P12ihipStream_tbENKUlT_T0_E_clISt17integral_constantIbLb1EESZ_IbLb0EEEEDaSV_SW_EUlSV_E_NS1_11comp_targetILNS1_3genE5ELNS1_11target_archE942ELNS1_3gpuE9ELNS1_3repE0EEENS1_30default_config_static_selectorELNS0_4arch9wavefront6targetE0EEEvT1_,@function
_ZN7rocprim17ROCPRIM_400000_NS6detail17trampoline_kernelINS0_14default_configENS1_27scan_by_key_config_selectorIllEEZZNS1_16scan_by_key_implILNS1_25lookback_scan_determinismE0ELb0ES3_N6thrust23THRUST_200600_302600_NS16reverse_iteratorIPKlEESD_NSA_IPlEElN6hipcub16HIPCUB_304000_NS3MaxENSH_8EqualityElEE10hipError_tPvRmT2_T3_T4_T5_mT6_T7_P12ihipStream_tbENKUlT_T0_E_clISt17integral_constantIbLb1EESZ_IbLb0EEEEDaSV_SW_EUlSV_E_NS1_11comp_targetILNS1_3genE5ELNS1_11target_archE942ELNS1_3gpuE9ELNS1_3repE0EEENS1_30default_config_static_selectorELNS0_4arch9wavefront6targetE0EEEvT1_: ; @_ZN7rocprim17ROCPRIM_400000_NS6detail17trampoline_kernelINS0_14default_configENS1_27scan_by_key_config_selectorIllEEZZNS1_16scan_by_key_implILNS1_25lookback_scan_determinismE0ELb0ES3_N6thrust23THRUST_200600_302600_NS16reverse_iteratorIPKlEESD_NSA_IPlEElN6hipcub16HIPCUB_304000_NS3MaxENSH_8EqualityElEE10hipError_tPvRmT2_T3_T4_T5_mT6_T7_P12ihipStream_tbENKUlT_T0_E_clISt17integral_constantIbLb1EESZ_IbLb0EEEEDaSV_SW_EUlSV_E_NS1_11comp_targetILNS1_3genE5ELNS1_11target_archE942ELNS1_3gpuE9ELNS1_3repE0EEENS1_30default_config_static_selectorELNS0_4arch9wavefront6targetE0EEEvT1_
; %bb.0:
	.section	.rodata,"a",@progbits
	.p2align	6, 0x0
	.amdhsa_kernel _ZN7rocprim17ROCPRIM_400000_NS6detail17trampoline_kernelINS0_14default_configENS1_27scan_by_key_config_selectorIllEEZZNS1_16scan_by_key_implILNS1_25lookback_scan_determinismE0ELb0ES3_N6thrust23THRUST_200600_302600_NS16reverse_iteratorIPKlEESD_NSA_IPlEElN6hipcub16HIPCUB_304000_NS3MaxENSH_8EqualityElEE10hipError_tPvRmT2_T3_T4_T5_mT6_T7_P12ihipStream_tbENKUlT_T0_E_clISt17integral_constantIbLb1EESZ_IbLb0EEEEDaSV_SW_EUlSV_E_NS1_11comp_targetILNS1_3genE5ELNS1_11target_archE942ELNS1_3gpuE9ELNS1_3repE0EEENS1_30default_config_static_selectorELNS0_4arch9wavefront6targetE0EEEvT1_
		.amdhsa_group_segment_fixed_size 0
		.amdhsa_private_segment_fixed_size 0
		.amdhsa_kernarg_size 136
		.amdhsa_user_sgpr_count 2
		.amdhsa_user_sgpr_dispatch_ptr 0
		.amdhsa_user_sgpr_queue_ptr 0
		.amdhsa_user_sgpr_kernarg_segment_ptr 1
		.amdhsa_user_sgpr_dispatch_id 0
		.amdhsa_user_sgpr_kernarg_preload_length 0
		.amdhsa_user_sgpr_kernarg_preload_offset 0
		.amdhsa_user_sgpr_private_segment_size 0
		.amdhsa_wavefront_size32 1
		.amdhsa_uses_dynamic_stack 0
		.amdhsa_enable_private_segment 0
		.amdhsa_system_sgpr_workgroup_id_x 1
		.amdhsa_system_sgpr_workgroup_id_y 0
		.amdhsa_system_sgpr_workgroup_id_z 0
		.amdhsa_system_sgpr_workgroup_info 0
		.amdhsa_system_vgpr_workitem_id 0
		.amdhsa_next_free_vgpr 1
		.amdhsa_next_free_sgpr 1
		.amdhsa_named_barrier_count 0
		.amdhsa_reserve_vcc 0
		.amdhsa_float_round_mode_32 0
		.amdhsa_float_round_mode_16_64 0
		.amdhsa_float_denorm_mode_32 3
		.amdhsa_float_denorm_mode_16_64 3
		.amdhsa_fp16_overflow 0
		.amdhsa_memory_ordered 1
		.amdhsa_forward_progress 1
		.amdhsa_inst_pref_size 0
		.amdhsa_round_robin_scheduling 0
		.amdhsa_exception_fp_ieee_invalid_op 0
		.amdhsa_exception_fp_denorm_src 0
		.amdhsa_exception_fp_ieee_div_zero 0
		.amdhsa_exception_fp_ieee_overflow 0
		.amdhsa_exception_fp_ieee_underflow 0
		.amdhsa_exception_fp_ieee_inexact 0
		.amdhsa_exception_int_div_zero 0
	.end_amdhsa_kernel
	.section	.text._ZN7rocprim17ROCPRIM_400000_NS6detail17trampoline_kernelINS0_14default_configENS1_27scan_by_key_config_selectorIllEEZZNS1_16scan_by_key_implILNS1_25lookback_scan_determinismE0ELb0ES3_N6thrust23THRUST_200600_302600_NS16reverse_iteratorIPKlEESD_NSA_IPlEElN6hipcub16HIPCUB_304000_NS3MaxENSH_8EqualityElEE10hipError_tPvRmT2_T3_T4_T5_mT6_T7_P12ihipStream_tbENKUlT_T0_E_clISt17integral_constantIbLb1EESZ_IbLb0EEEEDaSV_SW_EUlSV_E_NS1_11comp_targetILNS1_3genE5ELNS1_11target_archE942ELNS1_3gpuE9ELNS1_3repE0EEENS1_30default_config_static_selectorELNS0_4arch9wavefront6targetE0EEEvT1_,"axG",@progbits,_ZN7rocprim17ROCPRIM_400000_NS6detail17trampoline_kernelINS0_14default_configENS1_27scan_by_key_config_selectorIllEEZZNS1_16scan_by_key_implILNS1_25lookback_scan_determinismE0ELb0ES3_N6thrust23THRUST_200600_302600_NS16reverse_iteratorIPKlEESD_NSA_IPlEElN6hipcub16HIPCUB_304000_NS3MaxENSH_8EqualityElEE10hipError_tPvRmT2_T3_T4_T5_mT6_T7_P12ihipStream_tbENKUlT_T0_E_clISt17integral_constantIbLb1EESZ_IbLb0EEEEDaSV_SW_EUlSV_E_NS1_11comp_targetILNS1_3genE5ELNS1_11target_archE942ELNS1_3gpuE9ELNS1_3repE0EEENS1_30default_config_static_selectorELNS0_4arch9wavefront6targetE0EEEvT1_,comdat
.Lfunc_end159:
	.size	_ZN7rocprim17ROCPRIM_400000_NS6detail17trampoline_kernelINS0_14default_configENS1_27scan_by_key_config_selectorIllEEZZNS1_16scan_by_key_implILNS1_25lookback_scan_determinismE0ELb0ES3_N6thrust23THRUST_200600_302600_NS16reverse_iteratorIPKlEESD_NSA_IPlEElN6hipcub16HIPCUB_304000_NS3MaxENSH_8EqualityElEE10hipError_tPvRmT2_T3_T4_T5_mT6_T7_P12ihipStream_tbENKUlT_T0_E_clISt17integral_constantIbLb1EESZ_IbLb0EEEEDaSV_SW_EUlSV_E_NS1_11comp_targetILNS1_3genE5ELNS1_11target_archE942ELNS1_3gpuE9ELNS1_3repE0EEENS1_30default_config_static_selectorELNS0_4arch9wavefront6targetE0EEEvT1_, .Lfunc_end159-_ZN7rocprim17ROCPRIM_400000_NS6detail17trampoline_kernelINS0_14default_configENS1_27scan_by_key_config_selectorIllEEZZNS1_16scan_by_key_implILNS1_25lookback_scan_determinismE0ELb0ES3_N6thrust23THRUST_200600_302600_NS16reverse_iteratorIPKlEESD_NSA_IPlEElN6hipcub16HIPCUB_304000_NS3MaxENSH_8EqualityElEE10hipError_tPvRmT2_T3_T4_T5_mT6_T7_P12ihipStream_tbENKUlT_T0_E_clISt17integral_constantIbLb1EESZ_IbLb0EEEEDaSV_SW_EUlSV_E_NS1_11comp_targetILNS1_3genE5ELNS1_11target_archE942ELNS1_3gpuE9ELNS1_3repE0EEENS1_30default_config_static_selectorELNS0_4arch9wavefront6targetE0EEEvT1_
                                        ; -- End function
	.set _ZN7rocprim17ROCPRIM_400000_NS6detail17trampoline_kernelINS0_14default_configENS1_27scan_by_key_config_selectorIllEEZZNS1_16scan_by_key_implILNS1_25lookback_scan_determinismE0ELb0ES3_N6thrust23THRUST_200600_302600_NS16reverse_iteratorIPKlEESD_NSA_IPlEElN6hipcub16HIPCUB_304000_NS3MaxENSH_8EqualityElEE10hipError_tPvRmT2_T3_T4_T5_mT6_T7_P12ihipStream_tbENKUlT_T0_E_clISt17integral_constantIbLb1EESZ_IbLb0EEEEDaSV_SW_EUlSV_E_NS1_11comp_targetILNS1_3genE5ELNS1_11target_archE942ELNS1_3gpuE9ELNS1_3repE0EEENS1_30default_config_static_selectorELNS0_4arch9wavefront6targetE0EEEvT1_.num_vgpr, 0
	.set _ZN7rocprim17ROCPRIM_400000_NS6detail17trampoline_kernelINS0_14default_configENS1_27scan_by_key_config_selectorIllEEZZNS1_16scan_by_key_implILNS1_25lookback_scan_determinismE0ELb0ES3_N6thrust23THRUST_200600_302600_NS16reverse_iteratorIPKlEESD_NSA_IPlEElN6hipcub16HIPCUB_304000_NS3MaxENSH_8EqualityElEE10hipError_tPvRmT2_T3_T4_T5_mT6_T7_P12ihipStream_tbENKUlT_T0_E_clISt17integral_constantIbLb1EESZ_IbLb0EEEEDaSV_SW_EUlSV_E_NS1_11comp_targetILNS1_3genE5ELNS1_11target_archE942ELNS1_3gpuE9ELNS1_3repE0EEENS1_30default_config_static_selectorELNS0_4arch9wavefront6targetE0EEEvT1_.num_agpr, 0
	.set _ZN7rocprim17ROCPRIM_400000_NS6detail17trampoline_kernelINS0_14default_configENS1_27scan_by_key_config_selectorIllEEZZNS1_16scan_by_key_implILNS1_25lookback_scan_determinismE0ELb0ES3_N6thrust23THRUST_200600_302600_NS16reverse_iteratorIPKlEESD_NSA_IPlEElN6hipcub16HIPCUB_304000_NS3MaxENSH_8EqualityElEE10hipError_tPvRmT2_T3_T4_T5_mT6_T7_P12ihipStream_tbENKUlT_T0_E_clISt17integral_constantIbLb1EESZ_IbLb0EEEEDaSV_SW_EUlSV_E_NS1_11comp_targetILNS1_3genE5ELNS1_11target_archE942ELNS1_3gpuE9ELNS1_3repE0EEENS1_30default_config_static_selectorELNS0_4arch9wavefront6targetE0EEEvT1_.numbered_sgpr, 0
	.set _ZN7rocprim17ROCPRIM_400000_NS6detail17trampoline_kernelINS0_14default_configENS1_27scan_by_key_config_selectorIllEEZZNS1_16scan_by_key_implILNS1_25lookback_scan_determinismE0ELb0ES3_N6thrust23THRUST_200600_302600_NS16reverse_iteratorIPKlEESD_NSA_IPlEElN6hipcub16HIPCUB_304000_NS3MaxENSH_8EqualityElEE10hipError_tPvRmT2_T3_T4_T5_mT6_T7_P12ihipStream_tbENKUlT_T0_E_clISt17integral_constantIbLb1EESZ_IbLb0EEEEDaSV_SW_EUlSV_E_NS1_11comp_targetILNS1_3genE5ELNS1_11target_archE942ELNS1_3gpuE9ELNS1_3repE0EEENS1_30default_config_static_selectorELNS0_4arch9wavefront6targetE0EEEvT1_.num_named_barrier, 0
	.set _ZN7rocprim17ROCPRIM_400000_NS6detail17trampoline_kernelINS0_14default_configENS1_27scan_by_key_config_selectorIllEEZZNS1_16scan_by_key_implILNS1_25lookback_scan_determinismE0ELb0ES3_N6thrust23THRUST_200600_302600_NS16reverse_iteratorIPKlEESD_NSA_IPlEElN6hipcub16HIPCUB_304000_NS3MaxENSH_8EqualityElEE10hipError_tPvRmT2_T3_T4_T5_mT6_T7_P12ihipStream_tbENKUlT_T0_E_clISt17integral_constantIbLb1EESZ_IbLb0EEEEDaSV_SW_EUlSV_E_NS1_11comp_targetILNS1_3genE5ELNS1_11target_archE942ELNS1_3gpuE9ELNS1_3repE0EEENS1_30default_config_static_selectorELNS0_4arch9wavefront6targetE0EEEvT1_.private_seg_size, 0
	.set _ZN7rocprim17ROCPRIM_400000_NS6detail17trampoline_kernelINS0_14default_configENS1_27scan_by_key_config_selectorIllEEZZNS1_16scan_by_key_implILNS1_25lookback_scan_determinismE0ELb0ES3_N6thrust23THRUST_200600_302600_NS16reverse_iteratorIPKlEESD_NSA_IPlEElN6hipcub16HIPCUB_304000_NS3MaxENSH_8EqualityElEE10hipError_tPvRmT2_T3_T4_T5_mT6_T7_P12ihipStream_tbENKUlT_T0_E_clISt17integral_constantIbLb1EESZ_IbLb0EEEEDaSV_SW_EUlSV_E_NS1_11comp_targetILNS1_3genE5ELNS1_11target_archE942ELNS1_3gpuE9ELNS1_3repE0EEENS1_30default_config_static_selectorELNS0_4arch9wavefront6targetE0EEEvT1_.uses_vcc, 0
	.set _ZN7rocprim17ROCPRIM_400000_NS6detail17trampoline_kernelINS0_14default_configENS1_27scan_by_key_config_selectorIllEEZZNS1_16scan_by_key_implILNS1_25lookback_scan_determinismE0ELb0ES3_N6thrust23THRUST_200600_302600_NS16reverse_iteratorIPKlEESD_NSA_IPlEElN6hipcub16HIPCUB_304000_NS3MaxENSH_8EqualityElEE10hipError_tPvRmT2_T3_T4_T5_mT6_T7_P12ihipStream_tbENKUlT_T0_E_clISt17integral_constantIbLb1EESZ_IbLb0EEEEDaSV_SW_EUlSV_E_NS1_11comp_targetILNS1_3genE5ELNS1_11target_archE942ELNS1_3gpuE9ELNS1_3repE0EEENS1_30default_config_static_selectorELNS0_4arch9wavefront6targetE0EEEvT1_.uses_flat_scratch, 0
	.set _ZN7rocprim17ROCPRIM_400000_NS6detail17trampoline_kernelINS0_14default_configENS1_27scan_by_key_config_selectorIllEEZZNS1_16scan_by_key_implILNS1_25lookback_scan_determinismE0ELb0ES3_N6thrust23THRUST_200600_302600_NS16reverse_iteratorIPKlEESD_NSA_IPlEElN6hipcub16HIPCUB_304000_NS3MaxENSH_8EqualityElEE10hipError_tPvRmT2_T3_T4_T5_mT6_T7_P12ihipStream_tbENKUlT_T0_E_clISt17integral_constantIbLb1EESZ_IbLb0EEEEDaSV_SW_EUlSV_E_NS1_11comp_targetILNS1_3genE5ELNS1_11target_archE942ELNS1_3gpuE9ELNS1_3repE0EEENS1_30default_config_static_selectorELNS0_4arch9wavefront6targetE0EEEvT1_.has_dyn_sized_stack, 0
	.set _ZN7rocprim17ROCPRIM_400000_NS6detail17trampoline_kernelINS0_14default_configENS1_27scan_by_key_config_selectorIllEEZZNS1_16scan_by_key_implILNS1_25lookback_scan_determinismE0ELb0ES3_N6thrust23THRUST_200600_302600_NS16reverse_iteratorIPKlEESD_NSA_IPlEElN6hipcub16HIPCUB_304000_NS3MaxENSH_8EqualityElEE10hipError_tPvRmT2_T3_T4_T5_mT6_T7_P12ihipStream_tbENKUlT_T0_E_clISt17integral_constantIbLb1EESZ_IbLb0EEEEDaSV_SW_EUlSV_E_NS1_11comp_targetILNS1_3genE5ELNS1_11target_archE942ELNS1_3gpuE9ELNS1_3repE0EEENS1_30default_config_static_selectorELNS0_4arch9wavefront6targetE0EEEvT1_.has_recursion, 0
	.set _ZN7rocprim17ROCPRIM_400000_NS6detail17trampoline_kernelINS0_14default_configENS1_27scan_by_key_config_selectorIllEEZZNS1_16scan_by_key_implILNS1_25lookback_scan_determinismE0ELb0ES3_N6thrust23THRUST_200600_302600_NS16reverse_iteratorIPKlEESD_NSA_IPlEElN6hipcub16HIPCUB_304000_NS3MaxENSH_8EqualityElEE10hipError_tPvRmT2_T3_T4_T5_mT6_T7_P12ihipStream_tbENKUlT_T0_E_clISt17integral_constantIbLb1EESZ_IbLb0EEEEDaSV_SW_EUlSV_E_NS1_11comp_targetILNS1_3genE5ELNS1_11target_archE942ELNS1_3gpuE9ELNS1_3repE0EEENS1_30default_config_static_selectorELNS0_4arch9wavefront6targetE0EEEvT1_.has_indirect_call, 0
	.section	.AMDGPU.csdata,"",@progbits
; Kernel info:
; codeLenInByte = 0
; TotalNumSgprs: 0
; NumVgprs: 0
; ScratchSize: 0
; MemoryBound: 0
; FloatMode: 240
; IeeeMode: 1
; LDSByteSize: 0 bytes/workgroup (compile time only)
; SGPRBlocks: 0
; VGPRBlocks: 0
; NumSGPRsForWavesPerEU: 1
; NumVGPRsForWavesPerEU: 1
; NamedBarCnt: 0
; Occupancy: 16
; WaveLimiterHint : 0
; COMPUTE_PGM_RSRC2:SCRATCH_EN: 0
; COMPUTE_PGM_RSRC2:USER_SGPR: 2
; COMPUTE_PGM_RSRC2:TRAP_HANDLER: 0
; COMPUTE_PGM_RSRC2:TGID_X_EN: 1
; COMPUTE_PGM_RSRC2:TGID_Y_EN: 0
; COMPUTE_PGM_RSRC2:TGID_Z_EN: 0
; COMPUTE_PGM_RSRC2:TIDIG_COMP_CNT: 0
	.section	.text._ZN7rocprim17ROCPRIM_400000_NS6detail17trampoline_kernelINS0_14default_configENS1_27scan_by_key_config_selectorIllEEZZNS1_16scan_by_key_implILNS1_25lookback_scan_determinismE0ELb0ES3_N6thrust23THRUST_200600_302600_NS16reverse_iteratorIPKlEESD_NSA_IPlEElN6hipcub16HIPCUB_304000_NS3MaxENSH_8EqualityElEE10hipError_tPvRmT2_T3_T4_T5_mT6_T7_P12ihipStream_tbENKUlT_T0_E_clISt17integral_constantIbLb1EESZ_IbLb0EEEEDaSV_SW_EUlSV_E_NS1_11comp_targetILNS1_3genE4ELNS1_11target_archE910ELNS1_3gpuE8ELNS1_3repE0EEENS1_30default_config_static_selectorELNS0_4arch9wavefront6targetE0EEEvT1_,"axG",@progbits,_ZN7rocprim17ROCPRIM_400000_NS6detail17trampoline_kernelINS0_14default_configENS1_27scan_by_key_config_selectorIllEEZZNS1_16scan_by_key_implILNS1_25lookback_scan_determinismE0ELb0ES3_N6thrust23THRUST_200600_302600_NS16reverse_iteratorIPKlEESD_NSA_IPlEElN6hipcub16HIPCUB_304000_NS3MaxENSH_8EqualityElEE10hipError_tPvRmT2_T3_T4_T5_mT6_T7_P12ihipStream_tbENKUlT_T0_E_clISt17integral_constantIbLb1EESZ_IbLb0EEEEDaSV_SW_EUlSV_E_NS1_11comp_targetILNS1_3genE4ELNS1_11target_archE910ELNS1_3gpuE8ELNS1_3repE0EEENS1_30default_config_static_selectorELNS0_4arch9wavefront6targetE0EEEvT1_,comdat
	.protected	_ZN7rocprim17ROCPRIM_400000_NS6detail17trampoline_kernelINS0_14default_configENS1_27scan_by_key_config_selectorIllEEZZNS1_16scan_by_key_implILNS1_25lookback_scan_determinismE0ELb0ES3_N6thrust23THRUST_200600_302600_NS16reverse_iteratorIPKlEESD_NSA_IPlEElN6hipcub16HIPCUB_304000_NS3MaxENSH_8EqualityElEE10hipError_tPvRmT2_T3_T4_T5_mT6_T7_P12ihipStream_tbENKUlT_T0_E_clISt17integral_constantIbLb1EESZ_IbLb0EEEEDaSV_SW_EUlSV_E_NS1_11comp_targetILNS1_3genE4ELNS1_11target_archE910ELNS1_3gpuE8ELNS1_3repE0EEENS1_30default_config_static_selectorELNS0_4arch9wavefront6targetE0EEEvT1_ ; -- Begin function _ZN7rocprim17ROCPRIM_400000_NS6detail17trampoline_kernelINS0_14default_configENS1_27scan_by_key_config_selectorIllEEZZNS1_16scan_by_key_implILNS1_25lookback_scan_determinismE0ELb0ES3_N6thrust23THRUST_200600_302600_NS16reverse_iteratorIPKlEESD_NSA_IPlEElN6hipcub16HIPCUB_304000_NS3MaxENSH_8EqualityElEE10hipError_tPvRmT2_T3_T4_T5_mT6_T7_P12ihipStream_tbENKUlT_T0_E_clISt17integral_constantIbLb1EESZ_IbLb0EEEEDaSV_SW_EUlSV_E_NS1_11comp_targetILNS1_3genE4ELNS1_11target_archE910ELNS1_3gpuE8ELNS1_3repE0EEENS1_30default_config_static_selectorELNS0_4arch9wavefront6targetE0EEEvT1_
	.globl	_ZN7rocprim17ROCPRIM_400000_NS6detail17trampoline_kernelINS0_14default_configENS1_27scan_by_key_config_selectorIllEEZZNS1_16scan_by_key_implILNS1_25lookback_scan_determinismE0ELb0ES3_N6thrust23THRUST_200600_302600_NS16reverse_iteratorIPKlEESD_NSA_IPlEElN6hipcub16HIPCUB_304000_NS3MaxENSH_8EqualityElEE10hipError_tPvRmT2_T3_T4_T5_mT6_T7_P12ihipStream_tbENKUlT_T0_E_clISt17integral_constantIbLb1EESZ_IbLb0EEEEDaSV_SW_EUlSV_E_NS1_11comp_targetILNS1_3genE4ELNS1_11target_archE910ELNS1_3gpuE8ELNS1_3repE0EEENS1_30default_config_static_selectorELNS0_4arch9wavefront6targetE0EEEvT1_
	.p2align	8
	.type	_ZN7rocprim17ROCPRIM_400000_NS6detail17trampoline_kernelINS0_14default_configENS1_27scan_by_key_config_selectorIllEEZZNS1_16scan_by_key_implILNS1_25lookback_scan_determinismE0ELb0ES3_N6thrust23THRUST_200600_302600_NS16reverse_iteratorIPKlEESD_NSA_IPlEElN6hipcub16HIPCUB_304000_NS3MaxENSH_8EqualityElEE10hipError_tPvRmT2_T3_T4_T5_mT6_T7_P12ihipStream_tbENKUlT_T0_E_clISt17integral_constantIbLb1EESZ_IbLb0EEEEDaSV_SW_EUlSV_E_NS1_11comp_targetILNS1_3genE4ELNS1_11target_archE910ELNS1_3gpuE8ELNS1_3repE0EEENS1_30default_config_static_selectorELNS0_4arch9wavefront6targetE0EEEvT1_,@function
_ZN7rocprim17ROCPRIM_400000_NS6detail17trampoline_kernelINS0_14default_configENS1_27scan_by_key_config_selectorIllEEZZNS1_16scan_by_key_implILNS1_25lookback_scan_determinismE0ELb0ES3_N6thrust23THRUST_200600_302600_NS16reverse_iteratorIPKlEESD_NSA_IPlEElN6hipcub16HIPCUB_304000_NS3MaxENSH_8EqualityElEE10hipError_tPvRmT2_T3_T4_T5_mT6_T7_P12ihipStream_tbENKUlT_T0_E_clISt17integral_constantIbLb1EESZ_IbLb0EEEEDaSV_SW_EUlSV_E_NS1_11comp_targetILNS1_3genE4ELNS1_11target_archE910ELNS1_3gpuE8ELNS1_3repE0EEENS1_30default_config_static_selectorELNS0_4arch9wavefront6targetE0EEEvT1_: ; @_ZN7rocprim17ROCPRIM_400000_NS6detail17trampoline_kernelINS0_14default_configENS1_27scan_by_key_config_selectorIllEEZZNS1_16scan_by_key_implILNS1_25lookback_scan_determinismE0ELb0ES3_N6thrust23THRUST_200600_302600_NS16reverse_iteratorIPKlEESD_NSA_IPlEElN6hipcub16HIPCUB_304000_NS3MaxENSH_8EqualityElEE10hipError_tPvRmT2_T3_T4_T5_mT6_T7_P12ihipStream_tbENKUlT_T0_E_clISt17integral_constantIbLb1EESZ_IbLb0EEEEDaSV_SW_EUlSV_E_NS1_11comp_targetILNS1_3genE4ELNS1_11target_archE910ELNS1_3gpuE8ELNS1_3repE0EEENS1_30default_config_static_selectorELNS0_4arch9wavefront6targetE0EEEvT1_
; %bb.0:
	.section	.rodata,"a",@progbits
	.p2align	6, 0x0
	.amdhsa_kernel _ZN7rocprim17ROCPRIM_400000_NS6detail17trampoline_kernelINS0_14default_configENS1_27scan_by_key_config_selectorIllEEZZNS1_16scan_by_key_implILNS1_25lookback_scan_determinismE0ELb0ES3_N6thrust23THRUST_200600_302600_NS16reverse_iteratorIPKlEESD_NSA_IPlEElN6hipcub16HIPCUB_304000_NS3MaxENSH_8EqualityElEE10hipError_tPvRmT2_T3_T4_T5_mT6_T7_P12ihipStream_tbENKUlT_T0_E_clISt17integral_constantIbLb1EESZ_IbLb0EEEEDaSV_SW_EUlSV_E_NS1_11comp_targetILNS1_3genE4ELNS1_11target_archE910ELNS1_3gpuE8ELNS1_3repE0EEENS1_30default_config_static_selectorELNS0_4arch9wavefront6targetE0EEEvT1_
		.amdhsa_group_segment_fixed_size 0
		.amdhsa_private_segment_fixed_size 0
		.amdhsa_kernarg_size 136
		.amdhsa_user_sgpr_count 2
		.amdhsa_user_sgpr_dispatch_ptr 0
		.amdhsa_user_sgpr_queue_ptr 0
		.amdhsa_user_sgpr_kernarg_segment_ptr 1
		.amdhsa_user_sgpr_dispatch_id 0
		.amdhsa_user_sgpr_kernarg_preload_length 0
		.amdhsa_user_sgpr_kernarg_preload_offset 0
		.amdhsa_user_sgpr_private_segment_size 0
		.amdhsa_wavefront_size32 1
		.amdhsa_uses_dynamic_stack 0
		.amdhsa_enable_private_segment 0
		.amdhsa_system_sgpr_workgroup_id_x 1
		.amdhsa_system_sgpr_workgroup_id_y 0
		.amdhsa_system_sgpr_workgroup_id_z 0
		.amdhsa_system_sgpr_workgroup_info 0
		.amdhsa_system_vgpr_workitem_id 0
		.amdhsa_next_free_vgpr 1
		.amdhsa_next_free_sgpr 1
		.amdhsa_named_barrier_count 0
		.amdhsa_reserve_vcc 0
		.amdhsa_float_round_mode_32 0
		.amdhsa_float_round_mode_16_64 0
		.amdhsa_float_denorm_mode_32 3
		.amdhsa_float_denorm_mode_16_64 3
		.amdhsa_fp16_overflow 0
		.amdhsa_memory_ordered 1
		.amdhsa_forward_progress 1
		.amdhsa_inst_pref_size 0
		.amdhsa_round_robin_scheduling 0
		.amdhsa_exception_fp_ieee_invalid_op 0
		.amdhsa_exception_fp_denorm_src 0
		.amdhsa_exception_fp_ieee_div_zero 0
		.amdhsa_exception_fp_ieee_overflow 0
		.amdhsa_exception_fp_ieee_underflow 0
		.amdhsa_exception_fp_ieee_inexact 0
		.amdhsa_exception_int_div_zero 0
	.end_amdhsa_kernel
	.section	.text._ZN7rocprim17ROCPRIM_400000_NS6detail17trampoline_kernelINS0_14default_configENS1_27scan_by_key_config_selectorIllEEZZNS1_16scan_by_key_implILNS1_25lookback_scan_determinismE0ELb0ES3_N6thrust23THRUST_200600_302600_NS16reverse_iteratorIPKlEESD_NSA_IPlEElN6hipcub16HIPCUB_304000_NS3MaxENSH_8EqualityElEE10hipError_tPvRmT2_T3_T4_T5_mT6_T7_P12ihipStream_tbENKUlT_T0_E_clISt17integral_constantIbLb1EESZ_IbLb0EEEEDaSV_SW_EUlSV_E_NS1_11comp_targetILNS1_3genE4ELNS1_11target_archE910ELNS1_3gpuE8ELNS1_3repE0EEENS1_30default_config_static_selectorELNS0_4arch9wavefront6targetE0EEEvT1_,"axG",@progbits,_ZN7rocprim17ROCPRIM_400000_NS6detail17trampoline_kernelINS0_14default_configENS1_27scan_by_key_config_selectorIllEEZZNS1_16scan_by_key_implILNS1_25lookback_scan_determinismE0ELb0ES3_N6thrust23THRUST_200600_302600_NS16reverse_iteratorIPKlEESD_NSA_IPlEElN6hipcub16HIPCUB_304000_NS3MaxENSH_8EqualityElEE10hipError_tPvRmT2_T3_T4_T5_mT6_T7_P12ihipStream_tbENKUlT_T0_E_clISt17integral_constantIbLb1EESZ_IbLb0EEEEDaSV_SW_EUlSV_E_NS1_11comp_targetILNS1_3genE4ELNS1_11target_archE910ELNS1_3gpuE8ELNS1_3repE0EEENS1_30default_config_static_selectorELNS0_4arch9wavefront6targetE0EEEvT1_,comdat
.Lfunc_end160:
	.size	_ZN7rocprim17ROCPRIM_400000_NS6detail17trampoline_kernelINS0_14default_configENS1_27scan_by_key_config_selectorIllEEZZNS1_16scan_by_key_implILNS1_25lookback_scan_determinismE0ELb0ES3_N6thrust23THRUST_200600_302600_NS16reverse_iteratorIPKlEESD_NSA_IPlEElN6hipcub16HIPCUB_304000_NS3MaxENSH_8EqualityElEE10hipError_tPvRmT2_T3_T4_T5_mT6_T7_P12ihipStream_tbENKUlT_T0_E_clISt17integral_constantIbLb1EESZ_IbLb0EEEEDaSV_SW_EUlSV_E_NS1_11comp_targetILNS1_3genE4ELNS1_11target_archE910ELNS1_3gpuE8ELNS1_3repE0EEENS1_30default_config_static_selectorELNS0_4arch9wavefront6targetE0EEEvT1_, .Lfunc_end160-_ZN7rocprim17ROCPRIM_400000_NS6detail17trampoline_kernelINS0_14default_configENS1_27scan_by_key_config_selectorIllEEZZNS1_16scan_by_key_implILNS1_25lookback_scan_determinismE0ELb0ES3_N6thrust23THRUST_200600_302600_NS16reverse_iteratorIPKlEESD_NSA_IPlEElN6hipcub16HIPCUB_304000_NS3MaxENSH_8EqualityElEE10hipError_tPvRmT2_T3_T4_T5_mT6_T7_P12ihipStream_tbENKUlT_T0_E_clISt17integral_constantIbLb1EESZ_IbLb0EEEEDaSV_SW_EUlSV_E_NS1_11comp_targetILNS1_3genE4ELNS1_11target_archE910ELNS1_3gpuE8ELNS1_3repE0EEENS1_30default_config_static_selectorELNS0_4arch9wavefront6targetE0EEEvT1_
                                        ; -- End function
	.set _ZN7rocprim17ROCPRIM_400000_NS6detail17trampoline_kernelINS0_14default_configENS1_27scan_by_key_config_selectorIllEEZZNS1_16scan_by_key_implILNS1_25lookback_scan_determinismE0ELb0ES3_N6thrust23THRUST_200600_302600_NS16reverse_iteratorIPKlEESD_NSA_IPlEElN6hipcub16HIPCUB_304000_NS3MaxENSH_8EqualityElEE10hipError_tPvRmT2_T3_T4_T5_mT6_T7_P12ihipStream_tbENKUlT_T0_E_clISt17integral_constantIbLb1EESZ_IbLb0EEEEDaSV_SW_EUlSV_E_NS1_11comp_targetILNS1_3genE4ELNS1_11target_archE910ELNS1_3gpuE8ELNS1_3repE0EEENS1_30default_config_static_selectorELNS0_4arch9wavefront6targetE0EEEvT1_.num_vgpr, 0
	.set _ZN7rocprim17ROCPRIM_400000_NS6detail17trampoline_kernelINS0_14default_configENS1_27scan_by_key_config_selectorIllEEZZNS1_16scan_by_key_implILNS1_25lookback_scan_determinismE0ELb0ES3_N6thrust23THRUST_200600_302600_NS16reverse_iteratorIPKlEESD_NSA_IPlEElN6hipcub16HIPCUB_304000_NS3MaxENSH_8EqualityElEE10hipError_tPvRmT2_T3_T4_T5_mT6_T7_P12ihipStream_tbENKUlT_T0_E_clISt17integral_constantIbLb1EESZ_IbLb0EEEEDaSV_SW_EUlSV_E_NS1_11comp_targetILNS1_3genE4ELNS1_11target_archE910ELNS1_3gpuE8ELNS1_3repE0EEENS1_30default_config_static_selectorELNS0_4arch9wavefront6targetE0EEEvT1_.num_agpr, 0
	.set _ZN7rocprim17ROCPRIM_400000_NS6detail17trampoline_kernelINS0_14default_configENS1_27scan_by_key_config_selectorIllEEZZNS1_16scan_by_key_implILNS1_25lookback_scan_determinismE0ELb0ES3_N6thrust23THRUST_200600_302600_NS16reverse_iteratorIPKlEESD_NSA_IPlEElN6hipcub16HIPCUB_304000_NS3MaxENSH_8EqualityElEE10hipError_tPvRmT2_T3_T4_T5_mT6_T7_P12ihipStream_tbENKUlT_T0_E_clISt17integral_constantIbLb1EESZ_IbLb0EEEEDaSV_SW_EUlSV_E_NS1_11comp_targetILNS1_3genE4ELNS1_11target_archE910ELNS1_3gpuE8ELNS1_3repE0EEENS1_30default_config_static_selectorELNS0_4arch9wavefront6targetE0EEEvT1_.numbered_sgpr, 0
	.set _ZN7rocprim17ROCPRIM_400000_NS6detail17trampoline_kernelINS0_14default_configENS1_27scan_by_key_config_selectorIllEEZZNS1_16scan_by_key_implILNS1_25lookback_scan_determinismE0ELb0ES3_N6thrust23THRUST_200600_302600_NS16reverse_iteratorIPKlEESD_NSA_IPlEElN6hipcub16HIPCUB_304000_NS3MaxENSH_8EqualityElEE10hipError_tPvRmT2_T3_T4_T5_mT6_T7_P12ihipStream_tbENKUlT_T0_E_clISt17integral_constantIbLb1EESZ_IbLb0EEEEDaSV_SW_EUlSV_E_NS1_11comp_targetILNS1_3genE4ELNS1_11target_archE910ELNS1_3gpuE8ELNS1_3repE0EEENS1_30default_config_static_selectorELNS0_4arch9wavefront6targetE0EEEvT1_.num_named_barrier, 0
	.set _ZN7rocprim17ROCPRIM_400000_NS6detail17trampoline_kernelINS0_14default_configENS1_27scan_by_key_config_selectorIllEEZZNS1_16scan_by_key_implILNS1_25lookback_scan_determinismE0ELb0ES3_N6thrust23THRUST_200600_302600_NS16reverse_iteratorIPKlEESD_NSA_IPlEElN6hipcub16HIPCUB_304000_NS3MaxENSH_8EqualityElEE10hipError_tPvRmT2_T3_T4_T5_mT6_T7_P12ihipStream_tbENKUlT_T0_E_clISt17integral_constantIbLb1EESZ_IbLb0EEEEDaSV_SW_EUlSV_E_NS1_11comp_targetILNS1_3genE4ELNS1_11target_archE910ELNS1_3gpuE8ELNS1_3repE0EEENS1_30default_config_static_selectorELNS0_4arch9wavefront6targetE0EEEvT1_.private_seg_size, 0
	.set _ZN7rocprim17ROCPRIM_400000_NS6detail17trampoline_kernelINS0_14default_configENS1_27scan_by_key_config_selectorIllEEZZNS1_16scan_by_key_implILNS1_25lookback_scan_determinismE0ELb0ES3_N6thrust23THRUST_200600_302600_NS16reverse_iteratorIPKlEESD_NSA_IPlEElN6hipcub16HIPCUB_304000_NS3MaxENSH_8EqualityElEE10hipError_tPvRmT2_T3_T4_T5_mT6_T7_P12ihipStream_tbENKUlT_T0_E_clISt17integral_constantIbLb1EESZ_IbLb0EEEEDaSV_SW_EUlSV_E_NS1_11comp_targetILNS1_3genE4ELNS1_11target_archE910ELNS1_3gpuE8ELNS1_3repE0EEENS1_30default_config_static_selectorELNS0_4arch9wavefront6targetE0EEEvT1_.uses_vcc, 0
	.set _ZN7rocprim17ROCPRIM_400000_NS6detail17trampoline_kernelINS0_14default_configENS1_27scan_by_key_config_selectorIllEEZZNS1_16scan_by_key_implILNS1_25lookback_scan_determinismE0ELb0ES3_N6thrust23THRUST_200600_302600_NS16reverse_iteratorIPKlEESD_NSA_IPlEElN6hipcub16HIPCUB_304000_NS3MaxENSH_8EqualityElEE10hipError_tPvRmT2_T3_T4_T5_mT6_T7_P12ihipStream_tbENKUlT_T0_E_clISt17integral_constantIbLb1EESZ_IbLb0EEEEDaSV_SW_EUlSV_E_NS1_11comp_targetILNS1_3genE4ELNS1_11target_archE910ELNS1_3gpuE8ELNS1_3repE0EEENS1_30default_config_static_selectorELNS0_4arch9wavefront6targetE0EEEvT1_.uses_flat_scratch, 0
	.set _ZN7rocprim17ROCPRIM_400000_NS6detail17trampoline_kernelINS0_14default_configENS1_27scan_by_key_config_selectorIllEEZZNS1_16scan_by_key_implILNS1_25lookback_scan_determinismE0ELb0ES3_N6thrust23THRUST_200600_302600_NS16reverse_iteratorIPKlEESD_NSA_IPlEElN6hipcub16HIPCUB_304000_NS3MaxENSH_8EqualityElEE10hipError_tPvRmT2_T3_T4_T5_mT6_T7_P12ihipStream_tbENKUlT_T0_E_clISt17integral_constantIbLb1EESZ_IbLb0EEEEDaSV_SW_EUlSV_E_NS1_11comp_targetILNS1_3genE4ELNS1_11target_archE910ELNS1_3gpuE8ELNS1_3repE0EEENS1_30default_config_static_selectorELNS0_4arch9wavefront6targetE0EEEvT1_.has_dyn_sized_stack, 0
	.set _ZN7rocprim17ROCPRIM_400000_NS6detail17trampoline_kernelINS0_14default_configENS1_27scan_by_key_config_selectorIllEEZZNS1_16scan_by_key_implILNS1_25lookback_scan_determinismE0ELb0ES3_N6thrust23THRUST_200600_302600_NS16reverse_iteratorIPKlEESD_NSA_IPlEElN6hipcub16HIPCUB_304000_NS3MaxENSH_8EqualityElEE10hipError_tPvRmT2_T3_T4_T5_mT6_T7_P12ihipStream_tbENKUlT_T0_E_clISt17integral_constantIbLb1EESZ_IbLb0EEEEDaSV_SW_EUlSV_E_NS1_11comp_targetILNS1_3genE4ELNS1_11target_archE910ELNS1_3gpuE8ELNS1_3repE0EEENS1_30default_config_static_selectorELNS0_4arch9wavefront6targetE0EEEvT1_.has_recursion, 0
	.set _ZN7rocprim17ROCPRIM_400000_NS6detail17trampoline_kernelINS0_14default_configENS1_27scan_by_key_config_selectorIllEEZZNS1_16scan_by_key_implILNS1_25lookback_scan_determinismE0ELb0ES3_N6thrust23THRUST_200600_302600_NS16reverse_iteratorIPKlEESD_NSA_IPlEElN6hipcub16HIPCUB_304000_NS3MaxENSH_8EqualityElEE10hipError_tPvRmT2_T3_T4_T5_mT6_T7_P12ihipStream_tbENKUlT_T0_E_clISt17integral_constantIbLb1EESZ_IbLb0EEEEDaSV_SW_EUlSV_E_NS1_11comp_targetILNS1_3genE4ELNS1_11target_archE910ELNS1_3gpuE8ELNS1_3repE0EEENS1_30default_config_static_selectorELNS0_4arch9wavefront6targetE0EEEvT1_.has_indirect_call, 0
	.section	.AMDGPU.csdata,"",@progbits
; Kernel info:
; codeLenInByte = 0
; TotalNumSgprs: 0
; NumVgprs: 0
; ScratchSize: 0
; MemoryBound: 0
; FloatMode: 240
; IeeeMode: 1
; LDSByteSize: 0 bytes/workgroup (compile time only)
; SGPRBlocks: 0
; VGPRBlocks: 0
; NumSGPRsForWavesPerEU: 1
; NumVGPRsForWavesPerEU: 1
; NamedBarCnt: 0
; Occupancy: 16
; WaveLimiterHint : 0
; COMPUTE_PGM_RSRC2:SCRATCH_EN: 0
; COMPUTE_PGM_RSRC2:USER_SGPR: 2
; COMPUTE_PGM_RSRC2:TRAP_HANDLER: 0
; COMPUTE_PGM_RSRC2:TGID_X_EN: 1
; COMPUTE_PGM_RSRC2:TGID_Y_EN: 0
; COMPUTE_PGM_RSRC2:TGID_Z_EN: 0
; COMPUTE_PGM_RSRC2:TIDIG_COMP_CNT: 0
	.section	.text._ZN7rocprim17ROCPRIM_400000_NS6detail17trampoline_kernelINS0_14default_configENS1_27scan_by_key_config_selectorIllEEZZNS1_16scan_by_key_implILNS1_25lookback_scan_determinismE0ELb0ES3_N6thrust23THRUST_200600_302600_NS16reverse_iteratorIPKlEESD_NSA_IPlEElN6hipcub16HIPCUB_304000_NS3MaxENSH_8EqualityElEE10hipError_tPvRmT2_T3_T4_T5_mT6_T7_P12ihipStream_tbENKUlT_T0_E_clISt17integral_constantIbLb1EESZ_IbLb0EEEEDaSV_SW_EUlSV_E_NS1_11comp_targetILNS1_3genE3ELNS1_11target_archE908ELNS1_3gpuE7ELNS1_3repE0EEENS1_30default_config_static_selectorELNS0_4arch9wavefront6targetE0EEEvT1_,"axG",@progbits,_ZN7rocprim17ROCPRIM_400000_NS6detail17trampoline_kernelINS0_14default_configENS1_27scan_by_key_config_selectorIllEEZZNS1_16scan_by_key_implILNS1_25lookback_scan_determinismE0ELb0ES3_N6thrust23THRUST_200600_302600_NS16reverse_iteratorIPKlEESD_NSA_IPlEElN6hipcub16HIPCUB_304000_NS3MaxENSH_8EqualityElEE10hipError_tPvRmT2_T3_T4_T5_mT6_T7_P12ihipStream_tbENKUlT_T0_E_clISt17integral_constantIbLb1EESZ_IbLb0EEEEDaSV_SW_EUlSV_E_NS1_11comp_targetILNS1_3genE3ELNS1_11target_archE908ELNS1_3gpuE7ELNS1_3repE0EEENS1_30default_config_static_selectorELNS0_4arch9wavefront6targetE0EEEvT1_,comdat
	.protected	_ZN7rocprim17ROCPRIM_400000_NS6detail17trampoline_kernelINS0_14default_configENS1_27scan_by_key_config_selectorIllEEZZNS1_16scan_by_key_implILNS1_25lookback_scan_determinismE0ELb0ES3_N6thrust23THRUST_200600_302600_NS16reverse_iteratorIPKlEESD_NSA_IPlEElN6hipcub16HIPCUB_304000_NS3MaxENSH_8EqualityElEE10hipError_tPvRmT2_T3_T4_T5_mT6_T7_P12ihipStream_tbENKUlT_T0_E_clISt17integral_constantIbLb1EESZ_IbLb0EEEEDaSV_SW_EUlSV_E_NS1_11comp_targetILNS1_3genE3ELNS1_11target_archE908ELNS1_3gpuE7ELNS1_3repE0EEENS1_30default_config_static_selectorELNS0_4arch9wavefront6targetE0EEEvT1_ ; -- Begin function _ZN7rocprim17ROCPRIM_400000_NS6detail17trampoline_kernelINS0_14default_configENS1_27scan_by_key_config_selectorIllEEZZNS1_16scan_by_key_implILNS1_25lookback_scan_determinismE0ELb0ES3_N6thrust23THRUST_200600_302600_NS16reverse_iteratorIPKlEESD_NSA_IPlEElN6hipcub16HIPCUB_304000_NS3MaxENSH_8EqualityElEE10hipError_tPvRmT2_T3_T4_T5_mT6_T7_P12ihipStream_tbENKUlT_T0_E_clISt17integral_constantIbLb1EESZ_IbLb0EEEEDaSV_SW_EUlSV_E_NS1_11comp_targetILNS1_3genE3ELNS1_11target_archE908ELNS1_3gpuE7ELNS1_3repE0EEENS1_30default_config_static_selectorELNS0_4arch9wavefront6targetE0EEEvT1_
	.globl	_ZN7rocprim17ROCPRIM_400000_NS6detail17trampoline_kernelINS0_14default_configENS1_27scan_by_key_config_selectorIllEEZZNS1_16scan_by_key_implILNS1_25lookback_scan_determinismE0ELb0ES3_N6thrust23THRUST_200600_302600_NS16reverse_iteratorIPKlEESD_NSA_IPlEElN6hipcub16HIPCUB_304000_NS3MaxENSH_8EqualityElEE10hipError_tPvRmT2_T3_T4_T5_mT6_T7_P12ihipStream_tbENKUlT_T0_E_clISt17integral_constantIbLb1EESZ_IbLb0EEEEDaSV_SW_EUlSV_E_NS1_11comp_targetILNS1_3genE3ELNS1_11target_archE908ELNS1_3gpuE7ELNS1_3repE0EEENS1_30default_config_static_selectorELNS0_4arch9wavefront6targetE0EEEvT1_
	.p2align	8
	.type	_ZN7rocprim17ROCPRIM_400000_NS6detail17trampoline_kernelINS0_14default_configENS1_27scan_by_key_config_selectorIllEEZZNS1_16scan_by_key_implILNS1_25lookback_scan_determinismE0ELb0ES3_N6thrust23THRUST_200600_302600_NS16reverse_iteratorIPKlEESD_NSA_IPlEElN6hipcub16HIPCUB_304000_NS3MaxENSH_8EqualityElEE10hipError_tPvRmT2_T3_T4_T5_mT6_T7_P12ihipStream_tbENKUlT_T0_E_clISt17integral_constantIbLb1EESZ_IbLb0EEEEDaSV_SW_EUlSV_E_NS1_11comp_targetILNS1_3genE3ELNS1_11target_archE908ELNS1_3gpuE7ELNS1_3repE0EEENS1_30default_config_static_selectorELNS0_4arch9wavefront6targetE0EEEvT1_,@function
_ZN7rocprim17ROCPRIM_400000_NS6detail17trampoline_kernelINS0_14default_configENS1_27scan_by_key_config_selectorIllEEZZNS1_16scan_by_key_implILNS1_25lookback_scan_determinismE0ELb0ES3_N6thrust23THRUST_200600_302600_NS16reverse_iteratorIPKlEESD_NSA_IPlEElN6hipcub16HIPCUB_304000_NS3MaxENSH_8EqualityElEE10hipError_tPvRmT2_T3_T4_T5_mT6_T7_P12ihipStream_tbENKUlT_T0_E_clISt17integral_constantIbLb1EESZ_IbLb0EEEEDaSV_SW_EUlSV_E_NS1_11comp_targetILNS1_3genE3ELNS1_11target_archE908ELNS1_3gpuE7ELNS1_3repE0EEENS1_30default_config_static_selectorELNS0_4arch9wavefront6targetE0EEEvT1_: ; @_ZN7rocprim17ROCPRIM_400000_NS6detail17trampoline_kernelINS0_14default_configENS1_27scan_by_key_config_selectorIllEEZZNS1_16scan_by_key_implILNS1_25lookback_scan_determinismE0ELb0ES3_N6thrust23THRUST_200600_302600_NS16reverse_iteratorIPKlEESD_NSA_IPlEElN6hipcub16HIPCUB_304000_NS3MaxENSH_8EqualityElEE10hipError_tPvRmT2_T3_T4_T5_mT6_T7_P12ihipStream_tbENKUlT_T0_E_clISt17integral_constantIbLb1EESZ_IbLb0EEEEDaSV_SW_EUlSV_E_NS1_11comp_targetILNS1_3genE3ELNS1_11target_archE908ELNS1_3gpuE7ELNS1_3repE0EEENS1_30default_config_static_selectorELNS0_4arch9wavefront6targetE0EEEvT1_
; %bb.0:
	.section	.rodata,"a",@progbits
	.p2align	6, 0x0
	.amdhsa_kernel _ZN7rocprim17ROCPRIM_400000_NS6detail17trampoline_kernelINS0_14default_configENS1_27scan_by_key_config_selectorIllEEZZNS1_16scan_by_key_implILNS1_25lookback_scan_determinismE0ELb0ES3_N6thrust23THRUST_200600_302600_NS16reverse_iteratorIPKlEESD_NSA_IPlEElN6hipcub16HIPCUB_304000_NS3MaxENSH_8EqualityElEE10hipError_tPvRmT2_T3_T4_T5_mT6_T7_P12ihipStream_tbENKUlT_T0_E_clISt17integral_constantIbLb1EESZ_IbLb0EEEEDaSV_SW_EUlSV_E_NS1_11comp_targetILNS1_3genE3ELNS1_11target_archE908ELNS1_3gpuE7ELNS1_3repE0EEENS1_30default_config_static_selectorELNS0_4arch9wavefront6targetE0EEEvT1_
		.amdhsa_group_segment_fixed_size 0
		.amdhsa_private_segment_fixed_size 0
		.amdhsa_kernarg_size 136
		.amdhsa_user_sgpr_count 2
		.amdhsa_user_sgpr_dispatch_ptr 0
		.amdhsa_user_sgpr_queue_ptr 0
		.amdhsa_user_sgpr_kernarg_segment_ptr 1
		.amdhsa_user_sgpr_dispatch_id 0
		.amdhsa_user_sgpr_kernarg_preload_length 0
		.amdhsa_user_sgpr_kernarg_preload_offset 0
		.amdhsa_user_sgpr_private_segment_size 0
		.amdhsa_wavefront_size32 1
		.amdhsa_uses_dynamic_stack 0
		.amdhsa_enable_private_segment 0
		.amdhsa_system_sgpr_workgroup_id_x 1
		.amdhsa_system_sgpr_workgroup_id_y 0
		.amdhsa_system_sgpr_workgroup_id_z 0
		.amdhsa_system_sgpr_workgroup_info 0
		.amdhsa_system_vgpr_workitem_id 0
		.amdhsa_next_free_vgpr 1
		.amdhsa_next_free_sgpr 1
		.amdhsa_named_barrier_count 0
		.amdhsa_reserve_vcc 0
		.amdhsa_float_round_mode_32 0
		.amdhsa_float_round_mode_16_64 0
		.amdhsa_float_denorm_mode_32 3
		.amdhsa_float_denorm_mode_16_64 3
		.amdhsa_fp16_overflow 0
		.amdhsa_memory_ordered 1
		.amdhsa_forward_progress 1
		.amdhsa_inst_pref_size 0
		.amdhsa_round_robin_scheduling 0
		.amdhsa_exception_fp_ieee_invalid_op 0
		.amdhsa_exception_fp_denorm_src 0
		.amdhsa_exception_fp_ieee_div_zero 0
		.amdhsa_exception_fp_ieee_overflow 0
		.amdhsa_exception_fp_ieee_underflow 0
		.amdhsa_exception_fp_ieee_inexact 0
		.amdhsa_exception_int_div_zero 0
	.end_amdhsa_kernel
	.section	.text._ZN7rocprim17ROCPRIM_400000_NS6detail17trampoline_kernelINS0_14default_configENS1_27scan_by_key_config_selectorIllEEZZNS1_16scan_by_key_implILNS1_25lookback_scan_determinismE0ELb0ES3_N6thrust23THRUST_200600_302600_NS16reverse_iteratorIPKlEESD_NSA_IPlEElN6hipcub16HIPCUB_304000_NS3MaxENSH_8EqualityElEE10hipError_tPvRmT2_T3_T4_T5_mT6_T7_P12ihipStream_tbENKUlT_T0_E_clISt17integral_constantIbLb1EESZ_IbLb0EEEEDaSV_SW_EUlSV_E_NS1_11comp_targetILNS1_3genE3ELNS1_11target_archE908ELNS1_3gpuE7ELNS1_3repE0EEENS1_30default_config_static_selectorELNS0_4arch9wavefront6targetE0EEEvT1_,"axG",@progbits,_ZN7rocprim17ROCPRIM_400000_NS6detail17trampoline_kernelINS0_14default_configENS1_27scan_by_key_config_selectorIllEEZZNS1_16scan_by_key_implILNS1_25lookback_scan_determinismE0ELb0ES3_N6thrust23THRUST_200600_302600_NS16reverse_iteratorIPKlEESD_NSA_IPlEElN6hipcub16HIPCUB_304000_NS3MaxENSH_8EqualityElEE10hipError_tPvRmT2_T3_T4_T5_mT6_T7_P12ihipStream_tbENKUlT_T0_E_clISt17integral_constantIbLb1EESZ_IbLb0EEEEDaSV_SW_EUlSV_E_NS1_11comp_targetILNS1_3genE3ELNS1_11target_archE908ELNS1_3gpuE7ELNS1_3repE0EEENS1_30default_config_static_selectorELNS0_4arch9wavefront6targetE0EEEvT1_,comdat
.Lfunc_end161:
	.size	_ZN7rocprim17ROCPRIM_400000_NS6detail17trampoline_kernelINS0_14default_configENS1_27scan_by_key_config_selectorIllEEZZNS1_16scan_by_key_implILNS1_25lookback_scan_determinismE0ELb0ES3_N6thrust23THRUST_200600_302600_NS16reverse_iteratorIPKlEESD_NSA_IPlEElN6hipcub16HIPCUB_304000_NS3MaxENSH_8EqualityElEE10hipError_tPvRmT2_T3_T4_T5_mT6_T7_P12ihipStream_tbENKUlT_T0_E_clISt17integral_constantIbLb1EESZ_IbLb0EEEEDaSV_SW_EUlSV_E_NS1_11comp_targetILNS1_3genE3ELNS1_11target_archE908ELNS1_3gpuE7ELNS1_3repE0EEENS1_30default_config_static_selectorELNS0_4arch9wavefront6targetE0EEEvT1_, .Lfunc_end161-_ZN7rocprim17ROCPRIM_400000_NS6detail17trampoline_kernelINS0_14default_configENS1_27scan_by_key_config_selectorIllEEZZNS1_16scan_by_key_implILNS1_25lookback_scan_determinismE0ELb0ES3_N6thrust23THRUST_200600_302600_NS16reverse_iteratorIPKlEESD_NSA_IPlEElN6hipcub16HIPCUB_304000_NS3MaxENSH_8EqualityElEE10hipError_tPvRmT2_T3_T4_T5_mT6_T7_P12ihipStream_tbENKUlT_T0_E_clISt17integral_constantIbLb1EESZ_IbLb0EEEEDaSV_SW_EUlSV_E_NS1_11comp_targetILNS1_3genE3ELNS1_11target_archE908ELNS1_3gpuE7ELNS1_3repE0EEENS1_30default_config_static_selectorELNS0_4arch9wavefront6targetE0EEEvT1_
                                        ; -- End function
	.set _ZN7rocprim17ROCPRIM_400000_NS6detail17trampoline_kernelINS0_14default_configENS1_27scan_by_key_config_selectorIllEEZZNS1_16scan_by_key_implILNS1_25lookback_scan_determinismE0ELb0ES3_N6thrust23THRUST_200600_302600_NS16reverse_iteratorIPKlEESD_NSA_IPlEElN6hipcub16HIPCUB_304000_NS3MaxENSH_8EqualityElEE10hipError_tPvRmT2_T3_T4_T5_mT6_T7_P12ihipStream_tbENKUlT_T0_E_clISt17integral_constantIbLb1EESZ_IbLb0EEEEDaSV_SW_EUlSV_E_NS1_11comp_targetILNS1_3genE3ELNS1_11target_archE908ELNS1_3gpuE7ELNS1_3repE0EEENS1_30default_config_static_selectorELNS0_4arch9wavefront6targetE0EEEvT1_.num_vgpr, 0
	.set _ZN7rocprim17ROCPRIM_400000_NS6detail17trampoline_kernelINS0_14default_configENS1_27scan_by_key_config_selectorIllEEZZNS1_16scan_by_key_implILNS1_25lookback_scan_determinismE0ELb0ES3_N6thrust23THRUST_200600_302600_NS16reverse_iteratorIPKlEESD_NSA_IPlEElN6hipcub16HIPCUB_304000_NS3MaxENSH_8EqualityElEE10hipError_tPvRmT2_T3_T4_T5_mT6_T7_P12ihipStream_tbENKUlT_T0_E_clISt17integral_constantIbLb1EESZ_IbLb0EEEEDaSV_SW_EUlSV_E_NS1_11comp_targetILNS1_3genE3ELNS1_11target_archE908ELNS1_3gpuE7ELNS1_3repE0EEENS1_30default_config_static_selectorELNS0_4arch9wavefront6targetE0EEEvT1_.num_agpr, 0
	.set _ZN7rocprim17ROCPRIM_400000_NS6detail17trampoline_kernelINS0_14default_configENS1_27scan_by_key_config_selectorIllEEZZNS1_16scan_by_key_implILNS1_25lookback_scan_determinismE0ELb0ES3_N6thrust23THRUST_200600_302600_NS16reverse_iteratorIPKlEESD_NSA_IPlEElN6hipcub16HIPCUB_304000_NS3MaxENSH_8EqualityElEE10hipError_tPvRmT2_T3_T4_T5_mT6_T7_P12ihipStream_tbENKUlT_T0_E_clISt17integral_constantIbLb1EESZ_IbLb0EEEEDaSV_SW_EUlSV_E_NS1_11comp_targetILNS1_3genE3ELNS1_11target_archE908ELNS1_3gpuE7ELNS1_3repE0EEENS1_30default_config_static_selectorELNS0_4arch9wavefront6targetE0EEEvT1_.numbered_sgpr, 0
	.set _ZN7rocprim17ROCPRIM_400000_NS6detail17trampoline_kernelINS0_14default_configENS1_27scan_by_key_config_selectorIllEEZZNS1_16scan_by_key_implILNS1_25lookback_scan_determinismE0ELb0ES3_N6thrust23THRUST_200600_302600_NS16reverse_iteratorIPKlEESD_NSA_IPlEElN6hipcub16HIPCUB_304000_NS3MaxENSH_8EqualityElEE10hipError_tPvRmT2_T3_T4_T5_mT6_T7_P12ihipStream_tbENKUlT_T0_E_clISt17integral_constantIbLb1EESZ_IbLb0EEEEDaSV_SW_EUlSV_E_NS1_11comp_targetILNS1_3genE3ELNS1_11target_archE908ELNS1_3gpuE7ELNS1_3repE0EEENS1_30default_config_static_selectorELNS0_4arch9wavefront6targetE0EEEvT1_.num_named_barrier, 0
	.set _ZN7rocprim17ROCPRIM_400000_NS6detail17trampoline_kernelINS0_14default_configENS1_27scan_by_key_config_selectorIllEEZZNS1_16scan_by_key_implILNS1_25lookback_scan_determinismE0ELb0ES3_N6thrust23THRUST_200600_302600_NS16reverse_iteratorIPKlEESD_NSA_IPlEElN6hipcub16HIPCUB_304000_NS3MaxENSH_8EqualityElEE10hipError_tPvRmT2_T3_T4_T5_mT6_T7_P12ihipStream_tbENKUlT_T0_E_clISt17integral_constantIbLb1EESZ_IbLb0EEEEDaSV_SW_EUlSV_E_NS1_11comp_targetILNS1_3genE3ELNS1_11target_archE908ELNS1_3gpuE7ELNS1_3repE0EEENS1_30default_config_static_selectorELNS0_4arch9wavefront6targetE0EEEvT1_.private_seg_size, 0
	.set _ZN7rocprim17ROCPRIM_400000_NS6detail17trampoline_kernelINS0_14default_configENS1_27scan_by_key_config_selectorIllEEZZNS1_16scan_by_key_implILNS1_25lookback_scan_determinismE0ELb0ES3_N6thrust23THRUST_200600_302600_NS16reverse_iteratorIPKlEESD_NSA_IPlEElN6hipcub16HIPCUB_304000_NS3MaxENSH_8EqualityElEE10hipError_tPvRmT2_T3_T4_T5_mT6_T7_P12ihipStream_tbENKUlT_T0_E_clISt17integral_constantIbLb1EESZ_IbLb0EEEEDaSV_SW_EUlSV_E_NS1_11comp_targetILNS1_3genE3ELNS1_11target_archE908ELNS1_3gpuE7ELNS1_3repE0EEENS1_30default_config_static_selectorELNS0_4arch9wavefront6targetE0EEEvT1_.uses_vcc, 0
	.set _ZN7rocprim17ROCPRIM_400000_NS6detail17trampoline_kernelINS0_14default_configENS1_27scan_by_key_config_selectorIllEEZZNS1_16scan_by_key_implILNS1_25lookback_scan_determinismE0ELb0ES3_N6thrust23THRUST_200600_302600_NS16reverse_iteratorIPKlEESD_NSA_IPlEElN6hipcub16HIPCUB_304000_NS3MaxENSH_8EqualityElEE10hipError_tPvRmT2_T3_T4_T5_mT6_T7_P12ihipStream_tbENKUlT_T0_E_clISt17integral_constantIbLb1EESZ_IbLb0EEEEDaSV_SW_EUlSV_E_NS1_11comp_targetILNS1_3genE3ELNS1_11target_archE908ELNS1_3gpuE7ELNS1_3repE0EEENS1_30default_config_static_selectorELNS0_4arch9wavefront6targetE0EEEvT1_.uses_flat_scratch, 0
	.set _ZN7rocprim17ROCPRIM_400000_NS6detail17trampoline_kernelINS0_14default_configENS1_27scan_by_key_config_selectorIllEEZZNS1_16scan_by_key_implILNS1_25lookback_scan_determinismE0ELb0ES3_N6thrust23THRUST_200600_302600_NS16reverse_iteratorIPKlEESD_NSA_IPlEElN6hipcub16HIPCUB_304000_NS3MaxENSH_8EqualityElEE10hipError_tPvRmT2_T3_T4_T5_mT6_T7_P12ihipStream_tbENKUlT_T0_E_clISt17integral_constantIbLb1EESZ_IbLb0EEEEDaSV_SW_EUlSV_E_NS1_11comp_targetILNS1_3genE3ELNS1_11target_archE908ELNS1_3gpuE7ELNS1_3repE0EEENS1_30default_config_static_selectorELNS0_4arch9wavefront6targetE0EEEvT1_.has_dyn_sized_stack, 0
	.set _ZN7rocprim17ROCPRIM_400000_NS6detail17trampoline_kernelINS0_14default_configENS1_27scan_by_key_config_selectorIllEEZZNS1_16scan_by_key_implILNS1_25lookback_scan_determinismE0ELb0ES3_N6thrust23THRUST_200600_302600_NS16reverse_iteratorIPKlEESD_NSA_IPlEElN6hipcub16HIPCUB_304000_NS3MaxENSH_8EqualityElEE10hipError_tPvRmT2_T3_T4_T5_mT6_T7_P12ihipStream_tbENKUlT_T0_E_clISt17integral_constantIbLb1EESZ_IbLb0EEEEDaSV_SW_EUlSV_E_NS1_11comp_targetILNS1_3genE3ELNS1_11target_archE908ELNS1_3gpuE7ELNS1_3repE0EEENS1_30default_config_static_selectorELNS0_4arch9wavefront6targetE0EEEvT1_.has_recursion, 0
	.set _ZN7rocprim17ROCPRIM_400000_NS6detail17trampoline_kernelINS0_14default_configENS1_27scan_by_key_config_selectorIllEEZZNS1_16scan_by_key_implILNS1_25lookback_scan_determinismE0ELb0ES3_N6thrust23THRUST_200600_302600_NS16reverse_iteratorIPKlEESD_NSA_IPlEElN6hipcub16HIPCUB_304000_NS3MaxENSH_8EqualityElEE10hipError_tPvRmT2_T3_T4_T5_mT6_T7_P12ihipStream_tbENKUlT_T0_E_clISt17integral_constantIbLb1EESZ_IbLb0EEEEDaSV_SW_EUlSV_E_NS1_11comp_targetILNS1_3genE3ELNS1_11target_archE908ELNS1_3gpuE7ELNS1_3repE0EEENS1_30default_config_static_selectorELNS0_4arch9wavefront6targetE0EEEvT1_.has_indirect_call, 0
	.section	.AMDGPU.csdata,"",@progbits
; Kernel info:
; codeLenInByte = 0
; TotalNumSgprs: 0
; NumVgprs: 0
; ScratchSize: 0
; MemoryBound: 0
; FloatMode: 240
; IeeeMode: 1
; LDSByteSize: 0 bytes/workgroup (compile time only)
; SGPRBlocks: 0
; VGPRBlocks: 0
; NumSGPRsForWavesPerEU: 1
; NumVGPRsForWavesPerEU: 1
; NamedBarCnt: 0
; Occupancy: 16
; WaveLimiterHint : 0
; COMPUTE_PGM_RSRC2:SCRATCH_EN: 0
; COMPUTE_PGM_RSRC2:USER_SGPR: 2
; COMPUTE_PGM_RSRC2:TRAP_HANDLER: 0
; COMPUTE_PGM_RSRC2:TGID_X_EN: 1
; COMPUTE_PGM_RSRC2:TGID_Y_EN: 0
; COMPUTE_PGM_RSRC2:TGID_Z_EN: 0
; COMPUTE_PGM_RSRC2:TIDIG_COMP_CNT: 0
	.section	.text._ZN7rocprim17ROCPRIM_400000_NS6detail17trampoline_kernelINS0_14default_configENS1_27scan_by_key_config_selectorIllEEZZNS1_16scan_by_key_implILNS1_25lookback_scan_determinismE0ELb0ES3_N6thrust23THRUST_200600_302600_NS16reverse_iteratorIPKlEESD_NSA_IPlEElN6hipcub16HIPCUB_304000_NS3MaxENSH_8EqualityElEE10hipError_tPvRmT2_T3_T4_T5_mT6_T7_P12ihipStream_tbENKUlT_T0_E_clISt17integral_constantIbLb1EESZ_IbLb0EEEEDaSV_SW_EUlSV_E_NS1_11comp_targetILNS1_3genE2ELNS1_11target_archE906ELNS1_3gpuE6ELNS1_3repE0EEENS1_30default_config_static_selectorELNS0_4arch9wavefront6targetE0EEEvT1_,"axG",@progbits,_ZN7rocprim17ROCPRIM_400000_NS6detail17trampoline_kernelINS0_14default_configENS1_27scan_by_key_config_selectorIllEEZZNS1_16scan_by_key_implILNS1_25lookback_scan_determinismE0ELb0ES3_N6thrust23THRUST_200600_302600_NS16reverse_iteratorIPKlEESD_NSA_IPlEElN6hipcub16HIPCUB_304000_NS3MaxENSH_8EqualityElEE10hipError_tPvRmT2_T3_T4_T5_mT6_T7_P12ihipStream_tbENKUlT_T0_E_clISt17integral_constantIbLb1EESZ_IbLb0EEEEDaSV_SW_EUlSV_E_NS1_11comp_targetILNS1_3genE2ELNS1_11target_archE906ELNS1_3gpuE6ELNS1_3repE0EEENS1_30default_config_static_selectorELNS0_4arch9wavefront6targetE0EEEvT1_,comdat
	.protected	_ZN7rocprim17ROCPRIM_400000_NS6detail17trampoline_kernelINS0_14default_configENS1_27scan_by_key_config_selectorIllEEZZNS1_16scan_by_key_implILNS1_25lookback_scan_determinismE0ELb0ES3_N6thrust23THRUST_200600_302600_NS16reverse_iteratorIPKlEESD_NSA_IPlEElN6hipcub16HIPCUB_304000_NS3MaxENSH_8EqualityElEE10hipError_tPvRmT2_T3_T4_T5_mT6_T7_P12ihipStream_tbENKUlT_T0_E_clISt17integral_constantIbLb1EESZ_IbLb0EEEEDaSV_SW_EUlSV_E_NS1_11comp_targetILNS1_3genE2ELNS1_11target_archE906ELNS1_3gpuE6ELNS1_3repE0EEENS1_30default_config_static_selectorELNS0_4arch9wavefront6targetE0EEEvT1_ ; -- Begin function _ZN7rocprim17ROCPRIM_400000_NS6detail17trampoline_kernelINS0_14default_configENS1_27scan_by_key_config_selectorIllEEZZNS1_16scan_by_key_implILNS1_25lookback_scan_determinismE0ELb0ES3_N6thrust23THRUST_200600_302600_NS16reverse_iteratorIPKlEESD_NSA_IPlEElN6hipcub16HIPCUB_304000_NS3MaxENSH_8EqualityElEE10hipError_tPvRmT2_T3_T4_T5_mT6_T7_P12ihipStream_tbENKUlT_T0_E_clISt17integral_constantIbLb1EESZ_IbLb0EEEEDaSV_SW_EUlSV_E_NS1_11comp_targetILNS1_3genE2ELNS1_11target_archE906ELNS1_3gpuE6ELNS1_3repE0EEENS1_30default_config_static_selectorELNS0_4arch9wavefront6targetE0EEEvT1_
	.globl	_ZN7rocprim17ROCPRIM_400000_NS6detail17trampoline_kernelINS0_14default_configENS1_27scan_by_key_config_selectorIllEEZZNS1_16scan_by_key_implILNS1_25lookback_scan_determinismE0ELb0ES3_N6thrust23THRUST_200600_302600_NS16reverse_iteratorIPKlEESD_NSA_IPlEElN6hipcub16HIPCUB_304000_NS3MaxENSH_8EqualityElEE10hipError_tPvRmT2_T3_T4_T5_mT6_T7_P12ihipStream_tbENKUlT_T0_E_clISt17integral_constantIbLb1EESZ_IbLb0EEEEDaSV_SW_EUlSV_E_NS1_11comp_targetILNS1_3genE2ELNS1_11target_archE906ELNS1_3gpuE6ELNS1_3repE0EEENS1_30default_config_static_selectorELNS0_4arch9wavefront6targetE0EEEvT1_
	.p2align	8
	.type	_ZN7rocprim17ROCPRIM_400000_NS6detail17trampoline_kernelINS0_14default_configENS1_27scan_by_key_config_selectorIllEEZZNS1_16scan_by_key_implILNS1_25lookback_scan_determinismE0ELb0ES3_N6thrust23THRUST_200600_302600_NS16reverse_iteratorIPKlEESD_NSA_IPlEElN6hipcub16HIPCUB_304000_NS3MaxENSH_8EqualityElEE10hipError_tPvRmT2_T3_T4_T5_mT6_T7_P12ihipStream_tbENKUlT_T0_E_clISt17integral_constantIbLb1EESZ_IbLb0EEEEDaSV_SW_EUlSV_E_NS1_11comp_targetILNS1_3genE2ELNS1_11target_archE906ELNS1_3gpuE6ELNS1_3repE0EEENS1_30default_config_static_selectorELNS0_4arch9wavefront6targetE0EEEvT1_,@function
_ZN7rocprim17ROCPRIM_400000_NS6detail17trampoline_kernelINS0_14default_configENS1_27scan_by_key_config_selectorIllEEZZNS1_16scan_by_key_implILNS1_25lookback_scan_determinismE0ELb0ES3_N6thrust23THRUST_200600_302600_NS16reverse_iteratorIPKlEESD_NSA_IPlEElN6hipcub16HIPCUB_304000_NS3MaxENSH_8EqualityElEE10hipError_tPvRmT2_T3_T4_T5_mT6_T7_P12ihipStream_tbENKUlT_T0_E_clISt17integral_constantIbLb1EESZ_IbLb0EEEEDaSV_SW_EUlSV_E_NS1_11comp_targetILNS1_3genE2ELNS1_11target_archE906ELNS1_3gpuE6ELNS1_3repE0EEENS1_30default_config_static_selectorELNS0_4arch9wavefront6targetE0EEEvT1_: ; @_ZN7rocprim17ROCPRIM_400000_NS6detail17trampoline_kernelINS0_14default_configENS1_27scan_by_key_config_selectorIllEEZZNS1_16scan_by_key_implILNS1_25lookback_scan_determinismE0ELb0ES3_N6thrust23THRUST_200600_302600_NS16reverse_iteratorIPKlEESD_NSA_IPlEElN6hipcub16HIPCUB_304000_NS3MaxENSH_8EqualityElEE10hipError_tPvRmT2_T3_T4_T5_mT6_T7_P12ihipStream_tbENKUlT_T0_E_clISt17integral_constantIbLb1EESZ_IbLb0EEEEDaSV_SW_EUlSV_E_NS1_11comp_targetILNS1_3genE2ELNS1_11target_archE906ELNS1_3gpuE6ELNS1_3repE0EEENS1_30default_config_static_selectorELNS0_4arch9wavefront6targetE0EEEvT1_
; %bb.0:
	.section	.rodata,"a",@progbits
	.p2align	6, 0x0
	.amdhsa_kernel _ZN7rocprim17ROCPRIM_400000_NS6detail17trampoline_kernelINS0_14default_configENS1_27scan_by_key_config_selectorIllEEZZNS1_16scan_by_key_implILNS1_25lookback_scan_determinismE0ELb0ES3_N6thrust23THRUST_200600_302600_NS16reverse_iteratorIPKlEESD_NSA_IPlEElN6hipcub16HIPCUB_304000_NS3MaxENSH_8EqualityElEE10hipError_tPvRmT2_T3_T4_T5_mT6_T7_P12ihipStream_tbENKUlT_T0_E_clISt17integral_constantIbLb1EESZ_IbLb0EEEEDaSV_SW_EUlSV_E_NS1_11comp_targetILNS1_3genE2ELNS1_11target_archE906ELNS1_3gpuE6ELNS1_3repE0EEENS1_30default_config_static_selectorELNS0_4arch9wavefront6targetE0EEEvT1_
		.amdhsa_group_segment_fixed_size 0
		.amdhsa_private_segment_fixed_size 0
		.amdhsa_kernarg_size 136
		.amdhsa_user_sgpr_count 2
		.amdhsa_user_sgpr_dispatch_ptr 0
		.amdhsa_user_sgpr_queue_ptr 0
		.amdhsa_user_sgpr_kernarg_segment_ptr 1
		.amdhsa_user_sgpr_dispatch_id 0
		.amdhsa_user_sgpr_kernarg_preload_length 0
		.amdhsa_user_sgpr_kernarg_preload_offset 0
		.amdhsa_user_sgpr_private_segment_size 0
		.amdhsa_wavefront_size32 1
		.amdhsa_uses_dynamic_stack 0
		.amdhsa_enable_private_segment 0
		.amdhsa_system_sgpr_workgroup_id_x 1
		.amdhsa_system_sgpr_workgroup_id_y 0
		.amdhsa_system_sgpr_workgroup_id_z 0
		.amdhsa_system_sgpr_workgroup_info 0
		.amdhsa_system_vgpr_workitem_id 0
		.amdhsa_next_free_vgpr 1
		.amdhsa_next_free_sgpr 1
		.amdhsa_named_barrier_count 0
		.amdhsa_reserve_vcc 0
		.amdhsa_float_round_mode_32 0
		.amdhsa_float_round_mode_16_64 0
		.amdhsa_float_denorm_mode_32 3
		.amdhsa_float_denorm_mode_16_64 3
		.amdhsa_fp16_overflow 0
		.amdhsa_memory_ordered 1
		.amdhsa_forward_progress 1
		.amdhsa_inst_pref_size 0
		.amdhsa_round_robin_scheduling 0
		.amdhsa_exception_fp_ieee_invalid_op 0
		.amdhsa_exception_fp_denorm_src 0
		.amdhsa_exception_fp_ieee_div_zero 0
		.amdhsa_exception_fp_ieee_overflow 0
		.amdhsa_exception_fp_ieee_underflow 0
		.amdhsa_exception_fp_ieee_inexact 0
		.amdhsa_exception_int_div_zero 0
	.end_amdhsa_kernel
	.section	.text._ZN7rocprim17ROCPRIM_400000_NS6detail17trampoline_kernelINS0_14default_configENS1_27scan_by_key_config_selectorIllEEZZNS1_16scan_by_key_implILNS1_25lookback_scan_determinismE0ELb0ES3_N6thrust23THRUST_200600_302600_NS16reverse_iteratorIPKlEESD_NSA_IPlEElN6hipcub16HIPCUB_304000_NS3MaxENSH_8EqualityElEE10hipError_tPvRmT2_T3_T4_T5_mT6_T7_P12ihipStream_tbENKUlT_T0_E_clISt17integral_constantIbLb1EESZ_IbLb0EEEEDaSV_SW_EUlSV_E_NS1_11comp_targetILNS1_3genE2ELNS1_11target_archE906ELNS1_3gpuE6ELNS1_3repE0EEENS1_30default_config_static_selectorELNS0_4arch9wavefront6targetE0EEEvT1_,"axG",@progbits,_ZN7rocprim17ROCPRIM_400000_NS6detail17trampoline_kernelINS0_14default_configENS1_27scan_by_key_config_selectorIllEEZZNS1_16scan_by_key_implILNS1_25lookback_scan_determinismE0ELb0ES3_N6thrust23THRUST_200600_302600_NS16reverse_iteratorIPKlEESD_NSA_IPlEElN6hipcub16HIPCUB_304000_NS3MaxENSH_8EqualityElEE10hipError_tPvRmT2_T3_T4_T5_mT6_T7_P12ihipStream_tbENKUlT_T0_E_clISt17integral_constantIbLb1EESZ_IbLb0EEEEDaSV_SW_EUlSV_E_NS1_11comp_targetILNS1_3genE2ELNS1_11target_archE906ELNS1_3gpuE6ELNS1_3repE0EEENS1_30default_config_static_selectorELNS0_4arch9wavefront6targetE0EEEvT1_,comdat
.Lfunc_end162:
	.size	_ZN7rocprim17ROCPRIM_400000_NS6detail17trampoline_kernelINS0_14default_configENS1_27scan_by_key_config_selectorIllEEZZNS1_16scan_by_key_implILNS1_25lookback_scan_determinismE0ELb0ES3_N6thrust23THRUST_200600_302600_NS16reverse_iteratorIPKlEESD_NSA_IPlEElN6hipcub16HIPCUB_304000_NS3MaxENSH_8EqualityElEE10hipError_tPvRmT2_T3_T4_T5_mT6_T7_P12ihipStream_tbENKUlT_T0_E_clISt17integral_constantIbLb1EESZ_IbLb0EEEEDaSV_SW_EUlSV_E_NS1_11comp_targetILNS1_3genE2ELNS1_11target_archE906ELNS1_3gpuE6ELNS1_3repE0EEENS1_30default_config_static_selectorELNS0_4arch9wavefront6targetE0EEEvT1_, .Lfunc_end162-_ZN7rocprim17ROCPRIM_400000_NS6detail17trampoline_kernelINS0_14default_configENS1_27scan_by_key_config_selectorIllEEZZNS1_16scan_by_key_implILNS1_25lookback_scan_determinismE0ELb0ES3_N6thrust23THRUST_200600_302600_NS16reverse_iteratorIPKlEESD_NSA_IPlEElN6hipcub16HIPCUB_304000_NS3MaxENSH_8EqualityElEE10hipError_tPvRmT2_T3_T4_T5_mT6_T7_P12ihipStream_tbENKUlT_T0_E_clISt17integral_constantIbLb1EESZ_IbLb0EEEEDaSV_SW_EUlSV_E_NS1_11comp_targetILNS1_3genE2ELNS1_11target_archE906ELNS1_3gpuE6ELNS1_3repE0EEENS1_30default_config_static_selectorELNS0_4arch9wavefront6targetE0EEEvT1_
                                        ; -- End function
	.set _ZN7rocprim17ROCPRIM_400000_NS6detail17trampoline_kernelINS0_14default_configENS1_27scan_by_key_config_selectorIllEEZZNS1_16scan_by_key_implILNS1_25lookback_scan_determinismE0ELb0ES3_N6thrust23THRUST_200600_302600_NS16reverse_iteratorIPKlEESD_NSA_IPlEElN6hipcub16HIPCUB_304000_NS3MaxENSH_8EqualityElEE10hipError_tPvRmT2_T3_T4_T5_mT6_T7_P12ihipStream_tbENKUlT_T0_E_clISt17integral_constantIbLb1EESZ_IbLb0EEEEDaSV_SW_EUlSV_E_NS1_11comp_targetILNS1_3genE2ELNS1_11target_archE906ELNS1_3gpuE6ELNS1_3repE0EEENS1_30default_config_static_selectorELNS0_4arch9wavefront6targetE0EEEvT1_.num_vgpr, 0
	.set _ZN7rocprim17ROCPRIM_400000_NS6detail17trampoline_kernelINS0_14default_configENS1_27scan_by_key_config_selectorIllEEZZNS1_16scan_by_key_implILNS1_25lookback_scan_determinismE0ELb0ES3_N6thrust23THRUST_200600_302600_NS16reverse_iteratorIPKlEESD_NSA_IPlEElN6hipcub16HIPCUB_304000_NS3MaxENSH_8EqualityElEE10hipError_tPvRmT2_T3_T4_T5_mT6_T7_P12ihipStream_tbENKUlT_T0_E_clISt17integral_constantIbLb1EESZ_IbLb0EEEEDaSV_SW_EUlSV_E_NS1_11comp_targetILNS1_3genE2ELNS1_11target_archE906ELNS1_3gpuE6ELNS1_3repE0EEENS1_30default_config_static_selectorELNS0_4arch9wavefront6targetE0EEEvT1_.num_agpr, 0
	.set _ZN7rocprim17ROCPRIM_400000_NS6detail17trampoline_kernelINS0_14default_configENS1_27scan_by_key_config_selectorIllEEZZNS1_16scan_by_key_implILNS1_25lookback_scan_determinismE0ELb0ES3_N6thrust23THRUST_200600_302600_NS16reverse_iteratorIPKlEESD_NSA_IPlEElN6hipcub16HIPCUB_304000_NS3MaxENSH_8EqualityElEE10hipError_tPvRmT2_T3_T4_T5_mT6_T7_P12ihipStream_tbENKUlT_T0_E_clISt17integral_constantIbLb1EESZ_IbLb0EEEEDaSV_SW_EUlSV_E_NS1_11comp_targetILNS1_3genE2ELNS1_11target_archE906ELNS1_3gpuE6ELNS1_3repE0EEENS1_30default_config_static_selectorELNS0_4arch9wavefront6targetE0EEEvT1_.numbered_sgpr, 0
	.set _ZN7rocprim17ROCPRIM_400000_NS6detail17trampoline_kernelINS0_14default_configENS1_27scan_by_key_config_selectorIllEEZZNS1_16scan_by_key_implILNS1_25lookback_scan_determinismE0ELb0ES3_N6thrust23THRUST_200600_302600_NS16reverse_iteratorIPKlEESD_NSA_IPlEElN6hipcub16HIPCUB_304000_NS3MaxENSH_8EqualityElEE10hipError_tPvRmT2_T3_T4_T5_mT6_T7_P12ihipStream_tbENKUlT_T0_E_clISt17integral_constantIbLb1EESZ_IbLb0EEEEDaSV_SW_EUlSV_E_NS1_11comp_targetILNS1_3genE2ELNS1_11target_archE906ELNS1_3gpuE6ELNS1_3repE0EEENS1_30default_config_static_selectorELNS0_4arch9wavefront6targetE0EEEvT1_.num_named_barrier, 0
	.set _ZN7rocprim17ROCPRIM_400000_NS6detail17trampoline_kernelINS0_14default_configENS1_27scan_by_key_config_selectorIllEEZZNS1_16scan_by_key_implILNS1_25lookback_scan_determinismE0ELb0ES3_N6thrust23THRUST_200600_302600_NS16reverse_iteratorIPKlEESD_NSA_IPlEElN6hipcub16HIPCUB_304000_NS3MaxENSH_8EqualityElEE10hipError_tPvRmT2_T3_T4_T5_mT6_T7_P12ihipStream_tbENKUlT_T0_E_clISt17integral_constantIbLb1EESZ_IbLb0EEEEDaSV_SW_EUlSV_E_NS1_11comp_targetILNS1_3genE2ELNS1_11target_archE906ELNS1_3gpuE6ELNS1_3repE0EEENS1_30default_config_static_selectorELNS0_4arch9wavefront6targetE0EEEvT1_.private_seg_size, 0
	.set _ZN7rocprim17ROCPRIM_400000_NS6detail17trampoline_kernelINS0_14default_configENS1_27scan_by_key_config_selectorIllEEZZNS1_16scan_by_key_implILNS1_25lookback_scan_determinismE0ELb0ES3_N6thrust23THRUST_200600_302600_NS16reverse_iteratorIPKlEESD_NSA_IPlEElN6hipcub16HIPCUB_304000_NS3MaxENSH_8EqualityElEE10hipError_tPvRmT2_T3_T4_T5_mT6_T7_P12ihipStream_tbENKUlT_T0_E_clISt17integral_constantIbLb1EESZ_IbLb0EEEEDaSV_SW_EUlSV_E_NS1_11comp_targetILNS1_3genE2ELNS1_11target_archE906ELNS1_3gpuE6ELNS1_3repE0EEENS1_30default_config_static_selectorELNS0_4arch9wavefront6targetE0EEEvT1_.uses_vcc, 0
	.set _ZN7rocprim17ROCPRIM_400000_NS6detail17trampoline_kernelINS0_14default_configENS1_27scan_by_key_config_selectorIllEEZZNS1_16scan_by_key_implILNS1_25lookback_scan_determinismE0ELb0ES3_N6thrust23THRUST_200600_302600_NS16reverse_iteratorIPKlEESD_NSA_IPlEElN6hipcub16HIPCUB_304000_NS3MaxENSH_8EqualityElEE10hipError_tPvRmT2_T3_T4_T5_mT6_T7_P12ihipStream_tbENKUlT_T0_E_clISt17integral_constantIbLb1EESZ_IbLb0EEEEDaSV_SW_EUlSV_E_NS1_11comp_targetILNS1_3genE2ELNS1_11target_archE906ELNS1_3gpuE6ELNS1_3repE0EEENS1_30default_config_static_selectorELNS0_4arch9wavefront6targetE0EEEvT1_.uses_flat_scratch, 0
	.set _ZN7rocprim17ROCPRIM_400000_NS6detail17trampoline_kernelINS0_14default_configENS1_27scan_by_key_config_selectorIllEEZZNS1_16scan_by_key_implILNS1_25lookback_scan_determinismE0ELb0ES3_N6thrust23THRUST_200600_302600_NS16reverse_iteratorIPKlEESD_NSA_IPlEElN6hipcub16HIPCUB_304000_NS3MaxENSH_8EqualityElEE10hipError_tPvRmT2_T3_T4_T5_mT6_T7_P12ihipStream_tbENKUlT_T0_E_clISt17integral_constantIbLb1EESZ_IbLb0EEEEDaSV_SW_EUlSV_E_NS1_11comp_targetILNS1_3genE2ELNS1_11target_archE906ELNS1_3gpuE6ELNS1_3repE0EEENS1_30default_config_static_selectorELNS0_4arch9wavefront6targetE0EEEvT1_.has_dyn_sized_stack, 0
	.set _ZN7rocprim17ROCPRIM_400000_NS6detail17trampoline_kernelINS0_14default_configENS1_27scan_by_key_config_selectorIllEEZZNS1_16scan_by_key_implILNS1_25lookback_scan_determinismE0ELb0ES3_N6thrust23THRUST_200600_302600_NS16reverse_iteratorIPKlEESD_NSA_IPlEElN6hipcub16HIPCUB_304000_NS3MaxENSH_8EqualityElEE10hipError_tPvRmT2_T3_T4_T5_mT6_T7_P12ihipStream_tbENKUlT_T0_E_clISt17integral_constantIbLb1EESZ_IbLb0EEEEDaSV_SW_EUlSV_E_NS1_11comp_targetILNS1_3genE2ELNS1_11target_archE906ELNS1_3gpuE6ELNS1_3repE0EEENS1_30default_config_static_selectorELNS0_4arch9wavefront6targetE0EEEvT1_.has_recursion, 0
	.set _ZN7rocprim17ROCPRIM_400000_NS6detail17trampoline_kernelINS0_14default_configENS1_27scan_by_key_config_selectorIllEEZZNS1_16scan_by_key_implILNS1_25lookback_scan_determinismE0ELb0ES3_N6thrust23THRUST_200600_302600_NS16reverse_iteratorIPKlEESD_NSA_IPlEElN6hipcub16HIPCUB_304000_NS3MaxENSH_8EqualityElEE10hipError_tPvRmT2_T3_T4_T5_mT6_T7_P12ihipStream_tbENKUlT_T0_E_clISt17integral_constantIbLb1EESZ_IbLb0EEEEDaSV_SW_EUlSV_E_NS1_11comp_targetILNS1_3genE2ELNS1_11target_archE906ELNS1_3gpuE6ELNS1_3repE0EEENS1_30default_config_static_selectorELNS0_4arch9wavefront6targetE0EEEvT1_.has_indirect_call, 0
	.section	.AMDGPU.csdata,"",@progbits
; Kernel info:
; codeLenInByte = 0
; TotalNumSgprs: 0
; NumVgprs: 0
; ScratchSize: 0
; MemoryBound: 0
; FloatMode: 240
; IeeeMode: 1
; LDSByteSize: 0 bytes/workgroup (compile time only)
; SGPRBlocks: 0
; VGPRBlocks: 0
; NumSGPRsForWavesPerEU: 1
; NumVGPRsForWavesPerEU: 1
; NamedBarCnt: 0
; Occupancy: 16
; WaveLimiterHint : 0
; COMPUTE_PGM_RSRC2:SCRATCH_EN: 0
; COMPUTE_PGM_RSRC2:USER_SGPR: 2
; COMPUTE_PGM_RSRC2:TRAP_HANDLER: 0
; COMPUTE_PGM_RSRC2:TGID_X_EN: 1
; COMPUTE_PGM_RSRC2:TGID_Y_EN: 0
; COMPUTE_PGM_RSRC2:TGID_Z_EN: 0
; COMPUTE_PGM_RSRC2:TIDIG_COMP_CNT: 0
	.section	.text._ZN7rocprim17ROCPRIM_400000_NS6detail17trampoline_kernelINS0_14default_configENS1_27scan_by_key_config_selectorIllEEZZNS1_16scan_by_key_implILNS1_25lookback_scan_determinismE0ELb0ES3_N6thrust23THRUST_200600_302600_NS16reverse_iteratorIPKlEESD_NSA_IPlEElN6hipcub16HIPCUB_304000_NS3MaxENSH_8EqualityElEE10hipError_tPvRmT2_T3_T4_T5_mT6_T7_P12ihipStream_tbENKUlT_T0_E_clISt17integral_constantIbLb1EESZ_IbLb0EEEEDaSV_SW_EUlSV_E_NS1_11comp_targetILNS1_3genE10ELNS1_11target_archE1200ELNS1_3gpuE4ELNS1_3repE0EEENS1_30default_config_static_selectorELNS0_4arch9wavefront6targetE0EEEvT1_,"axG",@progbits,_ZN7rocprim17ROCPRIM_400000_NS6detail17trampoline_kernelINS0_14default_configENS1_27scan_by_key_config_selectorIllEEZZNS1_16scan_by_key_implILNS1_25lookback_scan_determinismE0ELb0ES3_N6thrust23THRUST_200600_302600_NS16reverse_iteratorIPKlEESD_NSA_IPlEElN6hipcub16HIPCUB_304000_NS3MaxENSH_8EqualityElEE10hipError_tPvRmT2_T3_T4_T5_mT6_T7_P12ihipStream_tbENKUlT_T0_E_clISt17integral_constantIbLb1EESZ_IbLb0EEEEDaSV_SW_EUlSV_E_NS1_11comp_targetILNS1_3genE10ELNS1_11target_archE1200ELNS1_3gpuE4ELNS1_3repE0EEENS1_30default_config_static_selectorELNS0_4arch9wavefront6targetE0EEEvT1_,comdat
	.protected	_ZN7rocprim17ROCPRIM_400000_NS6detail17trampoline_kernelINS0_14default_configENS1_27scan_by_key_config_selectorIllEEZZNS1_16scan_by_key_implILNS1_25lookback_scan_determinismE0ELb0ES3_N6thrust23THRUST_200600_302600_NS16reverse_iteratorIPKlEESD_NSA_IPlEElN6hipcub16HIPCUB_304000_NS3MaxENSH_8EqualityElEE10hipError_tPvRmT2_T3_T4_T5_mT6_T7_P12ihipStream_tbENKUlT_T0_E_clISt17integral_constantIbLb1EESZ_IbLb0EEEEDaSV_SW_EUlSV_E_NS1_11comp_targetILNS1_3genE10ELNS1_11target_archE1200ELNS1_3gpuE4ELNS1_3repE0EEENS1_30default_config_static_selectorELNS0_4arch9wavefront6targetE0EEEvT1_ ; -- Begin function _ZN7rocprim17ROCPRIM_400000_NS6detail17trampoline_kernelINS0_14default_configENS1_27scan_by_key_config_selectorIllEEZZNS1_16scan_by_key_implILNS1_25lookback_scan_determinismE0ELb0ES3_N6thrust23THRUST_200600_302600_NS16reverse_iteratorIPKlEESD_NSA_IPlEElN6hipcub16HIPCUB_304000_NS3MaxENSH_8EqualityElEE10hipError_tPvRmT2_T3_T4_T5_mT6_T7_P12ihipStream_tbENKUlT_T0_E_clISt17integral_constantIbLb1EESZ_IbLb0EEEEDaSV_SW_EUlSV_E_NS1_11comp_targetILNS1_3genE10ELNS1_11target_archE1200ELNS1_3gpuE4ELNS1_3repE0EEENS1_30default_config_static_selectorELNS0_4arch9wavefront6targetE0EEEvT1_
	.globl	_ZN7rocprim17ROCPRIM_400000_NS6detail17trampoline_kernelINS0_14default_configENS1_27scan_by_key_config_selectorIllEEZZNS1_16scan_by_key_implILNS1_25lookback_scan_determinismE0ELb0ES3_N6thrust23THRUST_200600_302600_NS16reverse_iteratorIPKlEESD_NSA_IPlEElN6hipcub16HIPCUB_304000_NS3MaxENSH_8EqualityElEE10hipError_tPvRmT2_T3_T4_T5_mT6_T7_P12ihipStream_tbENKUlT_T0_E_clISt17integral_constantIbLb1EESZ_IbLb0EEEEDaSV_SW_EUlSV_E_NS1_11comp_targetILNS1_3genE10ELNS1_11target_archE1200ELNS1_3gpuE4ELNS1_3repE0EEENS1_30default_config_static_selectorELNS0_4arch9wavefront6targetE0EEEvT1_
	.p2align	8
	.type	_ZN7rocprim17ROCPRIM_400000_NS6detail17trampoline_kernelINS0_14default_configENS1_27scan_by_key_config_selectorIllEEZZNS1_16scan_by_key_implILNS1_25lookback_scan_determinismE0ELb0ES3_N6thrust23THRUST_200600_302600_NS16reverse_iteratorIPKlEESD_NSA_IPlEElN6hipcub16HIPCUB_304000_NS3MaxENSH_8EqualityElEE10hipError_tPvRmT2_T3_T4_T5_mT6_T7_P12ihipStream_tbENKUlT_T0_E_clISt17integral_constantIbLb1EESZ_IbLb0EEEEDaSV_SW_EUlSV_E_NS1_11comp_targetILNS1_3genE10ELNS1_11target_archE1200ELNS1_3gpuE4ELNS1_3repE0EEENS1_30default_config_static_selectorELNS0_4arch9wavefront6targetE0EEEvT1_,@function
_ZN7rocprim17ROCPRIM_400000_NS6detail17trampoline_kernelINS0_14default_configENS1_27scan_by_key_config_selectorIllEEZZNS1_16scan_by_key_implILNS1_25lookback_scan_determinismE0ELb0ES3_N6thrust23THRUST_200600_302600_NS16reverse_iteratorIPKlEESD_NSA_IPlEElN6hipcub16HIPCUB_304000_NS3MaxENSH_8EqualityElEE10hipError_tPvRmT2_T3_T4_T5_mT6_T7_P12ihipStream_tbENKUlT_T0_E_clISt17integral_constantIbLb1EESZ_IbLb0EEEEDaSV_SW_EUlSV_E_NS1_11comp_targetILNS1_3genE10ELNS1_11target_archE1200ELNS1_3gpuE4ELNS1_3repE0EEENS1_30default_config_static_selectorELNS0_4arch9wavefront6targetE0EEEvT1_: ; @_ZN7rocprim17ROCPRIM_400000_NS6detail17trampoline_kernelINS0_14default_configENS1_27scan_by_key_config_selectorIllEEZZNS1_16scan_by_key_implILNS1_25lookback_scan_determinismE0ELb0ES3_N6thrust23THRUST_200600_302600_NS16reverse_iteratorIPKlEESD_NSA_IPlEElN6hipcub16HIPCUB_304000_NS3MaxENSH_8EqualityElEE10hipError_tPvRmT2_T3_T4_T5_mT6_T7_P12ihipStream_tbENKUlT_T0_E_clISt17integral_constantIbLb1EESZ_IbLb0EEEEDaSV_SW_EUlSV_E_NS1_11comp_targetILNS1_3genE10ELNS1_11target_archE1200ELNS1_3gpuE4ELNS1_3repE0EEENS1_30default_config_static_selectorELNS0_4arch9wavefront6targetE0EEEvT1_
; %bb.0:
	.section	.rodata,"a",@progbits
	.p2align	6, 0x0
	.amdhsa_kernel _ZN7rocprim17ROCPRIM_400000_NS6detail17trampoline_kernelINS0_14default_configENS1_27scan_by_key_config_selectorIllEEZZNS1_16scan_by_key_implILNS1_25lookback_scan_determinismE0ELb0ES3_N6thrust23THRUST_200600_302600_NS16reverse_iteratorIPKlEESD_NSA_IPlEElN6hipcub16HIPCUB_304000_NS3MaxENSH_8EqualityElEE10hipError_tPvRmT2_T3_T4_T5_mT6_T7_P12ihipStream_tbENKUlT_T0_E_clISt17integral_constantIbLb1EESZ_IbLb0EEEEDaSV_SW_EUlSV_E_NS1_11comp_targetILNS1_3genE10ELNS1_11target_archE1200ELNS1_3gpuE4ELNS1_3repE0EEENS1_30default_config_static_selectorELNS0_4arch9wavefront6targetE0EEEvT1_
		.amdhsa_group_segment_fixed_size 0
		.amdhsa_private_segment_fixed_size 0
		.amdhsa_kernarg_size 136
		.amdhsa_user_sgpr_count 2
		.amdhsa_user_sgpr_dispatch_ptr 0
		.amdhsa_user_sgpr_queue_ptr 0
		.amdhsa_user_sgpr_kernarg_segment_ptr 1
		.amdhsa_user_sgpr_dispatch_id 0
		.amdhsa_user_sgpr_kernarg_preload_length 0
		.amdhsa_user_sgpr_kernarg_preload_offset 0
		.amdhsa_user_sgpr_private_segment_size 0
		.amdhsa_wavefront_size32 1
		.amdhsa_uses_dynamic_stack 0
		.amdhsa_enable_private_segment 0
		.amdhsa_system_sgpr_workgroup_id_x 1
		.amdhsa_system_sgpr_workgroup_id_y 0
		.amdhsa_system_sgpr_workgroup_id_z 0
		.amdhsa_system_sgpr_workgroup_info 0
		.amdhsa_system_vgpr_workitem_id 0
		.amdhsa_next_free_vgpr 1
		.amdhsa_next_free_sgpr 1
		.amdhsa_named_barrier_count 0
		.amdhsa_reserve_vcc 0
		.amdhsa_float_round_mode_32 0
		.amdhsa_float_round_mode_16_64 0
		.amdhsa_float_denorm_mode_32 3
		.amdhsa_float_denorm_mode_16_64 3
		.amdhsa_fp16_overflow 0
		.amdhsa_memory_ordered 1
		.amdhsa_forward_progress 1
		.amdhsa_inst_pref_size 0
		.amdhsa_round_robin_scheduling 0
		.amdhsa_exception_fp_ieee_invalid_op 0
		.amdhsa_exception_fp_denorm_src 0
		.amdhsa_exception_fp_ieee_div_zero 0
		.amdhsa_exception_fp_ieee_overflow 0
		.amdhsa_exception_fp_ieee_underflow 0
		.amdhsa_exception_fp_ieee_inexact 0
		.amdhsa_exception_int_div_zero 0
	.end_amdhsa_kernel
	.section	.text._ZN7rocprim17ROCPRIM_400000_NS6detail17trampoline_kernelINS0_14default_configENS1_27scan_by_key_config_selectorIllEEZZNS1_16scan_by_key_implILNS1_25lookback_scan_determinismE0ELb0ES3_N6thrust23THRUST_200600_302600_NS16reverse_iteratorIPKlEESD_NSA_IPlEElN6hipcub16HIPCUB_304000_NS3MaxENSH_8EqualityElEE10hipError_tPvRmT2_T3_T4_T5_mT6_T7_P12ihipStream_tbENKUlT_T0_E_clISt17integral_constantIbLb1EESZ_IbLb0EEEEDaSV_SW_EUlSV_E_NS1_11comp_targetILNS1_3genE10ELNS1_11target_archE1200ELNS1_3gpuE4ELNS1_3repE0EEENS1_30default_config_static_selectorELNS0_4arch9wavefront6targetE0EEEvT1_,"axG",@progbits,_ZN7rocprim17ROCPRIM_400000_NS6detail17trampoline_kernelINS0_14default_configENS1_27scan_by_key_config_selectorIllEEZZNS1_16scan_by_key_implILNS1_25lookback_scan_determinismE0ELb0ES3_N6thrust23THRUST_200600_302600_NS16reverse_iteratorIPKlEESD_NSA_IPlEElN6hipcub16HIPCUB_304000_NS3MaxENSH_8EqualityElEE10hipError_tPvRmT2_T3_T4_T5_mT6_T7_P12ihipStream_tbENKUlT_T0_E_clISt17integral_constantIbLb1EESZ_IbLb0EEEEDaSV_SW_EUlSV_E_NS1_11comp_targetILNS1_3genE10ELNS1_11target_archE1200ELNS1_3gpuE4ELNS1_3repE0EEENS1_30default_config_static_selectorELNS0_4arch9wavefront6targetE0EEEvT1_,comdat
.Lfunc_end163:
	.size	_ZN7rocprim17ROCPRIM_400000_NS6detail17trampoline_kernelINS0_14default_configENS1_27scan_by_key_config_selectorIllEEZZNS1_16scan_by_key_implILNS1_25lookback_scan_determinismE0ELb0ES3_N6thrust23THRUST_200600_302600_NS16reverse_iteratorIPKlEESD_NSA_IPlEElN6hipcub16HIPCUB_304000_NS3MaxENSH_8EqualityElEE10hipError_tPvRmT2_T3_T4_T5_mT6_T7_P12ihipStream_tbENKUlT_T0_E_clISt17integral_constantIbLb1EESZ_IbLb0EEEEDaSV_SW_EUlSV_E_NS1_11comp_targetILNS1_3genE10ELNS1_11target_archE1200ELNS1_3gpuE4ELNS1_3repE0EEENS1_30default_config_static_selectorELNS0_4arch9wavefront6targetE0EEEvT1_, .Lfunc_end163-_ZN7rocprim17ROCPRIM_400000_NS6detail17trampoline_kernelINS0_14default_configENS1_27scan_by_key_config_selectorIllEEZZNS1_16scan_by_key_implILNS1_25lookback_scan_determinismE0ELb0ES3_N6thrust23THRUST_200600_302600_NS16reverse_iteratorIPKlEESD_NSA_IPlEElN6hipcub16HIPCUB_304000_NS3MaxENSH_8EqualityElEE10hipError_tPvRmT2_T3_T4_T5_mT6_T7_P12ihipStream_tbENKUlT_T0_E_clISt17integral_constantIbLb1EESZ_IbLb0EEEEDaSV_SW_EUlSV_E_NS1_11comp_targetILNS1_3genE10ELNS1_11target_archE1200ELNS1_3gpuE4ELNS1_3repE0EEENS1_30default_config_static_selectorELNS0_4arch9wavefront6targetE0EEEvT1_
                                        ; -- End function
	.set _ZN7rocprim17ROCPRIM_400000_NS6detail17trampoline_kernelINS0_14default_configENS1_27scan_by_key_config_selectorIllEEZZNS1_16scan_by_key_implILNS1_25lookback_scan_determinismE0ELb0ES3_N6thrust23THRUST_200600_302600_NS16reverse_iteratorIPKlEESD_NSA_IPlEElN6hipcub16HIPCUB_304000_NS3MaxENSH_8EqualityElEE10hipError_tPvRmT2_T3_T4_T5_mT6_T7_P12ihipStream_tbENKUlT_T0_E_clISt17integral_constantIbLb1EESZ_IbLb0EEEEDaSV_SW_EUlSV_E_NS1_11comp_targetILNS1_3genE10ELNS1_11target_archE1200ELNS1_3gpuE4ELNS1_3repE0EEENS1_30default_config_static_selectorELNS0_4arch9wavefront6targetE0EEEvT1_.num_vgpr, 0
	.set _ZN7rocprim17ROCPRIM_400000_NS6detail17trampoline_kernelINS0_14default_configENS1_27scan_by_key_config_selectorIllEEZZNS1_16scan_by_key_implILNS1_25lookback_scan_determinismE0ELb0ES3_N6thrust23THRUST_200600_302600_NS16reverse_iteratorIPKlEESD_NSA_IPlEElN6hipcub16HIPCUB_304000_NS3MaxENSH_8EqualityElEE10hipError_tPvRmT2_T3_T4_T5_mT6_T7_P12ihipStream_tbENKUlT_T0_E_clISt17integral_constantIbLb1EESZ_IbLb0EEEEDaSV_SW_EUlSV_E_NS1_11comp_targetILNS1_3genE10ELNS1_11target_archE1200ELNS1_3gpuE4ELNS1_3repE0EEENS1_30default_config_static_selectorELNS0_4arch9wavefront6targetE0EEEvT1_.num_agpr, 0
	.set _ZN7rocprim17ROCPRIM_400000_NS6detail17trampoline_kernelINS0_14default_configENS1_27scan_by_key_config_selectorIllEEZZNS1_16scan_by_key_implILNS1_25lookback_scan_determinismE0ELb0ES3_N6thrust23THRUST_200600_302600_NS16reverse_iteratorIPKlEESD_NSA_IPlEElN6hipcub16HIPCUB_304000_NS3MaxENSH_8EqualityElEE10hipError_tPvRmT2_T3_T4_T5_mT6_T7_P12ihipStream_tbENKUlT_T0_E_clISt17integral_constantIbLb1EESZ_IbLb0EEEEDaSV_SW_EUlSV_E_NS1_11comp_targetILNS1_3genE10ELNS1_11target_archE1200ELNS1_3gpuE4ELNS1_3repE0EEENS1_30default_config_static_selectorELNS0_4arch9wavefront6targetE0EEEvT1_.numbered_sgpr, 0
	.set _ZN7rocprim17ROCPRIM_400000_NS6detail17trampoline_kernelINS0_14default_configENS1_27scan_by_key_config_selectorIllEEZZNS1_16scan_by_key_implILNS1_25lookback_scan_determinismE0ELb0ES3_N6thrust23THRUST_200600_302600_NS16reverse_iteratorIPKlEESD_NSA_IPlEElN6hipcub16HIPCUB_304000_NS3MaxENSH_8EqualityElEE10hipError_tPvRmT2_T3_T4_T5_mT6_T7_P12ihipStream_tbENKUlT_T0_E_clISt17integral_constantIbLb1EESZ_IbLb0EEEEDaSV_SW_EUlSV_E_NS1_11comp_targetILNS1_3genE10ELNS1_11target_archE1200ELNS1_3gpuE4ELNS1_3repE0EEENS1_30default_config_static_selectorELNS0_4arch9wavefront6targetE0EEEvT1_.num_named_barrier, 0
	.set _ZN7rocprim17ROCPRIM_400000_NS6detail17trampoline_kernelINS0_14default_configENS1_27scan_by_key_config_selectorIllEEZZNS1_16scan_by_key_implILNS1_25lookback_scan_determinismE0ELb0ES3_N6thrust23THRUST_200600_302600_NS16reverse_iteratorIPKlEESD_NSA_IPlEElN6hipcub16HIPCUB_304000_NS3MaxENSH_8EqualityElEE10hipError_tPvRmT2_T3_T4_T5_mT6_T7_P12ihipStream_tbENKUlT_T0_E_clISt17integral_constantIbLb1EESZ_IbLb0EEEEDaSV_SW_EUlSV_E_NS1_11comp_targetILNS1_3genE10ELNS1_11target_archE1200ELNS1_3gpuE4ELNS1_3repE0EEENS1_30default_config_static_selectorELNS0_4arch9wavefront6targetE0EEEvT1_.private_seg_size, 0
	.set _ZN7rocprim17ROCPRIM_400000_NS6detail17trampoline_kernelINS0_14default_configENS1_27scan_by_key_config_selectorIllEEZZNS1_16scan_by_key_implILNS1_25lookback_scan_determinismE0ELb0ES3_N6thrust23THRUST_200600_302600_NS16reverse_iteratorIPKlEESD_NSA_IPlEElN6hipcub16HIPCUB_304000_NS3MaxENSH_8EqualityElEE10hipError_tPvRmT2_T3_T4_T5_mT6_T7_P12ihipStream_tbENKUlT_T0_E_clISt17integral_constantIbLb1EESZ_IbLb0EEEEDaSV_SW_EUlSV_E_NS1_11comp_targetILNS1_3genE10ELNS1_11target_archE1200ELNS1_3gpuE4ELNS1_3repE0EEENS1_30default_config_static_selectorELNS0_4arch9wavefront6targetE0EEEvT1_.uses_vcc, 0
	.set _ZN7rocprim17ROCPRIM_400000_NS6detail17trampoline_kernelINS0_14default_configENS1_27scan_by_key_config_selectorIllEEZZNS1_16scan_by_key_implILNS1_25lookback_scan_determinismE0ELb0ES3_N6thrust23THRUST_200600_302600_NS16reverse_iteratorIPKlEESD_NSA_IPlEElN6hipcub16HIPCUB_304000_NS3MaxENSH_8EqualityElEE10hipError_tPvRmT2_T3_T4_T5_mT6_T7_P12ihipStream_tbENKUlT_T0_E_clISt17integral_constantIbLb1EESZ_IbLb0EEEEDaSV_SW_EUlSV_E_NS1_11comp_targetILNS1_3genE10ELNS1_11target_archE1200ELNS1_3gpuE4ELNS1_3repE0EEENS1_30default_config_static_selectorELNS0_4arch9wavefront6targetE0EEEvT1_.uses_flat_scratch, 0
	.set _ZN7rocprim17ROCPRIM_400000_NS6detail17trampoline_kernelINS0_14default_configENS1_27scan_by_key_config_selectorIllEEZZNS1_16scan_by_key_implILNS1_25lookback_scan_determinismE0ELb0ES3_N6thrust23THRUST_200600_302600_NS16reverse_iteratorIPKlEESD_NSA_IPlEElN6hipcub16HIPCUB_304000_NS3MaxENSH_8EqualityElEE10hipError_tPvRmT2_T3_T4_T5_mT6_T7_P12ihipStream_tbENKUlT_T0_E_clISt17integral_constantIbLb1EESZ_IbLb0EEEEDaSV_SW_EUlSV_E_NS1_11comp_targetILNS1_3genE10ELNS1_11target_archE1200ELNS1_3gpuE4ELNS1_3repE0EEENS1_30default_config_static_selectorELNS0_4arch9wavefront6targetE0EEEvT1_.has_dyn_sized_stack, 0
	.set _ZN7rocprim17ROCPRIM_400000_NS6detail17trampoline_kernelINS0_14default_configENS1_27scan_by_key_config_selectorIllEEZZNS1_16scan_by_key_implILNS1_25lookback_scan_determinismE0ELb0ES3_N6thrust23THRUST_200600_302600_NS16reverse_iteratorIPKlEESD_NSA_IPlEElN6hipcub16HIPCUB_304000_NS3MaxENSH_8EqualityElEE10hipError_tPvRmT2_T3_T4_T5_mT6_T7_P12ihipStream_tbENKUlT_T0_E_clISt17integral_constantIbLb1EESZ_IbLb0EEEEDaSV_SW_EUlSV_E_NS1_11comp_targetILNS1_3genE10ELNS1_11target_archE1200ELNS1_3gpuE4ELNS1_3repE0EEENS1_30default_config_static_selectorELNS0_4arch9wavefront6targetE0EEEvT1_.has_recursion, 0
	.set _ZN7rocprim17ROCPRIM_400000_NS6detail17trampoline_kernelINS0_14default_configENS1_27scan_by_key_config_selectorIllEEZZNS1_16scan_by_key_implILNS1_25lookback_scan_determinismE0ELb0ES3_N6thrust23THRUST_200600_302600_NS16reverse_iteratorIPKlEESD_NSA_IPlEElN6hipcub16HIPCUB_304000_NS3MaxENSH_8EqualityElEE10hipError_tPvRmT2_T3_T4_T5_mT6_T7_P12ihipStream_tbENKUlT_T0_E_clISt17integral_constantIbLb1EESZ_IbLb0EEEEDaSV_SW_EUlSV_E_NS1_11comp_targetILNS1_3genE10ELNS1_11target_archE1200ELNS1_3gpuE4ELNS1_3repE0EEENS1_30default_config_static_selectorELNS0_4arch9wavefront6targetE0EEEvT1_.has_indirect_call, 0
	.section	.AMDGPU.csdata,"",@progbits
; Kernel info:
; codeLenInByte = 0
; TotalNumSgprs: 0
; NumVgprs: 0
; ScratchSize: 0
; MemoryBound: 0
; FloatMode: 240
; IeeeMode: 1
; LDSByteSize: 0 bytes/workgroup (compile time only)
; SGPRBlocks: 0
; VGPRBlocks: 0
; NumSGPRsForWavesPerEU: 1
; NumVGPRsForWavesPerEU: 1
; NamedBarCnt: 0
; Occupancy: 16
; WaveLimiterHint : 0
; COMPUTE_PGM_RSRC2:SCRATCH_EN: 0
; COMPUTE_PGM_RSRC2:USER_SGPR: 2
; COMPUTE_PGM_RSRC2:TRAP_HANDLER: 0
; COMPUTE_PGM_RSRC2:TGID_X_EN: 1
; COMPUTE_PGM_RSRC2:TGID_Y_EN: 0
; COMPUTE_PGM_RSRC2:TGID_Z_EN: 0
; COMPUTE_PGM_RSRC2:TIDIG_COMP_CNT: 0
	.section	.text._ZN7rocprim17ROCPRIM_400000_NS6detail17trampoline_kernelINS0_14default_configENS1_27scan_by_key_config_selectorIllEEZZNS1_16scan_by_key_implILNS1_25lookback_scan_determinismE0ELb0ES3_N6thrust23THRUST_200600_302600_NS16reverse_iteratorIPKlEESD_NSA_IPlEElN6hipcub16HIPCUB_304000_NS3MaxENSH_8EqualityElEE10hipError_tPvRmT2_T3_T4_T5_mT6_T7_P12ihipStream_tbENKUlT_T0_E_clISt17integral_constantIbLb1EESZ_IbLb0EEEEDaSV_SW_EUlSV_E_NS1_11comp_targetILNS1_3genE9ELNS1_11target_archE1100ELNS1_3gpuE3ELNS1_3repE0EEENS1_30default_config_static_selectorELNS0_4arch9wavefront6targetE0EEEvT1_,"axG",@progbits,_ZN7rocprim17ROCPRIM_400000_NS6detail17trampoline_kernelINS0_14default_configENS1_27scan_by_key_config_selectorIllEEZZNS1_16scan_by_key_implILNS1_25lookback_scan_determinismE0ELb0ES3_N6thrust23THRUST_200600_302600_NS16reverse_iteratorIPKlEESD_NSA_IPlEElN6hipcub16HIPCUB_304000_NS3MaxENSH_8EqualityElEE10hipError_tPvRmT2_T3_T4_T5_mT6_T7_P12ihipStream_tbENKUlT_T0_E_clISt17integral_constantIbLb1EESZ_IbLb0EEEEDaSV_SW_EUlSV_E_NS1_11comp_targetILNS1_3genE9ELNS1_11target_archE1100ELNS1_3gpuE3ELNS1_3repE0EEENS1_30default_config_static_selectorELNS0_4arch9wavefront6targetE0EEEvT1_,comdat
	.protected	_ZN7rocprim17ROCPRIM_400000_NS6detail17trampoline_kernelINS0_14default_configENS1_27scan_by_key_config_selectorIllEEZZNS1_16scan_by_key_implILNS1_25lookback_scan_determinismE0ELb0ES3_N6thrust23THRUST_200600_302600_NS16reverse_iteratorIPKlEESD_NSA_IPlEElN6hipcub16HIPCUB_304000_NS3MaxENSH_8EqualityElEE10hipError_tPvRmT2_T3_T4_T5_mT6_T7_P12ihipStream_tbENKUlT_T0_E_clISt17integral_constantIbLb1EESZ_IbLb0EEEEDaSV_SW_EUlSV_E_NS1_11comp_targetILNS1_3genE9ELNS1_11target_archE1100ELNS1_3gpuE3ELNS1_3repE0EEENS1_30default_config_static_selectorELNS0_4arch9wavefront6targetE0EEEvT1_ ; -- Begin function _ZN7rocprim17ROCPRIM_400000_NS6detail17trampoline_kernelINS0_14default_configENS1_27scan_by_key_config_selectorIllEEZZNS1_16scan_by_key_implILNS1_25lookback_scan_determinismE0ELb0ES3_N6thrust23THRUST_200600_302600_NS16reverse_iteratorIPKlEESD_NSA_IPlEElN6hipcub16HIPCUB_304000_NS3MaxENSH_8EqualityElEE10hipError_tPvRmT2_T3_T4_T5_mT6_T7_P12ihipStream_tbENKUlT_T0_E_clISt17integral_constantIbLb1EESZ_IbLb0EEEEDaSV_SW_EUlSV_E_NS1_11comp_targetILNS1_3genE9ELNS1_11target_archE1100ELNS1_3gpuE3ELNS1_3repE0EEENS1_30default_config_static_selectorELNS0_4arch9wavefront6targetE0EEEvT1_
	.globl	_ZN7rocprim17ROCPRIM_400000_NS6detail17trampoline_kernelINS0_14default_configENS1_27scan_by_key_config_selectorIllEEZZNS1_16scan_by_key_implILNS1_25lookback_scan_determinismE0ELb0ES3_N6thrust23THRUST_200600_302600_NS16reverse_iteratorIPKlEESD_NSA_IPlEElN6hipcub16HIPCUB_304000_NS3MaxENSH_8EqualityElEE10hipError_tPvRmT2_T3_T4_T5_mT6_T7_P12ihipStream_tbENKUlT_T0_E_clISt17integral_constantIbLb1EESZ_IbLb0EEEEDaSV_SW_EUlSV_E_NS1_11comp_targetILNS1_3genE9ELNS1_11target_archE1100ELNS1_3gpuE3ELNS1_3repE0EEENS1_30default_config_static_selectorELNS0_4arch9wavefront6targetE0EEEvT1_
	.p2align	8
	.type	_ZN7rocprim17ROCPRIM_400000_NS6detail17trampoline_kernelINS0_14default_configENS1_27scan_by_key_config_selectorIllEEZZNS1_16scan_by_key_implILNS1_25lookback_scan_determinismE0ELb0ES3_N6thrust23THRUST_200600_302600_NS16reverse_iteratorIPKlEESD_NSA_IPlEElN6hipcub16HIPCUB_304000_NS3MaxENSH_8EqualityElEE10hipError_tPvRmT2_T3_T4_T5_mT6_T7_P12ihipStream_tbENKUlT_T0_E_clISt17integral_constantIbLb1EESZ_IbLb0EEEEDaSV_SW_EUlSV_E_NS1_11comp_targetILNS1_3genE9ELNS1_11target_archE1100ELNS1_3gpuE3ELNS1_3repE0EEENS1_30default_config_static_selectorELNS0_4arch9wavefront6targetE0EEEvT1_,@function
_ZN7rocprim17ROCPRIM_400000_NS6detail17trampoline_kernelINS0_14default_configENS1_27scan_by_key_config_selectorIllEEZZNS1_16scan_by_key_implILNS1_25lookback_scan_determinismE0ELb0ES3_N6thrust23THRUST_200600_302600_NS16reverse_iteratorIPKlEESD_NSA_IPlEElN6hipcub16HIPCUB_304000_NS3MaxENSH_8EqualityElEE10hipError_tPvRmT2_T3_T4_T5_mT6_T7_P12ihipStream_tbENKUlT_T0_E_clISt17integral_constantIbLb1EESZ_IbLb0EEEEDaSV_SW_EUlSV_E_NS1_11comp_targetILNS1_3genE9ELNS1_11target_archE1100ELNS1_3gpuE3ELNS1_3repE0EEENS1_30default_config_static_selectorELNS0_4arch9wavefront6targetE0EEEvT1_: ; @_ZN7rocprim17ROCPRIM_400000_NS6detail17trampoline_kernelINS0_14default_configENS1_27scan_by_key_config_selectorIllEEZZNS1_16scan_by_key_implILNS1_25lookback_scan_determinismE0ELb0ES3_N6thrust23THRUST_200600_302600_NS16reverse_iteratorIPKlEESD_NSA_IPlEElN6hipcub16HIPCUB_304000_NS3MaxENSH_8EqualityElEE10hipError_tPvRmT2_T3_T4_T5_mT6_T7_P12ihipStream_tbENKUlT_T0_E_clISt17integral_constantIbLb1EESZ_IbLb0EEEEDaSV_SW_EUlSV_E_NS1_11comp_targetILNS1_3genE9ELNS1_11target_archE1100ELNS1_3gpuE3ELNS1_3repE0EEENS1_30default_config_static_selectorELNS0_4arch9wavefront6targetE0EEEvT1_
; %bb.0:
	.section	.rodata,"a",@progbits
	.p2align	6, 0x0
	.amdhsa_kernel _ZN7rocprim17ROCPRIM_400000_NS6detail17trampoline_kernelINS0_14default_configENS1_27scan_by_key_config_selectorIllEEZZNS1_16scan_by_key_implILNS1_25lookback_scan_determinismE0ELb0ES3_N6thrust23THRUST_200600_302600_NS16reverse_iteratorIPKlEESD_NSA_IPlEElN6hipcub16HIPCUB_304000_NS3MaxENSH_8EqualityElEE10hipError_tPvRmT2_T3_T4_T5_mT6_T7_P12ihipStream_tbENKUlT_T0_E_clISt17integral_constantIbLb1EESZ_IbLb0EEEEDaSV_SW_EUlSV_E_NS1_11comp_targetILNS1_3genE9ELNS1_11target_archE1100ELNS1_3gpuE3ELNS1_3repE0EEENS1_30default_config_static_selectorELNS0_4arch9wavefront6targetE0EEEvT1_
		.amdhsa_group_segment_fixed_size 0
		.amdhsa_private_segment_fixed_size 0
		.amdhsa_kernarg_size 136
		.amdhsa_user_sgpr_count 2
		.amdhsa_user_sgpr_dispatch_ptr 0
		.amdhsa_user_sgpr_queue_ptr 0
		.amdhsa_user_sgpr_kernarg_segment_ptr 1
		.amdhsa_user_sgpr_dispatch_id 0
		.amdhsa_user_sgpr_kernarg_preload_length 0
		.amdhsa_user_sgpr_kernarg_preload_offset 0
		.amdhsa_user_sgpr_private_segment_size 0
		.amdhsa_wavefront_size32 1
		.amdhsa_uses_dynamic_stack 0
		.amdhsa_enable_private_segment 0
		.amdhsa_system_sgpr_workgroup_id_x 1
		.amdhsa_system_sgpr_workgroup_id_y 0
		.amdhsa_system_sgpr_workgroup_id_z 0
		.amdhsa_system_sgpr_workgroup_info 0
		.amdhsa_system_vgpr_workitem_id 0
		.amdhsa_next_free_vgpr 1
		.amdhsa_next_free_sgpr 1
		.amdhsa_named_barrier_count 0
		.amdhsa_reserve_vcc 0
		.amdhsa_float_round_mode_32 0
		.amdhsa_float_round_mode_16_64 0
		.amdhsa_float_denorm_mode_32 3
		.amdhsa_float_denorm_mode_16_64 3
		.amdhsa_fp16_overflow 0
		.amdhsa_memory_ordered 1
		.amdhsa_forward_progress 1
		.amdhsa_inst_pref_size 0
		.amdhsa_round_robin_scheduling 0
		.amdhsa_exception_fp_ieee_invalid_op 0
		.amdhsa_exception_fp_denorm_src 0
		.amdhsa_exception_fp_ieee_div_zero 0
		.amdhsa_exception_fp_ieee_overflow 0
		.amdhsa_exception_fp_ieee_underflow 0
		.amdhsa_exception_fp_ieee_inexact 0
		.amdhsa_exception_int_div_zero 0
	.end_amdhsa_kernel
	.section	.text._ZN7rocprim17ROCPRIM_400000_NS6detail17trampoline_kernelINS0_14default_configENS1_27scan_by_key_config_selectorIllEEZZNS1_16scan_by_key_implILNS1_25lookback_scan_determinismE0ELb0ES3_N6thrust23THRUST_200600_302600_NS16reverse_iteratorIPKlEESD_NSA_IPlEElN6hipcub16HIPCUB_304000_NS3MaxENSH_8EqualityElEE10hipError_tPvRmT2_T3_T4_T5_mT6_T7_P12ihipStream_tbENKUlT_T0_E_clISt17integral_constantIbLb1EESZ_IbLb0EEEEDaSV_SW_EUlSV_E_NS1_11comp_targetILNS1_3genE9ELNS1_11target_archE1100ELNS1_3gpuE3ELNS1_3repE0EEENS1_30default_config_static_selectorELNS0_4arch9wavefront6targetE0EEEvT1_,"axG",@progbits,_ZN7rocprim17ROCPRIM_400000_NS6detail17trampoline_kernelINS0_14default_configENS1_27scan_by_key_config_selectorIllEEZZNS1_16scan_by_key_implILNS1_25lookback_scan_determinismE0ELb0ES3_N6thrust23THRUST_200600_302600_NS16reverse_iteratorIPKlEESD_NSA_IPlEElN6hipcub16HIPCUB_304000_NS3MaxENSH_8EqualityElEE10hipError_tPvRmT2_T3_T4_T5_mT6_T7_P12ihipStream_tbENKUlT_T0_E_clISt17integral_constantIbLb1EESZ_IbLb0EEEEDaSV_SW_EUlSV_E_NS1_11comp_targetILNS1_3genE9ELNS1_11target_archE1100ELNS1_3gpuE3ELNS1_3repE0EEENS1_30default_config_static_selectorELNS0_4arch9wavefront6targetE0EEEvT1_,comdat
.Lfunc_end164:
	.size	_ZN7rocprim17ROCPRIM_400000_NS6detail17trampoline_kernelINS0_14default_configENS1_27scan_by_key_config_selectorIllEEZZNS1_16scan_by_key_implILNS1_25lookback_scan_determinismE0ELb0ES3_N6thrust23THRUST_200600_302600_NS16reverse_iteratorIPKlEESD_NSA_IPlEElN6hipcub16HIPCUB_304000_NS3MaxENSH_8EqualityElEE10hipError_tPvRmT2_T3_T4_T5_mT6_T7_P12ihipStream_tbENKUlT_T0_E_clISt17integral_constantIbLb1EESZ_IbLb0EEEEDaSV_SW_EUlSV_E_NS1_11comp_targetILNS1_3genE9ELNS1_11target_archE1100ELNS1_3gpuE3ELNS1_3repE0EEENS1_30default_config_static_selectorELNS0_4arch9wavefront6targetE0EEEvT1_, .Lfunc_end164-_ZN7rocprim17ROCPRIM_400000_NS6detail17trampoline_kernelINS0_14default_configENS1_27scan_by_key_config_selectorIllEEZZNS1_16scan_by_key_implILNS1_25lookback_scan_determinismE0ELb0ES3_N6thrust23THRUST_200600_302600_NS16reverse_iteratorIPKlEESD_NSA_IPlEElN6hipcub16HIPCUB_304000_NS3MaxENSH_8EqualityElEE10hipError_tPvRmT2_T3_T4_T5_mT6_T7_P12ihipStream_tbENKUlT_T0_E_clISt17integral_constantIbLb1EESZ_IbLb0EEEEDaSV_SW_EUlSV_E_NS1_11comp_targetILNS1_3genE9ELNS1_11target_archE1100ELNS1_3gpuE3ELNS1_3repE0EEENS1_30default_config_static_selectorELNS0_4arch9wavefront6targetE0EEEvT1_
                                        ; -- End function
	.set _ZN7rocprim17ROCPRIM_400000_NS6detail17trampoline_kernelINS0_14default_configENS1_27scan_by_key_config_selectorIllEEZZNS1_16scan_by_key_implILNS1_25lookback_scan_determinismE0ELb0ES3_N6thrust23THRUST_200600_302600_NS16reverse_iteratorIPKlEESD_NSA_IPlEElN6hipcub16HIPCUB_304000_NS3MaxENSH_8EqualityElEE10hipError_tPvRmT2_T3_T4_T5_mT6_T7_P12ihipStream_tbENKUlT_T0_E_clISt17integral_constantIbLb1EESZ_IbLb0EEEEDaSV_SW_EUlSV_E_NS1_11comp_targetILNS1_3genE9ELNS1_11target_archE1100ELNS1_3gpuE3ELNS1_3repE0EEENS1_30default_config_static_selectorELNS0_4arch9wavefront6targetE0EEEvT1_.num_vgpr, 0
	.set _ZN7rocprim17ROCPRIM_400000_NS6detail17trampoline_kernelINS0_14default_configENS1_27scan_by_key_config_selectorIllEEZZNS1_16scan_by_key_implILNS1_25lookback_scan_determinismE0ELb0ES3_N6thrust23THRUST_200600_302600_NS16reverse_iteratorIPKlEESD_NSA_IPlEElN6hipcub16HIPCUB_304000_NS3MaxENSH_8EqualityElEE10hipError_tPvRmT2_T3_T4_T5_mT6_T7_P12ihipStream_tbENKUlT_T0_E_clISt17integral_constantIbLb1EESZ_IbLb0EEEEDaSV_SW_EUlSV_E_NS1_11comp_targetILNS1_3genE9ELNS1_11target_archE1100ELNS1_3gpuE3ELNS1_3repE0EEENS1_30default_config_static_selectorELNS0_4arch9wavefront6targetE0EEEvT1_.num_agpr, 0
	.set _ZN7rocprim17ROCPRIM_400000_NS6detail17trampoline_kernelINS0_14default_configENS1_27scan_by_key_config_selectorIllEEZZNS1_16scan_by_key_implILNS1_25lookback_scan_determinismE0ELb0ES3_N6thrust23THRUST_200600_302600_NS16reverse_iteratorIPKlEESD_NSA_IPlEElN6hipcub16HIPCUB_304000_NS3MaxENSH_8EqualityElEE10hipError_tPvRmT2_T3_T4_T5_mT6_T7_P12ihipStream_tbENKUlT_T0_E_clISt17integral_constantIbLb1EESZ_IbLb0EEEEDaSV_SW_EUlSV_E_NS1_11comp_targetILNS1_3genE9ELNS1_11target_archE1100ELNS1_3gpuE3ELNS1_3repE0EEENS1_30default_config_static_selectorELNS0_4arch9wavefront6targetE0EEEvT1_.numbered_sgpr, 0
	.set _ZN7rocprim17ROCPRIM_400000_NS6detail17trampoline_kernelINS0_14default_configENS1_27scan_by_key_config_selectorIllEEZZNS1_16scan_by_key_implILNS1_25lookback_scan_determinismE0ELb0ES3_N6thrust23THRUST_200600_302600_NS16reverse_iteratorIPKlEESD_NSA_IPlEElN6hipcub16HIPCUB_304000_NS3MaxENSH_8EqualityElEE10hipError_tPvRmT2_T3_T4_T5_mT6_T7_P12ihipStream_tbENKUlT_T0_E_clISt17integral_constantIbLb1EESZ_IbLb0EEEEDaSV_SW_EUlSV_E_NS1_11comp_targetILNS1_3genE9ELNS1_11target_archE1100ELNS1_3gpuE3ELNS1_3repE0EEENS1_30default_config_static_selectorELNS0_4arch9wavefront6targetE0EEEvT1_.num_named_barrier, 0
	.set _ZN7rocprim17ROCPRIM_400000_NS6detail17trampoline_kernelINS0_14default_configENS1_27scan_by_key_config_selectorIllEEZZNS1_16scan_by_key_implILNS1_25lookback_scan_determinismE0ELb0ES3_N6thrust23THRUST_200600_302600_NS16reverse_iteratorIPKlEESD_NSA_IPlEElN6hipcub16HIPCUB_304000_NS3MaxENSH_8EqualityElEE10hipError_tPvRmT2_T3_T4_T5_mT6_T7_P12ihipStream_tbENKUlT_T0_E_clISt17integral_constantIbLb1EESZ_IbLb0EEEEDaSV_SW_EUlSV_E_NS1_11comp_targetILNS1_3genE9ELNS1_11target_archE1100ELNS1_3gpuE3ELNS1_3repE0EEENS1_30default_config_static_selectorELNS0_4arch9wavefront6targetE0EEEvT1_.private_seg_size, 0
	.set _ZN7rocprim17ROCPRIM_400000_NS6detail17trampoline_kernelINS0_14default_configENS1_27scan_by_key_config_selectorIllEEZZNS1_16scan_by_key_implILNS1_25lookback_scan_determinismE0ELb0ES3_N6thrust23THRUST_200600_302600_NS16reverse_iteratorIPKlEESD_NSA_IPlEElN6hipcub16HIPCUB_304000_NS3MaxENSH_8EqualityElEE10hipError_tPvRmT2_T3_T4_T5_mT6_T7_P12ihipStream_tbENKUlT_T0_E_clISt17integral_constantIbLb1EESZ_IbLb0EEEEDaSV_SW_EUlSV_E_NS1_11comp_targetILNS1_3genE9ELNS1_11target_archE1100ELNS1_3gpuE3ELNS1_3repE0EEENS1_30default_config_static_selectorELNS0_4arch9wavefront6targetE0EEEvT1_.uses_vcc, 0
	.set _ZN7rocprim17ROCPRIM_400000_NS6detail17trampoline_kernelINS0_14default_configENS1_27scan_by_key_config_selectorIllEEZZNS1_16scan_by_key_implILNS1_25lookback_scan_determinismE0ELb0ES3_N6thrust23THRUST_200600_302600_NS16reverse_iteratorIPKlEESD_NSA_IPlEElN6hipcub16HIPCUB_304000_NS3MaxENSH_8EqualityElEE10hipError_tPvRmT2_T3_T4_T5_mT6_T7_P12ihipStream_tbENKUlT_T0_E_clISt17integral_constantIbLb1EESZ_IbLb0EEEEDaSV_SW_EUlSV_E_NS1_11comp_targetILNS1_3genE9ELNS1_11target_archE1100ELNS1_3gpuE3ELNS1_3repE0EEENS1_30default_config_static_selectorELNS0_4arch9wavefront6targetE0EEEvT1_.uses_flat_scratch, 0
	.set _ZN7rocprim17ROCPRIM_400000_NS6detail17trampoline_kernelINS0_14default_configENS1_27scan_by_key_config_selectorIllEEZZNS1_16scan_by_key_implILNS1_25lookback_scan_determinismE0ELb0ES3_N6thrust23THRUST_200600_302600_NS16reverse_iteratorIPKlEESD_NSA_IPlEElN6hipcub16HIPCUB_304000_NS3MaxENSH_8EqualityElEE10hipError_tPvRmT2_T3_T4_T5_mT6_T7_P12ihipStream_tbENKUlT_T0_E_clISt17integral_constantIbLb1EESZ_IbLb0EEEEDaSV_SW_EUlSV_E_NS1_11comp_targetILNS1_3genE9ELNS1_11target_archE1100ELNS1_3gpuE3ELNS1_3repE0EEENS1_30default_config_static_selectorELNS0_4arch9wavefront6targetE0EEEvT1_.has_dyn_sized_stack, 0
	.set _ZN7rocprim17ROCPRIM_400000_NS6detail17trampoline_kernelINS0_14default_configENS1_27scan_by_key_config_selectorIllEEZZNS1_16scan_by_key_implILNS1_25lookback_scan_determinismE0ELb0ES3_N6thrust23THRUST_200600_302600_NS16reverse_iteratorIPKlEESD_NSA_IPlEElN6hipcub16HIPCUB_304000_NS3MaxENSH_8EqualityElEE10hipError_tPvRmT2_T3_T4_T5_mT6_T7_P12ihipStream_tbENKUlT_T0_E_clISt17integral_constantIbLb1EESZ_IbLb0EEEEDaSV_SW_EUlSV_E_NS1_11comp_targetILNS1_3genE9ELNS1_11target_archE1100ELNS1_3gpuE3ELNS1_3repE0EEENS1_30default_config_static_selectorELNS0_4arch9wavefront6targetE0EEEvT1_.has_recursion, 0
	.set _ZN7rocprim17ROCPRIM_400000_NS6detail17trampoline_kernelINS0_14default_configENS1_27scan_by_key_config_selectorIllEEZZNS1_16scan_by_key_implILNS1_25lookback_scan_determinismE0ELb0ES3_N6thrust23THRUST_200600_302600_NS16reverse_iteratorIPKlEESD_NSA_IPlEElN6hipcub16HIPCUB_304000_NS3MaxENSH_8EqualityElEE10hipError_tPvRmT2_T3_T4_T5_mT6_T7_P12ihipStream_tbENKUlT_T0_E_clISt17integral_constantIbLb1EESZ_IbLb0EEEEDaSV_SW_EUlSV_E_NS1_11comp_targetILNS1_3genE9ELNS1_11target_archE1100ELNS1_3gpuE3ELNS1_3repE0EEENS1_30default_config_static_selectorELNS0_4arch9wavefront6targetE0EEEvT1_.has_indirect_call, 0
	.section	.AMDGPU.csdata,"",@progbits
; Kernel info:
; codeLenInByte = 0
; TotalNumSgprs: 0
; NumVgprs: 0
; ScratchSize: 0
; MemoryBound: 0
; FloatMode: 240
; IeeeMode: 1
; LDSByteSize: 0 bytes/workgroup (compile time only)
; SGPRBlocks: 0
; VGPRBlocks: 0
; NumSGPRsForWavesPerEU: 1
; NumVGPRsForWavesPerEU: 1
; NamedBarCnt: 0
; Occupancy: 16
; WaveLimiterHint : 0
; COMPUTE_PGM_RSRC2:SCRATCH_EN: 0
; COMPUTE_PGM_RSRC2:USER_SGPR: 2
; COMPUTE_PGM_RSRC2:TRAP_HANDLER: 0
; COMPUTE_PGM_RSRC2:TGID_X_EN: 1
; COMPUTE_PGM_RSRC2:TGID_Y_EN: 0
; COMPUTE_PGM_RSRC2:TGID_Z_EN: 0
; COMPUTE_PGM_RSRC2:TIDIG_COMP_CNT: 0
	.section	.text._ZN7rocprim17ROCPRIM_400000_NS6detail17trampoline_kernelINS0_14default_configENS1_27scan_by_key_config_selectorIllEEZZNS1_16scan_by_key_implILNS1_25lookback_scan_determinismE0ELb0ES3_N6thrust23THRUST_200600_302600_NS16reverse_iteratorIPKlEESD_NSA_IPlEElN6hipcub16HIPCUB_304000_NS3MaxENSH_8EqualityElEE10hipError_tPvRmT2_T3_T4_T5_mT6_T7_P12ihipStream_tbENKUlT_T0_E_clISt17integral_constantIbLb1EESZ_IbLb0EEEEDaSV_SW_EUlSV_E_NS1_11comp_targetILNS1_3genE8ELNS1_11target_archE1030ELNS1_3gpuE2ELNS1_3repE0EEENS1_30default_config_static_selectorELNS0_4arch9wavefront6targetE0EEEvT1_,"axG",@progbits,_ZN7rocprim17ROCPRIM_400000_NS6detail17trampoline_kernelINS0_14default_configENS1_27scan_by_key_config_selectorIllEEZZNS1_16scan_by_key_implILNS1_25lookback_scan_determinismE0ELb0ES3_N6thrust23THRUST_200600_302600_NS16reverse_iteratorIPKlEESD_NSA_IPlEElN6hipcub16HIPCUB_304000_NS3MaxENSH_8EqualityElEE10hipError_tPvRmT2_T3_T4_T5_mT6_T7_P12ihipStream_tbENKUlT_T0_E_clISt17integral_constantIbLb1EESZ_IbLb0EEEEDaSV_SW_EUlSV_E_NS1_11comp_targetILNS1_3genE8ELNS1_11target_archE1030ELNS1_3gpuE2ELNS1_3repE0EEENS1_30default_config_static_selectorELNS0_4arch9wavefront6targetE0EEEvT1_,comdat
	.protected	_ZN7rocprim17ROCPRIM_400000_NS6detail17trampoline_kernelINS0_14default_configENS1_27scan_by_key_config_selectorIllEEZZNS1_16scan_by_key_implILNS1_25lookback_scan_determinismE0ELb0ES3_N6thrust23THRUST_200600_302600_NS16reverse_iteratorIPKlEESD_NSA_IPlEElN6hipcub16HIPCUB_304000_NS3MaxENSH_8EqualityElEE10hipError_tPvRmT2_T3_T4_T5_mT6_T7_P12ihipStream_tbENKUlT_T0_E_clISt17integral_constantIbLb1EESZ_IbLb0EEEEDaSV_SW_EUlSV_E_NS1_11comp_targetILNS1_3genE8ELNS1_11target_archE1030ELNS1_3gpuE2ELNS1_3repE0EEENS1_30default_config_static_selectorELNS0_4arch9wavefront6targetE0EEEvT1_ ; -- Begin function _ZN7rocprim17ROCPRIM_400000_NS6detail17trampoline_kernelINS0_14default_configENS1_27scan_by_key_config_selectorIllEEZZNS1_16scan_by_key_implILNS1_25lookback_scan_determinismE0ELb0ES3_N6thrust23THRUST_200600_302600_NS16reverse_iteratorIPKlEESD_NSA_IPlEElN6hipcub16HIPCUB_304000_NS3MaxENSH_8EqualityElEE10hipError_tPvRmT2_T3_T4_T5_mT6_T7_P12ihipStream_tbENKUlT_T0_E_clISt17integral_constantIbLb1EESZ_IbLb0EEEEDaSV_SW_EUlSV_E_NS1_11comp_targetILNS1_3genE8ELNS1_11target_archE1030ELNS1_3gpuE2ELNS1_3repE0EEENS1_30default_config_static_selectorELNS0_4arch9wavefront6targetE0EEEvT1_
	.globl	_ZN7rocprim17ROCPRIM_400000_NS6detail17trampoline_kernelINS0_14default_configENS1_27scan_by_key_config_selectorIllEEZZNS1_16scan_by_key_implILNS1_25lookback_scan_determinismE0ELb0ES3_N6thrust23THRUST_200600_302600_NS16reverse_iteratorIPKlEESD_NSA_IPlEElN6hipcub16HIPCUB_304000_NS3MaxENSH_8EqualityElEE10hipError_tPvRmT2_T3_T4_T5_mT6_T7_P12ihipStream_tbENKUlT_T0_E_clISt17integral_constantIbLb1EESZ_IbLb0EEEEDaSV_SW_EUlSV_E_NS1_11comp_targetILNS1_3genE8ELNS1_11target_archE1030ELNS1_3gpuE2ELNS1_3repE0EEENS1_30default_config_static_selectorELNS0_4arch9wavefront6targetE0EEEvT1_
	.p2align	8
	.type	_ZN7rocprim17ROCPRIM_400000_NS6detail17trampoline_kernelINS0_14default_configENS1_27scan_by_key_config_selectorIllEEZZNS1_16scan_by_key_implILNS1_25lookback_scan_determinismE0ELb0ES3_N6thrust23THRUST_200600_302600_NS16reverse_iteratorIPKlEESD_NSA_IPlEElN6hipcub16HIPCUB_304000_NS3MaxENSH_8EqualityElEE10hipError_tPvRmT2_T3_T4_T5_mT6_T7_P12ihipStream_tbENKUlT_T0_E_clISt17integral_constantIbLb1EESZ_IbLb0EEEEDaSV_SW_EUlSV_E_NS1_11comp_targetILNS1_3genE8ELNS1_11target_archE1030ELNS1_3gpuE2ELNS1_3repE0EEENS1_30default_config_static_selectorELNS0_4arch9wavefront6targetE0EEEvT1_,@function
_ZN7rocprim17ROCPRIM_400000_NS6detail17trampoline_kernelINS0_14default_configENS1_27scan_by_key_config_selectorIllEEZZNS1_16scan_by_key_implILNS1_25lookback_scan_determinismE0ELb0ES3_N6thrust23THRUST_200600_302600_NS16reverse_iteratorIPKlEESD_NSA_IPlEElN6hipcub16HIPCUB_304000_NS3MaxENSH_8EqualityElEE10hipError_tPvRmT2_T3_T4_T5_mT6_T7_P12ihipStream_tbENKUlT_T0_E_clISt17integral_constantIbLb1EESZ_IbLb0EEEEDaSV_SW_EUlSV_E_NS1_11comp_targetILNS1_3genE8ELNS1_11target_archE1030ELNS1_3gpuE2ELNS1_3repE0EEENS1_30default_config_static_selectorELNS0_4arch9wavefront6targetE0EEEvT1_: ; @_ZN7rocprim17ROCPRIM_400000_NS6detail17trampoline_kernelINS0_14default_configENS1_27scan_by_key_config_selectorIllEEZZNS1_16scan_by_key_implILNS1_25lookback_scan_determinismE0ELb0ES3_N6thrust23THRUST_200600_302600_NS16reverse_iteratorIPKlEESD_NSA_IPlEElN6hipcub16HIPCUB_304000_NS3MaxENSH_8EqualityElEE10hipError_tPvRmT2_T3_T4_T5_mT6_T7_P12ihipStream_tbENKUlT_T0_E_clISt17integral_constantIbLb1EESZ_IbLb0EEEEDaSV_SW_EUlSV_E_NS1_11comp_targetILNS1_3genE8ELNS1_11target_archE1030ELNS1_3gpuE2ELNS1_3repE0EEENS1_30default_config_static_selectorELNS0_4arch9wavefront6targetE0EEEvT1_
; %bb.0:
	.section	.rodata,"a",@progbits
	.p2align	6, 0x0
	.amdhsa_kernel _ZN7rocprim17ROCPRIM_400000_NS6detail17trampoline_kernelINS0_14default_configENS1_27scan_by_key_config_selectorIllEEZZNS1_16scan_by_key_implILNS1_25lookback_scan_determinismE0ELb0ES3_N6thrust23THRUST_200600_302600_NS16reverse_iteratorIPKlEESD_NSA_IPlEElN6hipcub16HIPCUB_304000_NS3MaxENSH_8EqualityElEE10hipError_tPvRmT2_T3_T4_T5_mT6_T7_P12ihipStream_tbENKUlT_T0_E_clISt17integral_constantIbLb1EESZ_IbLb0EEEEDaSV_SW_EUlSV_E_NS1_11comp_targetILNS1_3genE8ELNS1_11target_archE1030ELNS1_3gpuE2ELNS1_3repE0EEENS1_30default_config_static_selectorELNS0_4arch9wavefront6targetE0EEEvT1_
		.amdhsa_group_segment_fixed_size 0
		.amdhsa_private_segment_fixed_size 0
		.amdhsa_kernarg_size 136
		.amdhsa_user_sgpr_count 2
		.amdhsa_user_sgpr_dispatch_ptr 0
		.amdhsa_user_sgpr_queue_ptr 0
		.amdhsa_user_sgpr_kernarg_segment_ptr 1
		.amdhsa_user_sgpr_dispatch_id 0
		.amdhsa_user_sgpr_kernarg_preload_length 0
		.amdhsa_user_sgpr_kernarg_preload_offset 0
		.amdhsa_user_sgpr_private_segment_size 0
		.amdhsa_wavefront_size32 1
		.amdhsa_uses_dynamic_stack 0
		.amdhsa_enable_private_segment 0
		.amdhsa_system_sgpr_workgroup_id_x 1
		.amdhsa_system_sgpr_workgroup_id_y 0
		.amdhsa_system_sgpr_workgroup_id_z 0
		.amdhsa_system_sgpr_workgroup_info 0
		.amdhsa_system_vgpr_workitem_id 0
		.amdhsa_next_free_vgpr 1
		.amdhsa_next_free_sgpr 1
		.amdhsa_named_barrier_count 0
		.amdhsa_reserve_vcc 0
		.amdhsa_float_round_mode_32 0
		.amdhsa_float_round_mode_16_64 0
		.amdhsa_float_denorm_mode_32 3
		.amdhsa_float_denorm_mode_16_64 3
		.amdhsa_fp16_overflow 0
		.amdhsa_memory_ordered 1
		.amdhsa_forward_progress 1
		.amdhsa_inst_pref_size 0
		.amdhsa_round_robin_scheduling 0
		.amdhsa_exception_fp_ieee_invalid_op 0
		.amdhsa_exception_fp_denorm_src 0
		.amdhsa_exception_fp_ieee_div_zero 0
		.amdhsa_exception_fp_ieee_overflow 0
		.amdhsa_exception_fp_ieee_underflow 0
		.amdhsa_exception_fp_ieee_inexact 0
		.amdhsa_exception_int_div_zero 0
	.end_amdhsa_kernel
	.section	.text._ZN7rocprim17ROCPRIM_400000_NS6detail17trampoline_kernelINS0_14default_configENS1_27scan_by_key_config_selectorIllEEZZNS1_16scan_by_key_implILNS1_25lookback_scan_determinismE0ELb0ES3_N6thrust23THRUST_200600_302600_NS16reverse_iteratorIPKlEESD_NSA_IPlEElN6hipcub16HIPCUB_304000_NS3MaxENSH_8EqualityElEE10hipError_tPvRmT2_T3_T4_T5_mT6_T7_P12ihipStream_tbENKUlT_T0_E_clISt17integral_constantIbLb1EESZ_IbLb0EEEEDaSV_SW_EUlSV_E_NS1_11comp_targetILNS1_3genE8ELNS1_11target_archE1030ELNS1_3gpuE2ELNS1_3repE0EEENS1_30default_config_static_selectorELNS0_4arch9wavefront6targetE0EEEvT1_,"axG",@progbits,_ZN7rocprim17ROCPRIM_400000_NS6detail17trampoline_kernelINS0_14default_configENS1_27scan_by_key_config_selectorIllEEZZNS1_16scan_by_key_implILNS1_25lookback_scan_determinismE0ELb0ES3_N6thrust23THRUST_200600_302600_NS16reverse_iteratorIPKlEESD_NSA_IPlEElN6hipcub16HIPCUB_304000_NS3MaxENSH_8EqualityElEE10hipError_tPvRmT2_T3_T4_T5_mT6_T7_P12ihipStream_tbENKUlT_T0_E_clISt17integral_constantIbLb1EESZ_IbLb0EEEEDaSV_SW_EUlSV_E_NS1_11comp_targetILNS1_3genE8ELNS1_11target_archE1030ELNS1_3gpuE2ELNS1_3repE0EEENS1_30default_config_static_selectorELNS0_4arch9wavefront6targetE0EEEvT1_,comdat
.Lfunc_end165:
	.size	_ZN7rocprim17ROCPRIM_400000_NS6detail17trampoline_kernelINS0_14default_configENS1_27scan_by_key_config_selectorIllEEZZNS1_16scan_by_key_implILNS1_25lookback_scan_determinismE0ELb0ES3_N6thrust23THRUST_200600_302600_NS16reverse_iteratorIPKlEESD_NSA_IPlEElN6hipcub16HIPCUB_304000_NS3MaxENSH_8EqualityElEE10hipError_tPvRmT2_T3_T4_T5_mT6_T7_P12ihipStream_tbENKUlT_T0_E_clISt17integral_constantIbLb1EESZ_IbLb0EEEEDaSV_SW_EUlSV_E_NS1_11comp_targetILNS1_3genE8ELNS1_11target_archE1030ELNS1_3gpuE2ELNS1_3repE0EEENS1_30default_config_static_selectorELNS0_4arch9wavefront6targetE0EEEvT1_, .Lfunc_end165-_ZN7rocprim17ROCPRIM_400000_NS6detail17trampoline_kernelINS0_14default_configENS1_27scan_by_key_config_selectorIllEEZZNS1_16scan_by_key_implILNS1_25lookback_scan_determinismE0ELb0ES3_N6thrust23THRUST_200600_302600_NS16reverse_iteratorIPKlEESD_NSA_IPlEElN6hipcub16HIPCUB_304000_NS3MaxENSH_8EqualityElEE10hipError_tPvRmT2_T3_T4_T5_mT6_T7_P12ihipStream_tbENKUlT_T0_E_clISt17integral_constantIbLb1EESZ_IbLb0EEEEDaSV_SW_EUlSV_E_NS1_11comp_targetILNS1_3genE8ELNS1_11target_archE1030ELNS1_3gpuE2ELNS1_3repE0EEENS1_30default_config_static_selectorELNS0_4arch9wavefront6targetE0EEEvT1_
                                        ; -- End function
	.set _ZN7rocprim17ROCPRIM_400000_NS6detail17trampoline_kernelINS0_14default_configENS1_27scan_by_key_config_selectorIllEEZZNS1_16scan_by_key_implILNS1_25lookback_scan_determinismE0ELb0ES3_N6thrust23THRUST_200600_302600_NS16reverse_iteratorIPKlEESD_NSA_IPlEElN6hipcub16HIPCUB_304000_NS3MaxENSH_8EqualityElEE10hipError_tPvRmT2_T3_T4_T5_mT6_T7_P12ihipStream_tbENKUlT_T0_E_clISt17integral_constantIbLb1EESZ_IbLb0EEEEDaSV_SW_EUlSV_E_NS1_11comp_targetILNS1_3genE8ELNS1_11target_archE1030ELNS1_3gpuE2ELNS1_3repE0EEENS1_30default_config_static_selectorELNS0_4arch9wavefront6targetE0EEEvT1_.num_vgpr, 0
	.set _ZN7rocprim17ROCPRIM_400000_NS6detail17trampoline_kernelINS0_14default_configENS1_27scan_by_key_config_selectorIllEEZZNS1_16scan_by_key_implILNS1_25lookback_scan_determinismE0ELb0ES3_N6thrust23THRUST_200600_302600_NS16reverse_iteratorIPKlEESD_NSA_IPlEElN6hipcub16HIPCUB_304000_NS3MaxENSH_8EqualityElEE10hipError_tPvRmT2_T3_T4_T5_mT6_T7_P12ihipStream_tbENKUlT_T0_E_clISt17integral_constantIbLb1EESZ_IbLb0EEEEDaSV_SW_EUlSV_E_NS1_11comp_targetILNS1_3genE8ELNS1_11target_archE1030ELNS1_3gpuE2ELNS1_3repE0EEENS1_30default_config_static_selectorELNS0_4arch9wavefront6targetE0EEEvT1_.num_agpr, 0
	.set _ZN7rocprim17ROCPRIM_400000_NS6detail17trampoline_kernelINS0_14default_configENS1_27scan_by_key_config_selectorIllEEZZNS1_16scan_by_key_implILNS1_25lookback_scan_determinismE0ELb0ES3_N6thrust23THRUST_200600_302600_NS16reverse_iteratorIPKlEESD_NSA_IPlEElN6hipcub16HIPCUB_304000_NS3MaxENSH_8EqualityElEE10hipError_tPvRmT2_T3_T4_T5_mT6_T7_P12ihipStream_tbENKUlT_T0_E_clISt17integral_constantIbLb1EESZ_IbLb0EEEEDaSV_SW_EUlSV_E_NS1_11comp_targetILNS1_3genE8ELNS1_11target_archE1030ELNS1_3gpuE2ELNS1_3repE0EEENS1_30default_config_static_selectorELNS0_4arch9wavefront6targetE0EEEvT1_.numbered_sgpr, 0
	.set _ZN7rocprim17ROCPRIM_400000_NS6detail17trampoline_kernelINS0_14default_configENS1_27scan_by_key_config_selectorIllEEZZNS1_16scan_by_key_implILNS1_25lookback_scan_determinismE0ELb0ES3_N6thrust23THRUST_200600_302600_NS16reverse_iteratorIPKlEESD_NSA_IPlEElN6hipcub16HIPCUB_304000_NS3MaxENSH_8EqualityElEE10hipError_tPvRmT2_T3_T4_T5_mT6_T7_P12ihipStream_tbENKUlT_T0_E_clISt17integral_constantIbLb1EESZ_IbLb0EEEEDaSV_SW_EUlSV_E_NS1_11comp_targetILNS1_3genE8ELNS1_11target_archE1030ELNS1_3gpuE2ELNS1_3repE0EEENS1_30default_config_static_selectorELNS0_4arch9wavefront6targetE0EEEvT1_.num_named_barrier, 0
	.set _ZN7rocprim17ROCPRIM_400000_NS6detail17trampoline_kernelINS0_14default_configENS1_27scan_by_key_config_selectorIllEEZZNS1_16scan_by_key_implILNS1_25lookback_scan_determinismE0ELb0ES3_N6thrust23THRUST_200600_302600_NS16reverse_iteratorIPKlEESD_NSA_IPlEElN6hipcub16HIPCUB_304000_NS3MaxENSH_8EqualityElEE10hipError_tPvRmT2_T3_T4_T5_mT6_T7_P12ihipStream_tbENKUlT_T0_E_clISt17integral_constantIbLb1EESZ_IbLb0EEEEDaSV_SW_EUlSV_E_NS1_11comp_targetILNS1_3genE8ELNS1_11target_archE1030ELNS1_3gpuE2ELNS1_3repE0EEENS1_30default_config_static_selectorELNS0_4arch9wavefront6targetE0EEEvT1_.private_seg_size, 0
	.set _ZN7rocprim17ROCPRIM_400000_NS6detail17trampoline_kernelINS0_14default_configENS1_27scan_by_key_config_selectorIllEEZZNS1_16scan_by_key_implILNS1_25lookback_scan_determinismE0ELb0ES3_N6thrust23THRUST_200600_302600_NS16reverse_iteratorIPKlEESD_NSA_IPlEElN6hipcub16HIPCUB_304000_NS3MaxENSH_8EqualityElEE10hipError_tPvRmT2_T3_T4_T5_mT6_T7_P12ihipStream_tbENKUlT_T0_E_clISt17integral_constantIbLb1EESZ_IbLb0EEEEDaSV_SW_EUlSV_E_NS1_11comp_targetILNS1_3genE8ELNS1_11target_archE1030ELNS1_3gpuE2ELNS1_3repE0EEENS1_30default_config_static_selectorELNS0_4arch9wavefront6targetE0EEEvT1_.uses_vcc, 0
	.set _ZN7rocprim17ROCPRIM_400000_NS6detail17trampoline_kernelINS0_14default_configENS1_27scan_by_key_config_selectorIllEEZZNS1_16scan_by_key_implILNS1_25lookback_scan_determinismE0ELb0ES3_N6thrust23THRUST_200600_302600_NS16reverse_iteratorIPKlEESD_NSA_IPlEElN6hipcub16HIPCUB_304000_NS3MaxENSH_8EqualityElEE10hipError_tPvRmT2_T3_T4_T5_mT6_T7_P12ihipStream_tbENKUlT_T0_E_clISt17integral_constantIbLb1EESZ_IbLb0EEEEDaSV_SW_EUlSV_E_NS1_11comp_targetILNS1_3genE8ELNS1_11target_archE1030ELNS1_3gpuE2ELNS1_3repE0EEENS1_30default_config_static_selectorELNS0_4arch9wavefront6targetE0EEEvT1_.uses_flat_scratch, 0
	.set _ZN7rocprim17ROCPRIM_400000_NS6detail17trampoline_kernelINS0_14default_configENS1_27scan_by_key_config_selectorIllEEZZNS1_16scan_by_key_implILNS1_25lookback_scan_determinismE0ELb0ES3_N6thrust23THRUST_200600_302600_NS16reverse_iteratorIPKlEESD_NSA_IPlEElN6hipcub16HIPCUB_304000_NS3MaxENSH_8EqualityElEE10hipError_tPvRmT2_T3_T4_T5_mT6_T7_P12ihipStream_tbENKUlT_T0_E_clISt17integral_constantIbLb1EESZ_IbLb0EEEEDaSV_SW_EUlSV_E_NS1_11comp_targetILNS1_3genE8ELNS1_11target_archE1030ELNS1_3gpuE2ELNS1_3repE0EEENS1_30default_config_static_selectorELNS0_4arch9wavefront6targetE0EEEvT1_.has_dyn_sized_stack, 0
	.set _ZN7rocprim17ROCPRIM_400000_NS6detail17trampoline_kernelINS0_14default_configENS1_27scan_by_key_config_selectorIllEEZZNS1_16scan_by_key_implILNS1_25lookback_scan_determinismE0ELb0ES3_N6thrust23THRUST_200600_302600_NS16reverse_iteratorIPKlEESD_NSA_IPlEElN6hipcub16HIPCUB_304000_NS3MaxENSH_8EqualityElEE10hipError_tPvRmT2_T3_T4_T5_mT6_T7_P12ihipStream_tbENKUlT_T0_E_clISt17integral_constantIbLb1EESZ_IbLb0EEEEDaSV_SW_EUlSV_E_NS1_11comp_targetILNS1_3genE8ELNS1_11target_archE1030ELNS1_3gpuE2ELNS1_3repE0EEENS1_30default_config_static_selectorELNS0_4arch9wavefront6targetE0EEEvT1_.has_recursion, 0
	.set _ZN7rocprim17ROCPRIM_400000_NS6detail17trampoline_kernelINS0_14default_configENS1_27scan_by_key_config_selectorIllEEZZNS1_16scan_by_key_implILNS1_25lookback_scan_determinismE0ELb0ES3_N6thrust23THRUST_200600_302600_NS16reverse_iteratorIPKlEESD_NSA_IPlEElN6hipcub16HIPCUB_304000_NS3MaxENSH_8EqualityElEE10hipError_tPvRmT2_T3_T4_T5_mT6_T7_P12ihipStream_tbENKUlT_T0_E_clISt17integral_constantIbLb1EESZ_IbLb0EEEEDaSV_SW_EUlSV_E_NS1_11comp_targetILNS1_3genE8ELNS1_11target_archE1030ELNS1_3gpuE2ELNS1_3repE0EEENS1_30default_config_static_selectorELNS0_4arch9wavefront6targetE0EEEvT1_.has_indirect_call, 0
	.section	.AMDGPU.csdata,"",@progbits
; Kernel info:
; codeLenInByte = 0
; TotalNumSgprs: 0
; NumVgprs: 0
; ScratchSize: 0
; MemoryBound: 0
; FloatMode: 240
; IeeeMode: 1
; LDSByteSize: 0 bytes/workgroup (compile time only)
; SGPRBlocks: 0
; VGPRBlocks: 0
; NumSGPRsForWavesPerEU: 1
; NumVGPRsForWavesPerEU: 1
; NamedBarCnt: 0
; Occupancy: 16
; WaveLimiterHint : 0
; COMPUTE_PGM_RSRC2:SCRATCH_EN: 0
; COMPUTE_PGM_RSRC2:USER_SGPR: 2
; COMPUTE_PGM_RSRC2:TRAP_HANDLER: 0
; COMPUTE_PGM_RSRC2:TGID_X_EN: 1
; COMPUTE_PGM_RSRC2:TGID_Y_EN: 0
; COMPUTE_PGM_RSRC2:TGID_Z_EN: 0
; COMPUTE_PGM_RSRC2:TIDIG_COMP_CNT: 0
	.section	.text._ZN7rocprim17ROCPRIM_400000_NS6detail30init_device_scan_by_key_kernelINS1_19lookback_scan_stateINS0_5tupleIJlbEEELb0ELb0EEEN6thrust23THRUST_200600_302600_NS16reverse_iteratorIPKlEEjNS1_16block_id_wrapperIjLb1EEEEEvT_jjPNSF_10value_typeET0_PNSt15iterator_traitsISI_E10value_typeEmT1_T2_,"axG",@progbits,_ZN7rocprim17ROCPRIM_400000_NS6detail30init_device_scan_by_key_kernelINS1_19lookback_scan_stateINS0_5tupleIJlbEEELb0ELb0EEEN6thrust23THRUST_200600_302600_NS16reverse_iteratorIPKlEEjNS1_16block_id_wrapperIjLb1EEEEEvT_jjPNSF_10value_typeET0_PNSt15iterator_traitsISI_E10value_typeEmT1_T2_,comdat
	.protected	_ZN7rocprim17ROCPRIM_400000_NS6detail30init_device_scan_by_key_kernelINS1_19lookback_scan_stateINS0_5tupleIJlbEEELb0ELb0EEEN6thrust23THRUST_200600_302600_NS16reverse_iteratorIPKlEEjNS1_16block_id_wrapperIjLb1EEEEEvT_jjPNSF_10value_typeET0_PNSt15iterator_traitsISI_E10value_typeEmT1_T2_ ; -- Begin function _ZN7rocprim17ROCPRIM_400000_NS6detail30init_device_scan_by_key_kernelINS1_19lookback_scan_stateINS0_5tupleIJlbEEELb0ELb0EEEN6thrust23THRUST_200600_302600_NS16reverse_iteratorIPKlEEjNS1_16block_id_wrapperIjLb1EEEEEvT_jjPNSF_10value_typeET0_PNSt15iterator_traitsISI_E10value_typeEmT1_T2_
	.globl	_ZN7rocprim17ROCPRIM_400000_NS6detail30init_device_scan_by_key_kernelINS1_19lookback_scan_stateINS0_5tupleIJlbEEELb0ELb0EEEN6thrust23THRUST_200600_302600_NS16reverse_iteratorIPKlEEjNS1_16block_id_wrapperIjLb1EEEEEvT_jjPNSF_10value_typeET0_PNSt15iterator_traitsISI_E10value_typeEmT1_T2_
	.p2align	8
	.type	_ZN7rocprim17ROCPRIM_400000_NS6detail30init_device_scan_by_key_kernelINS1_19lookback_scan_stateINS0_5tupleIJlbEEELb0ELb0EEEN6thrust23THRUST_200600_302600_NS16reverse_iteratorIPKlEEjNS1_16block_id_wrapperIjLb1EEEEEvT_jjPNSF_10value_typeET0_PNSt15iterator_traitsISI_E10value_typeEmT1_T2_,@function
_ZN7rocprim17ROCPRIM_400000_NS6detail30init_device_scan_by_key_kernelINS1_19lookback_scan_stateINS0_5tupleIJlbEEELb0ELb0EEEN6thrust23THRUST_200600_302600_NS16reverse_iteratorIPKlEEjNS1_16block_id_wrapperIjLb1EEEEEvT_jjPNSF_10value_typeET0_PNSt15iterator_traitsISI_E10value_typeEmT1_T2_: ; @_ZN7rocprim17ROCPRIM_400000_NS6detail30init_device_scan_by_key_kernelINS1_19lookback_scan_stateINS0_5tupleIJlbEEELb0ELb0EEEN6thrust23THRUST_200600_302600_NS16reverse_iteratorIPKlEEjNS1_16block_id_wrapperIjLb1EEEEEvT_jjPNSF_10value_typeET0_PNSt15iterator_traitsISI_E10value_typeEmT1_T2_
; %bb.0:
	s_clause 0x2
	s_load_b32 s2, s[0:1], 0x5c
	s_load_b32 s18, s[0:1], 0x50
	s_load_b256 s[4:11], s[0:1], 0x10
	s_bfe_u32 s3, ttmp6, 0x4000c
	s_and_b32 s12, ttmp6, 15
	s_add_co_i32 s3, s3, 1
	s_getreg_b32 s13, hwreg(HW_REG_IB_STS2, 6, 4)
	s_mul_i32 s3, ttmp9, s3
	s_delay_alu instid0(SALU_CYCLE_1)
	s_add_co_i32 s12, s12, s3
	s_wait_kmcnt 0x0
	s_and_b32 s19, s2, 0xffff
	s_cmp_eq_u32 s13, 0
	s_cselect_b32 s2, ttmp9, s12
	s_cmp_eq_u64 s[8:9], 0
	v_mad_u32 v0, s2, s19, v0
	s_cbranch_scc1 .LBB166_7
; %bb.1:
	s_cmp_lt_u32 s7, s6
	s_mov_b32 s20, exec_lo
	s_cselect_b32 s2, s7, 0
	s_delay_alu instid0(VALU_DEP_1) | instid1(SALU_CYCLE_1)
	v_cmpx_eq_u32_e64 s2, v0
	s_cbranch_execz .LBB166_6
; %bb.2:
	s_add_co_i32 s2, s7, 32
	s_load_b128 s[12:15], s[0:1], 0x0
	v_mov_b32_e32 v1, s2
	s_mov_b32 s3, 0
	global_load_u8 v1, v1, s[4:5] scope:SCOPE_DEV
	s_wait_loadcnt 0x0
	v_and_b32_e32 v2, 0xffff, v1
	v_readfirstlane_b32 s7, v1
	s_delay_alu instid0(VALU_DEP_2)
	v_cmp_ne_u32_e32 vcc_lo, 0, v2
	s_cbranch_vccnz .LBB166_5
; %bb.3:
	v_mov_b32_e32 v1, 0
	s_add_nc_u64 s[16:17], s[4:5], s[2:3]
.LBB166_4:                              ; =>This Inner Loop Header: Depth=1
	global_load_u8 v2, v1, s[16:17] scope:SCOPE_DEV
	s_wait_loadcnt 0x0
	v_and_b32_e32 v3, 0xffff, v2
	v_readfirstlane_b32 s7, v2
	s_delay_alu instid0(VALU_DEP_2)
	v_cmp_eq_u32_e32 vcc_lo, 0, v3
	s_cbranch_vccnz .LBB166_4
.LBB166_5:
	s_and_b32 s7, 0xffff, s7
	v_mov_b32_e32 v1, 0
	s_cmp_eq_u32 s7, 1
	global_wb scope:SCOPE_DEV
	s_wait_storecnt 0x0
	global_inv scope:SCOPE_DEV
	s_wait_kmcnt 0x0
	s_cselect_b32 s13, s13, s15
	s_cselect_b32 s12, s12, s14
	s_lshl_b64 s[2:3], s[2:3], 4
	s_delay_alu instid0(SALU_CYCLE_1)
	s_add_nc_u64 s[2:3], s[12:13], s[2:3]
	s_clause 0x1
	global_load_b64 v[2:3], v1, s[2:3]
	global_load_u8 v4, v1, s[2:3] offset:8
	s_wait_loadcnt 0x1
	global_store_b64 v1, v[2:3], s[8:9]
	s_wait_loadcnt 0x0
	global_store_b8 v1, v4, s[8:9] offset:8
.LBB166_6:
	s_wait_xcnt 0x0
	s_or_b32 exec_lo, exec_lo, s20
.LBB166_7:
	s_delay_alu instid0(SALU_CYCLE_1) | instskip(NEXT) | instid1(VALU_DEP_1)
	s_mov_b32 s2, exec_lo
	v_cmpx_eq_u32_e32 0, v0
	s_cbranch_execz .LBB166_9
; %bb.8:
	s_load_b64 s[8:9], s[0:1], 0x48
	v_mov_b32_e32 v1, 0
	s_wait_kmcnt 0x0
	global_store_b32 v1, v1, s[8:9]
.LBB166_9:
	s_wait_xcnt 0x0
	s_or_b32 exec_lo, exec_lo, s2
	s_delay_alu instid0(SALU_CYCLE_1)
	s_mov_b32 s2, exec_lo
	v_cmpx_gt_u32_e64 s6, v0
	s_cbranch_execz .LBB166_11
; %bb.10:
	v_dual_mov_b32 v2, 0 :: v_dual_add_nc_u32 v1, 32, v0
	global_store_b8 v1, v2, s[4:5]
.LBB166_11:
	s_wait_xcnt 0x0
	s_or_b32 exec_lo, exec_lo, s2
	v_mov_b32_e32 v1, 0
	s_mov_b32 s2, exec_lo
	v_cmpx_gt_u32_e32 32, v0
	s_cbranch_execz .LBB166_13
; %bb.12:
	s_delay_alu instid0(VALU_DEP_2)
	v_add_nc_u64_e32 v[2:3], s[4:5], v[0:1]
	v_mov_b32_e32 v4, 0xff
	global_store_b8 v[2:3], v4, off
.LBB166_13:
	s_wait_xcnt 0x0
	s_or_b32 exec_lo, exec_lo, s2
	s_load_b64 s[2:3], s[0:1], 0x38
	s_mov_b32 s4, exec_lo
	s_wait_kmcnt 0x0
	v_cmpx_gt_u64_e64 s[2:3], v[0:1]
	s_cbranch_execz .LBB166_16
; %bb.14:
	s_clause 0x1
	s_load_b32 s4, s[0:1], 0x40
	s_load_b64 s[6:7], s[0:1], 0x30
	s_mov_b32 s5, 0
	s_wait_xcnt 0x0
	s_mov_b32 s1, s5
	s_wait_kmcnt 0x0
	s_add_co_i32 s0, s4, -1
	v_lshl_add_u64 v[4:5], v[0:1], 3, s[6:7]
	v_mad_nc_u64_u32 v[2:3], s4, v0, s[0:1]
	s_mul_i32 s0, s18, s19
	s_delay_alu instid0(SALU_CYCLE_1) | instskip(NEXT) | instid1(SALU_CYCLE_1)
	s_mul_u64 s[8:9], s[4:5], s[0:1]
	s_lshl_b64 s[8:9], s[8:9], 3
	s_delay_alu instid0(SALU_CYCLE_1) | instskip(SKIP_1) | instid1(VALU_DEP_1)
	s_sub_nc_u64 s[6:7], 0, s[8:9]
	s_lshl_b64 s[8:9], s[0:1], 3
	v_not_b32_e32 v3, v3
	s_delay_alu instid0(VALU_DEP_2) | instskip(NEXT) | instid1(VALU_DEP_1)
	v_not_b32_e32 v2, v2
	v_lshl_add_u64 v[2:3], v[2:3], 3, s[10:11]
.LBB166_15:                             ; =>This Inner Loop Header: Depth=1
	global_load_b64 v[6:7], v[2:3], off
	v_add_nc_u64_e32 v[0:1], s[0:1], v[0:1]
	s_wait_xcnt 0x0
	v_add_nc_u64_e32 v[2:3], s[6:7], v[2:3]
	s_delay_alu instid0(VALU_DEP_2)
	v_cmp_le_u64_e32 vcc_lo, s[2:3], v[0:1]
	s_or_b32 s5, vcc_lo, s5
	s_wait_loadcnt 0x0
	global_store_b64 v[4:5], v[6:7], off
	s_wait_xcnt 0x0
	v_add_nc_u64_e32 v[4:5], s[8:9], v[4:5]
	s_and_not1_b32 exec_lo, exec_lo, s5
	s_cbranch_execnz .LBB166_15
.LBB166_16:
	s_endpgm
	.section	.rodata,"a",@progbits
	.p2align	6, 0x0
	.amdhsa_kernel _ZN7rocprim17ROCPRIM_400000_NS6detail30init_device_scan_by_key_kernelINS1_19lookback_scan_stateINS0_5tupleIJlbEEELb0ELb0EEEN6thrust23THRUST_200600_302600_NS16reverse_iteratorIPKlEEjNS1_16block_id_wrapperIjLb1EEEEEvT_jjPNSF_10value_typeET0_PNSt15iterator_traitsISI_E10value_typeEmT1_T2_
		.amdhsa_group_segment_fixed_size 0
		.amdhsa_private_segment_fixed_size 0
		.amdhsa_kernarg_size 336
		.amdhsa_user_sgpr_count 2
		.amdhsa_user_sgpr_dispatch_ptr 0
		.amdhsa_user_sgpr_queue_ptr 0
		.amdhsa_user_sgpr_kernarg_segment_ptr 1
		.amdhsa_user_sgpr_dispatch_id 0
		.amdhsa_user_sgpr_kernarg_preload_length 0
		.amdhsa_user_sgpr_kernarg_preload_offset 0
		.amdhsa_user_sgpr_private_segment_size 0
		.amdhsa_wavefront_size32 1
		.amdhsa_uses_dynamic_stack 0
		.amdhsa_enable_private_segment 0
		.amdhsa_system_sgpr_workgroup_id_x 1
		.amdhsa_system_sgpr_workgroup_id_y 0
		.amdhsa_system_sgpr_workgroup_id_z 0
		.amdhsa_system_sgpr_workgroup_info 0
		.amdhsa_system_vgpr_workitem_id 0
		.amdhsa_next_free_vgpr 8
		.amdhsa_next_free_sgpr 21
		.amdhsa_named_barrier_count 0
		.amdhsa_reserve_vcc 1
		.amdhsa_float_round_mode_32 0
		.amdhsa_float_round_mode_16_64 0
		.amdhsa_float_denorm_mode_32 3
		.amdhsa_float_denorm_mode_16_64 3
		.amdhsa_fp16_overflow 0
		.amdhsa_memory_ordered 1
		.amdhsa_forward_progress 1
		.amdhsa_inst_pref_size 6
		.amdhsa_round_robin_scheduling 0
		.amdhsa_exception_fp_ieee_invalid_op 0
		.amdhsa_exception_fp_denorm_src 0
		.amdhsa_exception_fp_ieee_div_zero 0
		.amdhsa_exception_fp_ieee_overflow 0
		.amdhsa_exception_fp_ieee_underflow 0
		.amdhsa_exception_fp_ieee_inexact 0
		.amdhsa_exception_int_div_zero 0
	.end_amdhsa_kernel
	.section	.text._ZN7rocprim17ROCPRIM_400000_NS6detail30init_device_scan_by_key_kernelINS1_19lookback_scan_stateINS0_5tupleIJlbEEELb0ELb0EEEN6thrust23THRUST_200600_302600_NS16reverse_iteratorIPKlEEjNS1_16block_id_wrapperIjLb1EEEEEvT_jjPNSF_10value_typeET0_PNSt15iterator_traitsISI_E10value_typeEmT1_T2_,"axG",@progbits,_ZN7rocprim17ROCPRIM_400000_NS6detail30init_device_scan_by_key_kernelINS1_19lookback_scan_stateINS0_5tupleIJlbEEELb0ELb0EEEN6thrust23THRUST_200600_302600_NS16reverse_iteratorIPKlEEjNS1_16block_id_wrapperIjLb1EEEEEvT_jjPNSF_10value_typeET0_PNSt15iterator_traitsISI_E10value_typeEmT1_T2_,comdat
.Lfunc_end166:
	.size	_ZN7rocprim17ROCPRIM_400000_NS6detail30init_device_scan_by_key_kernelINS1_19lookback_scan_stateINS0_5tupleIJlbEEELb0ELb0EEEN6thrust23THRUST_200600_302600_NS16reverse_iteratorIPKlEEjNS1_16block_id_wrapperIjLb1EEEEEvT_jjPNSF_10value_typeET0_PNSt15iterator_traitsISI_E10value_typeEmT1_T2_, .Lfunc_end166-_ZN7rocprim17ROCPRIM_400000_NS6detail30init_device_scan_by_key_kernelINS1_19lookback_scan_stateINS0_5tupleIJlbEEELb0ELb0EEEN6thrust23THRUST_200600_302600_NS16reverse_iteratorIPKlEEjNS1_16block_id_wrapperIjLb1EEEEEvT_jjPNSF_10value_typeET0_PNSt15iterator_traitsISI_E10value_typeEmT1_T2_
                                        ; -- End function
	.set _ZN7rocprim17ROCPRIM_400000_NS6detail30init_device_scan_by_key_kernelINS1_19lookback_scan_stateINS0_5tupleIJlbEEELb0ELb0EEEN6thrust23THRUST_200600_302600_NS16reverse_iteratorIPKlEEjNS1_16block_id_wrapperIjLb1EEEEEvT_jjPNSF_10value_typeET0_PNSt15iterator_traitsISI_E10value_typeEmT1_T2_.num_vgpr, 8
	.set _ZN7rocprim17ROCPRIM_400000_NS6detail30init_device_scan_by_key_kernelINS1_19lookback_scan_stateINS0_5tupleIJlbEEELb0ELb0EEEN6thrust23THRUST_200600_302600_NS16reverse_iteratorIPKlEEjNS1_16block_id_wrapperIjLb1EEEEEvT_jjPNSF_10value_typeET0_PNSt15iterator_traitsISI_E10value_typeEmT1_T2_.num_agpr, 0
	.set _ZN7rocprim17ROCPRIM_400000_NS6detail30init_device_scan_by_key_kernelINS1_19lookback_scan_stateINS0_5tupleIJlbEEELb0ELb0EEEN6thrust23THRUST_200600_302600_NS16reverse_iteratorIPKlEEjNS1_16block_id_wrapperIjLb1EEEEEvT_jjPNSF_10value_typeET0_PNSt15iterator_traitsISI_E10value_typeEmT1_T2_.numbered_sgpr, 21
	.set _ZN7rocprim17ROCPRIM_400000_NS6detail30init_device_scan_by_key_kernelINS1_19lookback_scan_stateINS0_5tupleIJlbEEELb0ELb0EEEN6thrust23THRUST_200600_302600_NS16reverse_iteratorIPKlEEjNS1_16block_id_wrapperIjLb1EEEEEvT_jjPNSF_10value_typeET0_PNSt15iterator_traitsISI_E10value_typeEmT1_T2_.num_named_barrier, 0
	.set _ZN7rocprim17ROCPRIM_400000_NS6detail30init_device_scan_by_key_kernelINS1_19lookback_scan_stateINS0_5tupleIJlbEEELb0ELb0EEEN6thrust23THRUST_200600_302600_NS16reverse_iteratorIPKlEEjNS1_16block_id_wrapperIjLb1EEEEEvT_jjPNSF_10value_typeET0_PNSt15iterator_traitsISI_E10value_typeEmT1_T2_.private_seg_size, 0
	.set _ZN7rocprim17ROCPRIM_400000_NS6detail30init_device_scan_by_key_kernelINS1_19lookback_scan_stateINS0_5tupleIJlbEEELb0ELb0EEEN6thrust23THRUST_200600_302600_NS16reverse_iteratorIPKlEEjNS1_16block_id_wrapperIjLb1EEEEEvT_jjPNSF_10value_typeET0_PNSt15iterator_traitsISI_E10value_typeEmT1_T2_.uses_vcc, 1
	.set _ZN7rocprim17ROCPRIM_400000_NS6detail30init_device_scan_by_key_kernelINS1_19lookback_scan_stateINS0_5tupleIJlbEEELb0ELb0EEEN6thrust23THRUST_200600_302600_NS16reverse_iteratorIPKlEEjNS1_16block_id_wrapperIjLb1EEEEEvT_jjPNSF_10value_typeET0_PNSt15iterator_traitsISI_E10value_typeEmT1_T2_.uses_flat_scratch, 0
	.set _ZN7rocprim17ROCPRIM_400000_NS6detail30init_device_scan_by_key_kernelINS1_19lookback_scan_stateINS0_5tupleIJlbEEELb0ELb0EEEN6thrust23THRUST_200600_302600_NS16reverse_iteratorIPKlEEjNS1_16block_id_wrapperIjLb1EEEEEvT_jjPNSF_10value_typeET0_PNSt15iterator_traitsISI_E10value_typeEmT1_T2_.has_dyn_sized_stack, 0
	.set _ZN7rocprim17ROCPRIM_400000_NS6detail30init_device_scan_by_key_kernelINS1_19lookback_scan_stateINS0_5tupleIJlbEEELb0ELb0EEEN6thrust23THRUST_200600_302600_NS16reverse_iteratorIPKlEEjNS1_16block_id_wrapperIjLb1EEEEEvT_jjPNSF_10value_typeET0_PNSt15iterator_traitsISI_E10value_typeEmT1_T2_.has_recursion, 0
	.set _ZN7rocprim17ROCPRIM_400000_NS6detail30init_device_scan_by_key_kernelINS1_19lookback_scan_stateINS0_5tupleIJlbEEELb0ELb0EEEN6thrust23THRUST_200600_302600_NS16reverse_iteratorIPKlEEjNS1_16block_id_wrapperIjLb1EEEEEvT_jjPNSF_10value_typeET0_PNSt15iterator_traitsISI_E10value_typeEmT1_T2_.has_indirect_call, 0
	.section	.AMDGPU.csdata,"",@progbits
; Kernel info:
; codeLenInByte = 724
; TotalNumSgprs: 23
; NumVgprs: 8
; ScratchSize: 0
; MemoryBound: 0
; FloatMode: 240
; IeeeMode: 1
; LDSByteSize: 0 bytes/workgroup (compile time only)
; SGPRBlocks: 0
; VGPRBlocks: 0
; NumSGPRsForWavesPerEU: 23
; NumVGPRsForWavesPerEU: 8
; NamedBarCnt: 0
; Occupancy: 16
; WaveLimiterHint : 0
; COMPUTE_PGM_RSRC2:SCRATCH_EN: 0
; COMPUTE_PGM_RSRC2:USER_SGPR: 2
; COMPUTE_PGM_RSRC2:TRAP_HANDLER: 0
; COMPUTE_PGM_RSRC2:TGID_X_EN: 1
; COMPUTE_PGM_RSRC2:TGID_Y_EN: 0
; COMPUTE_PGM_RSRC2:TGID_Z_EN: 0
; COMPUTE_PGM_RSRC2:TIDIG_COMP_CNT: 0
	.section	.text._ZN7rocprim17ROCPRIM_400000_NS6detail17trampoline_kernelINS0_14default_configENS1_27scan_by_key_config_selectorIllEEZZNS1_16scan_by_key_implILNS1_25lookback_scan_determinismE0ELb0ES3_N6thrust23THRUST_200600_302600_NS16reverse_iteratorIPKlEESD_NSA_IPlEElN6hipcub16HIPCUB_304000_NS3MaxENSH_8EqualityElEE10hipError_tPvRmT2_T3_T4_T5_mT6_T7_P12ihipStream_tbENKUlT_T0_E_clISt17integral_constantIbLb0EESZ_IbLb1EEEEDaSV_SW_EUlSV_E_NS1_11comp_targetILNS1_3genE0ELNS1_11target_archE4294967295ELNS1_3gpuE0ELNS1_3repE0EEENS1_30default_config_static_selectorELNS0_4arch9wavefront6targetE0EEEvT1_,"axG",@progbits,_ZN7rocprim17ROCPRIM_400000_NS6detail17trampoline_kernelINS0_14default_configENS1_27scan_by_key_config_selectorIllEEZZNS1_16scan_by_key_implILNS1_25lookback_scan_determinismE0ELb0ES3_N6thrust23THRUST_200600_302600_NS16reverse_iteratorIPKlEESD_NSA_IPlEElN6hipcub16HIPCUB_304000_NS3MaxENSH_8EqualityElEE10hipError_tPvRmT2_T3_T4_T5_mT6_T7_P12ihipStream_tbENKUlT_T0_E_clISt17integral_constantIbLb0EESZ_IbLb1EEEEDaSV_SW_EUlSV_E_NS1_11comp_targetILNS1_3genE0ELNS1_11target_archE4294967295ELNS1_3gpuE0ELNS1_3repE0EEENS1_30default_config_static_selectorELNS0_4arch9wavefront6targetE0EEEvT1_,comdat
	.protected	_ZN7rocprim17ROCPRIM_400000_NS6detail17trampoline_kernelINS0_14default_configENS1_27scan_by_key_config_selectorIllEEZZNS1_16scan_by_key_implILNS1_25lookback_scan_determinismE0ELb0ES3_N6thrust23THRUST_200600_302600_NS16reverse_iteratorIPKlEESD_NSA_IPlEElN6hipcub16HIPCUB_304000_NS3MaxENSH_8EqualityElEE10hipError_tPvRmT2_T3_T4_T5_mT6_T7_P12ihipStream_tbENKUlT_T0_E_clISt17integral_constantIbLb0EESZ_IbLb1EEEEDaSV_SW_EUlSV_E_NS1_11comp_targetILNS1_3genE0ELNS1_11target_archE4294967295ELNS1_3gpuE0ELNS1_3repE0EEENS1_30default_config_static_selectorELNS0_4arch9wavefront6targetE0EEEvT1_ ; -- Begin function _ZN7rocprim17ROCPRIM_400000_NS6detail17trampoline_kernelINS0_14default_configENS1_27scan_by_key_config_selectorIllEEZZNS1_16scan_by_key_implILNS1_25lookback_scan_determinismE0ELb0ES3_N6thrust23THRUST_200600_302600_NS16reverse_iteratorIPKlEESD_NSA_IPlEElN6hipcub16HIPCUB_304000_NS3MaxENSH_8EqualityElEE10hipError_tPvRmT2_T3_T4_T5_mT6_T7_P12ihipStream_tbENKUlT_T0_E_clISt17integral_constantIbLb0EESZ_IbLb1EEEEDaSV_SW_EUlSV_E_NS1_11comp_targetILNS1_3genE0ELNS1_11target_archE4294967295ELNS1_3gpuE0ELNS1_3repE0EEENS1_30default_config_static_selectorELNS0_4arch9wavefront6targetE0EEEvT1_
	.globl	_ZN7rocprim17ROCPRIM_400000_NS6detail17trampoline_kernelINS0_14default_configENS1_27scan_by_key_config_selectorIllEEZZNS1_16scan_by_key_implILNS1_25lookback_scan_determinismE0ELb0ES3_N6thrust23THRUST_200600_302600_NS16reverse_iteratorIPKlEESD_NSA_IPlEElN6hipcub16HIPCUB_304000_NS3MaxENSH_8EqualityElEE10hipError_tPvRmT2_T3_T4_T5_mT6_T7_P12ihipStream_tbENKUlT_T0_E_clISt17integral_constantIbLb0EESZ_IbLb1EEEEDaSV_SW_EUlSV_E_NS1_11comp_targetILNS1_3genE0ELNS1_11target_archE4294967295ELNS1_3gpuE0ELNS1_3repE0EEENS1_30default_config_static_selectorELNS0_4arch9wavefront6targetE0EEEvT1_
	.p2align	8
	.type	_ZN7rocprim17ROCPRIM_400000_NS6detail17trampoline_kernelINS0_14default_configENS1_27scan_by_key_config_selectorIllEEZZNS1_16scan_by_key_implILNS1_25lookback_scan_determinismE0ELb0ES3_N6thrust23THRUST_200600_302600_NS16reverse_iteratorIPKlEESD_NSA_IPlEElN6hipcub16HIPCUB_304000_NS3MaxENSH_8EqualityElEE10hipError_tPvRmT2_T3_T4_T5_mT6_T7_P12ihipStream_tbENKUlT_T0_E_clISt17integral_constantIbLb0EESZ_IbLb1EEEEDaSV_SW_EUlSV_E_NS1_11comp_targetILNS1_3genE0ELNS1_11target_archE4294967295ELNS1_3gpuE0ELNS1_3repE0EEENS1_30default_config_static_selectorELNS0_4arch9wavefront6targetE0EEEvT1_,@function
_ZN7rocprim17ROCPRIM_400000_NS6detail17trampoline_kernelINS0_14default_configENS1_27scan_by_key_config_selectorIllEEZZNS1_16scan_by_key_implILNS1_25lookback_scan_determinismE0ELb0ES3_N6thrust23THRUST_200600_302600_NS16reverse_iteratorIPKlEESD_NSA_IPlEElN6hipcub16HIPCUB_304000_NS3MaxENSH_8EqualityElEE10hipError_tPvRmT2_T3_T4_T5_mT6_T7_P12ihipStream_tbENKUlT_T0_E_clISt17integral_constantIbLb0EESZ_IbLb1EEEEDaSV_SW_EUlSV_E_NS1_11comp_targetILNS1_3genE0ELNS1_11target_archE4294967295ELNS1_3gpuE0ELNS1_3repE0EEENS1_30default_config_static_selectorELNS0_4arch9wavefront6targetE0EEEvT1_: ; @_ZN7rocprim17ROCPRIM_400000_NS6detail17trampoline_kernelINS0_14default_configENS1_27scan_by_key_config_selectorIllEEZZNS1_16scan_by_key_implILNS1_25lookback_scan_determinismE0ELb0ES3_N6thrust23THRUST_200600_302600_NS16reverse_iteratorIPKlEESD_NSA_IPlEElN6hipcub16HIPCUB_304000_NS3MaxENSH_8EqualityElEE10hipError_tPvRmT2_T3_T4_T5_mT6_T7_P12ihipStream_tbENKUlT_T0_E_clISt17integral_constantIbLb0EESZ_IbLb1EEEEDaSV_SW_EUlSV_E_NS1_11comp_targetILNS1_3genE0ELNS1_11target_archE4294967295ELNS1_3gpuE0ELNS1_3repE0EEENS1_30default_config_static_selectorELNS0_4arch9wavefront6targetE0EEEvT1_
; %bb.0:
	s_clause 0x1
	s_load_b256 s[24:31], s[0:1], 0x30
	s_load_b64 s[52:53], s[0:1], 0x50
	v_cmp_ne_u32_e64 s3, 0, v0
	v_cmp_eq_u32_e64 s2, 0, v0
	s_and_saveexec_b32 s4, s2
	s_cbranch_execz .LBB167_4
; %bb.1:
	s_mov_b32 s6, exec_lo
	s_mov_b32 s5, exec_lo
	v_mbcnt_lo_u32_b32 v1, s6, 0
                                        ; implicit-def: $vgpr2
	s_delay_alu instid0(VALU_DEP_1)
	v_cmpx_eq_u32_e32 0, v1
	s_cbranch_execz .LBB167_3
; %bb.2:
	s_load_b64 s[8:9], s[0:1], 0x80
	s_bcnt1_i32_b32 s6, s6
	s_delay_alu instid0(SALU_CYCLE_1)
	v_dual_mov_b32 v2, 0 :: v_dual_mov_b32 v3, s6
	s_wait_xcnt 0x0
	s_wait_kmcnt 0x0
	global_atomic_add_u32 v2, v2, v3, s[8:9] th:TH_ATOMIC_RETURN scope:SCOPE_DEV
.LBB167_3:
	s_wait_xcnt 0x0
	s_or_b32 exec_lo, exec_lo, s5
	s_wait_loadcnt 0x0
	v_readfirstlane_b32 s5, v2
	s_delay_alu instid0(VALU_DEP_1)
	v_dual_mov_b32 v2, 0 :: v_dual_add_nc_u32 v1, s5, v1
	ds_store_b32 v2, v1
.LBB167_4:
	s_or_b32 exec_lo, exec_lo, s4
	v_mov_b32_e32 v1, 0
	s_clause 0x2
	s_load_b256 s[36:43], s[0:1], 0x0
	s_load_b32 s34, s[0:1], 0x58
	s_load_b256 s[44:51], s[0:1], 0x60
	s_wait_dscnt 0x0
	s_barrier_signal -1
	s_barrier_wait -1
	ds_load_b32 v2, v1
	s_mov_b32 s35, 0
	s_wait_dscnt 0x0
	s_barrier_signal -1
	s_barrier_wait -1
	s_barrier_signal -1
	s_barrier_wait -1
	s_wait_kmcnt 0x0
	s_lshl_b64 s[0:1], s[38:39], 3
	s_mul_u64 s[8:9], s[52:53], s[34:35]
	s_sub_nc_u64 s[6:7], s[36:37], s[0:1]
	s_mov_b32 s37, s35
	s_add_nc_u64 s[4:5], s[44:45], -1
	s_cmp_eq_u64 s[48:49], 0
	s_sub_nc_u64 s[0:1], s[40:41], s[0:1]
	v_readfirstlane_b32 s36, v2
	s_cselect_b32 s40, -1, 0
	s_mul_i32 s33, s4, 0xfffff200
	s_add_nc_u64 s[18:19], s[8:9], s[36:37]
	s_mul_i32 s34, s36, 0xe00
	v_cmp_ge_u64_e64 s31, s[18:19], s[4:5]
	s_lshl_b64 s[8:9], s[34:35], 3
	s_delay_alu instid0(SALU_CYCLE_1)
	s_sub_nc_u64 s[20:21], s[6:7], s[8:9]
	s_sub_nc_u64 s[16:17], s[0:1], s[8:9]
	s_add_nc_u64 s[22:23], s[20:21], -8
	s_and_b32 vcc_lo, exec_lo, s31
	s_cbranch_vccz .LBB167_78
; %bb.5:
	flat_load_b64 v[2:3], v1, s[20:21] offset:-8
	s_add_co_i32 s44, s33, s30
	s_delay_alu instid0(SALU_CYCLE_1)
	v_cmp_gt_u32_e32 vcc_lo, s44, v0
	s_wait_loadcnt_dscnt 0x0
	v_mov_b64_e32 v[4:5], v[2:3]
	s_and_saveexec_b32 s0, vcc_lo
	s_cbranch_execz .LBB167_7
; %bb.6:
	v_dual_mov_b32 v5, 0 :: v_dual_lshlrev_b32 v4, 3, v0
	s_delay_alu instid0(VALU_DEP_1)
	v_sub_nc_u64_e32 v[4:5], s[20:21], v[4:5]
	flat_load_b64 v[4:5], v[4:5] offset:-8
.LBB167_7:
	s_wait_xcnt 0x0
	s_or_b32 exec_lo, exec_lo, s0
	v_or_b32_e32 v1, 0x100, v0
	v_mov_b64_e32 v[6:7], v[2:3]
	s_delay_alu instid0(VALU_DEP_2)
	v_cmp_gt_u32_e64 s0, s44, v1
	s_and_saveexec_b32 s1, s0
	s_cbranch_execz .LBB167_9
; %bb.8:
	v_dual_mov_b32 v7, 0 :: v_dual_lshlrev_b32 v6, 3, v0
	s_delay_alu instid0(VALU_DEP_1)
	v_sub_nc_u64_e32 v[6:7], s[20:21], v[6:7]
	flat_load_b64 v[6:7], v[6:7] offset:-2056
.LBB167_9:
	s_wait_xcnt 0x0
	s_or_b32 exec_lo, exec_lo, s1
	v_or_b32_e32 v1, 0x200, v0
	v_mov_b64_e32 v[8:9], v[2:3]
	s_delay_alu instid0(VALU_DEP_2)
	v_cmp_gt_u32_e64 s1, s44, v1
	s_and_saveexec_b32 s4, s1
	;; [unrolled: 14-line block ×12, first 2 shown]
	s_cbranch_execz .LBB167_31
; %bb.30:
	v_dual_mov_b32 v29, 0 :: v_dual_lshlrev_b32 v28, 3, v0
	s_delay_alu instid0(VALU_DEP_1)
	v_sub_nc_u64_e32 v[28:29], s[20:21], v[28:29]
	flat_load_b64 v[28:29], v[28:29] offset:-24584
.LBB167_31:
	s_wait_xcnt 0x0
	s_or_b32 exec_lo, exec_lo, s14
	v_or_b32_e32 v1, 0xd00, v0
	s_delay_alu instid0(VALU_DEP_1) | instskip(SKIP_2) | instid1(SALU_CYCLE_1)
	v_cmp_gt_u32_e64 s14, s44, v1
	v_cmp_le_u32_e64 s15, s44, v1
	s_and_saveexec_b32 s37, s15
	s_xor_b32 s15, exec_lo, s37
	s_delay_alu instid0(SALU_CYCLE_1)
	s_and_not1_saveexec_b32 s15, s15
	s_cbranch_execz .LBB167_33
; %bb.32:
	v_dual_mov_b32 v3, 0 :: v_dual_lshlrev_b32 v2, 3, v0
	s_delay_alu instid0(VALU_DEP_1)
	v_sub_nc_u64_e32 v[2:3], s[20:21], v[2:3]
	flat_load_b64 v[2:3], v[2:3] offset:-26632
.LBB167_33:
	s_wait_xcnt 0x0
	s_or_b32 exec_lo, exec_lo, s15
	v_lshlrev_b32_e32 v1, 3, v0
	s_lshl_b64 s[48:49], s[18:19], 3
	s_and_b32 s15, s40, exec_lo
	s_add_nc_u64 s[48:49], s[50:51], s[48:49]
	s_wait_loadcnt_dscnt 0x0
	ds_store_2addr_stride64_b64 v1, v[4:5], v[6:7] offset1:4
	ds_store_2addr_stride64_b64 v1, v[8:9], v[10:11] offset0:8 offset1:12
	ds_store_2addr_stride64_b64 v1, v[12:13], v[14:15] offset0:16 offset1:20
	;; [unrolled: 1-line block ×6, first 2 shown]
	s_add_nc_u64 s[48:49], s[48:49], -8
	v_mov_b32_e32 v2, 0
	s_cselect_b32 s15, s20, s48
	s_cselect_b32 s37, s21, s49
	s_cmp_eq_u64 s[18:19], 0
	s_wait_dscnt 0x0
	s_cselect_b32 s49, s23, s37
	s_cselect_b32 s48, s22, s15
	s_barrier_signal -1
	s_barrier_wait -1
	flat_load_b64 v[8:9], v2, s[48:49]
	v_mad_u32_u24 v100, 0x68, v0, v1
	ds_load_b128 v[50:53], v100 offset:96
	ds_load_b128 v[78:81], v100
	ds_load_b128 v[74:77], v100 offset:16
	ds_load_b128 v[70:73], v100 offset:32
	;; [unrolled: 1-line block ×5, first 2 shown]
	s_wait_xcnt 0x0
	v_mad_i32_i24 v2, 0xffffff98, v0, v100
	s_wait_dscnt 0x6
	ds_store_b64 v2, v[52:53] offset:28672
	s_wait_loadcnt_dscnt 0x0
	s_barrier_signal -1
	s_barrier_wait -1
	s_and_saveexec_b32 s15, s3
; %bb.34:
	v_mul_i32_i24_e32 v2, 0xffffff98, v0
	s_delay_alu instid0(VALU_DEP_1)
	v_add_nc_u32_e32 v2, v100, v2
	ds_load_b64 v[8:9], v2 offset:28664
; %bb.35:
	s_or_b32 exec_lo, exec_lo, s15
	v_lshlrev_b32_e32 v2, 3, v0
	s_wait_dscnt 0x0
	s_barrier_signal -1
	s_barrier_wait -1
                                        ; implicit-def: $vgpr4_vgpr5
	s_and_saveexec_b32 s15, vcc_lo
	s_cbranch_execz .LBB167_134
; %bb.36:
	v_mov_b32_e32 v3, 0
	s_delay_alu instid0(VALU_DEP_1)
	v_sub_nc_u64_e32 v[4:5], s[16:17], v[2:3]
	flat_load_b64 v[4:5], v[4:5] offset:-8
	s_wait_xcnt 0x0
	s_or_b32 exec_lo, exec_lo, s15
                                        ; implicit-def: $vgpr6_vgpr7
	s_and_saveexec_b32 s15, s0
	s_cbranch_execnz .LBB167_135
.LBB167_37:
	s_or_b32 exec_lo, exec_lo, s15
                                        ; implicit-def: $vgpr10_vgpr11
	s_and_saveexec_b32 s0, s1
	s_cbranch_execz .LBB167_136
.LBB167_38:
	v_mov_b32_e32 v3, 0
	s_delay_alu instid0(VALU_DEP_1)
	v_sub_nc_u64_e32 v[10:11], s[16:17], v[2:3]
	flat_load_b64 v[10:11], v[10:11] offset:-4104
	s_wait_xcnt 0x0
	s_or_b32 exec_lo, exec_lo, s0
                                        ; implicit-def: $vgpr12_vgpr13
	s_and_saveexec_b32 s0, s4
	s_cbranch_execnz .LBB167_137
.LBB167_39:
	s_or_b32 exec_lo, exec_lo, s0
                                        ; implicit-def: $vgpr14_vgpr15
	s_and_saveexec_b32 s0, s5
	s_cbranch_execz .LBB167_138
.LBB167_40:
	v_mov_b32_e32 v3, 0
	s_delay_alu instid0(VALU_DEP_1)
	v_sub_nc_u64_e32 v[14:15], s[16:17], v[2:3]
	flat_load_b64 v[14:15], v[14:15] offset:-8200
	s_wait_xcnt 0x0
	s_or_b32 exec_lo, exec_lo, s0
                                        ; implicit-def: $vgpr16_vgpr17
	s_and_saveexec_b32 s0, s6
	s_cbranch_execnz .LBB167_139
.LBB167_41:
	s_or_b32 exec_lo, exec_lo, s0
                                        ; implicit-def: $vgpr18_vgpr19
	s_and_saveexec_b32 s0, s7
	s_cbranch_execz .LBB167_140
.LBB167_42:
	v_mov_b32_e32 v3, 0
	s_delay_alu instid0(VALU_DEP_1)
	v_sub_nc_u64_e32 v[18:19], s[16:17], v[2:3]
	flat_load_b64 v[18:19], v[18:19] offset:-12296
	s_wait_xcnt 0x0
	s_or_b32 exec_lo, exec_lo, s0
                                        ; implicit-def: $vgpr20_vgpr21
	s_and_saveexec_b32 s0, s8
	s_cbranch_execnz .LBB167_141
.LBB167_43:
	s_or_b32 exec_lo, exec_lo, s0
                                        ; implicit-def: $vgpr22_vgpr23
	s_and_saveexec_b32 s0, s9
	s_cbranch_execz .LBB167_142
.LBB167_44:
	v_mov_b32_e32 v3, 0
	s_delay_alu instid0(VALU_DEP_1)
	v_sub_nc_u64_e32 v[22:23], s[16:17], v[2:3]
	flat_load_b64 v[22:23], v[22:23] offset:-16392
	s_wait_xcnt 0x0
	s_or_b32 exec_lo, exec_lo, s0
                                        ; implicit-def: $vgpr24_vgpr25
	s_and_saveexec_b32 s0, s10
	s_cbranch_execnz .LBB167_143
.LBB167_45:
	s_or_b32 exec_lo, exec_lo, s0
                                        ; implicit-def: $vgpr26_vgpr27
	s_and_saveexec_b32 s0, s11
	s_cbranch_execz .LBB167_144
.LBB167_46:
	v_mov_b32_e32 v3, 0
	s_delay_alu instid0(VALU_DEP_1)
	v_sub_nc_u64_e32 v[26:27], s[16:17], v[2:3]
	flat_load_b64 v[26:27], v[26:27] offset:-20488
	s_wait_xcnt 0x0
	s_or_b32 exec_lo, exec_lo, s0
                                        ; implicit-def: $vgpr28_vgpr29
	s_and_saveexec_b32 s0, s12
	s_cbranch_execnz .LBB167_145
.LBB167_47:
	s_or_b32 exec_lo, exec_lo, s0
                                        ; implicit-def: $vgpr30_vgpr31
	s_and_saveexec_b32 s0, s13
	s_cbranch_execz .LBB167_49
.LBB167_48:
	v_mov_b32_e32 v3, 0
	s_delay_alu instid0(VALU_DEP_1)
	v_sub_nc_u64_e32 v[30:31], s[16:17], v[2:3]
	flat_load_b64 v[30:31], v[30:31] offset:-24584
.LBB167_49:
	s_wait_xcnt 0x0
	s_or_b32 exec_lo, exec_lo, s0
	v_mul_u32_u24_e32 v105, 14, v0
                                        ; implicit-def: $vgpr32_vgpr33
	s_and_saveexec_b32 s0, s14
	s_cbranch_execz .LBB167_51
; %bb.50:
	v_mov_b32_e32 v3, 0
	s_delay_alu instid0(VALU_DEP_1)
	v_sub_nc_u64_e32 v[2:3], s[16:17], v[2:3]
	flat_load_b64 v[32:33], v[2:3] offset:-26632
.LBB167_51:
	s_wait_xcnt 0x0
	s_or_b32 exec_lo, exec_lo, s0
	s_wait_loadcnt_dscnt 0x0
	ds_store_2addr_stride64_b64 v1, v[4:5], v[6:7] offset1:4
	ds_store_2addr_stride64_b64 v1, v[10:11], v[12:13] offset0:8 offset1:12
	ds_store_2addr_stride64_b64 v1, v[14:15], v[16:17] offset0:16 offset1:20
	;; [unrolled: 1-line block ×6, first 2 shown]
	v_mov_b64_e32 v[36:37], 0
	v_mov_b64_e32 v[34:35], 0
	;; [unrolled: 1-line block ×24, first 2 shown]
	v_cmp_gt_u32_e32 vcc_lo, s44, v105
	v_dual_mov_b32 v85, 0 :: v_dual_mov_b32 v86, 0
	v_dual_mov_b32 v32, 0 :: v_dual_mov_b32 v33, 0
	;; [unrolled: 1-line block ×12, first 2 shown]
	v_mov_b32_e32 v1, 0
	s_mov_b32 s15, 0
	s_mov_b32 s0, 0
	s_wait_dscnt 0x0
	s_barrier_signal -1
	s_barrier_wait -1
                                        ; implicit-def: $sgpr37
	s_and_saveexec_b32 s41, vcc_lo
	s_cbranch_execz .LBB167_77
; %bb.52:
	ds_load_b64 v[2:3], v100
	v_dual_mov_b32 v85, 0 :: v_dual_bitop2_b32 v1, 1, v105 bitop3:0x54
	v_mov_b64_e32 v[36:37], 0
	v_mov_b64_e32 v[34:35], 0
	;; [unrolled: 1-line block ×23, first 2 shown]
	v_cmp_gt_u32_e64 s0, s44, v1
	v_dual_mov_b32 v86, 0 :: v_dual_mov_b32 v32, 0
	v_dual_mov_b32 v33, 0 :: v_dual_mov_b32 v88, 0
	;; [unrolled: 1-line block ×11, first 2 shown]
	s_mov_b32 s1, 0
	v_cmp_ne_u64_e32 vcc_lo, v[8:9], v[78:79]
                                        ; implicit-def: $sgpr37
	s_and_saveexec_b32 s45, s0
	s_cbranch_execz .LBB167_76
; %bb.53:
	ds_load_2addr_b64 v[6:9], v100 offset0:1 offset1:2
	v_dual_add_nc_u32 v1, 2, v105 :: v_dual_mov_b32 v85, 0
	v_cmp_ne_u64_e64 s0, v[78:79], v[80:81]
	v_mov_b64_e32 v[36:37], 0
	v_mov_b64_e32 v[34:35], 0
	v_mov_b64_e32 v[40:41], 0
	v_mov_b64_e32 v[38:39], 0
	v_mov_b64_e32 v[44:45], 0
	v_mov_b64_e32 v[42:43], 0
	v_mov_b64_e32 v[48:49], 0
	v_mov_b64_e32 v[46:47], 0
	v_mov_b64_e32 v[60:61], 0
	v_mov_b64_e32 v[58:59], 0
	v_mov_b64_e32 v[10:11], 0
	v_mov_b64_e32 v[22:23], 0
	v_mov_b64_e32 v[24:25], 0
	v_mov_b64_e32 v[30:31], 0
	v_mov_b64_e32 v[82:83], 0
	v_mov_b64_e32 v[26:27], 0
	v_mov_b64_e32 v[28:29], 0
	v_mov_b64_e32 v[18:19], 0
	v_mov_b64_e32 v[20:21], 0
	v_mov_b64_e32 v[14:15], 0
	v_mov_b64_e32 v[16:17], 0
	v_cmp_gt_u32_e64 s1, s44, v1
	v_dual_mov_b32 v86, 0 :: v_dual_mov_b32 v32, 0
	v_dual_mov_b32 v33, 0 :: v_dual_mov_b32 v88, 0
	;; [unrolled: 1-line block ×10, first 2 shown]
	s_mov_b32 s4, 0
                                        ; implicit-def: $sgpr37
	s_and_saveexec_b32 s48, s1
	s_cbranch_execz .LBB167_75
; %bb.54:
	v_dual_add_nc_u32 v1, 3, v105 :: v_dual_mov_b32 v85, 0
	v_cmp_ne_u64_e64 s1, v[80:81], v[74:75]
	v_mov_b64_e32 v[36:37], 0
	v_mov_b64_e32 v[34:35], 0
	;; [unrolled: 1-line block ×19, first 2 shown]
	v_dual_mov_b32 v86, 0 :: v_dual_mov_b32 v32, 0
	v_cmp_gt_u32_e64 s4, s44, v1
	v_dual_mov_b32 v33, 0 :: v_dual_mov_b32 v88, 0
	v_dual_mov_b32 v91, 0 :: v_dual_mov_b32 v94, 0
	v_dual_mov_b32 v96, 0 :: v_dual_mov_b32 v98, 0
	v_dual_mov_b32 v87, 0 :: v_dual_mov_b32 v90, 0
	v_dual_mov_b32 v89, 0 :: v_dual_mov_b32 v92, 0
	v_dual_mov_b32 v93, 0 :: v_dual_mov_b32 v95, 0
	v_dual_mov_b32 v97, 0 :: v_dual_mov_b32 v99, 0
	v_dual_mov_b32 v101, 0 :: v_dual_mov_b32 v103, 0
	s_mov_b32 s5, 0
                                        ; implicit-def: $sgpr37
	s_and_saveexec_b32 s49, s4
	s_cbranch_execz .LBB167_74
; %bb.55:
	ds_load_2addr_b64 v[14:17], v100 offset0:3 offset1:4
	v_dual_add_nc_u32 v1, 4, v105 :: v_dual_mov_b32 v85, 0
	v_cmp_ne_u64_e64 s4, v[74:75], v[76:77]
	v_mov_b64_e32 v[36:37], 0
	v_mov_b64_e32 v[34:35], 0
	;; [unrolled: 1-line block ×17, first 2 shown]
	v_cmp_gt_u32_e64 s5, s44, v1
	v_dual_mov_b32 v86, 0 :: v_dual_mov_b32 v32, 0
	v_dual_mov_b32 v33, 0 :: v_dual_mov_b32 v88, 0
	;; [unrolled: 1-line block ×8, first 2 shown]
	s_mov_b32 s6, 0
                                        ; implicit-def: $sgpr37
	s_and_saveexec_b32 s54, s5
	s_cbranch_execz .LBB167_73
; %bb.56:
	v_dual_add_nc_u32 v1, 5, v105 :: v_dual_mov_b32 v85, 0
	v_cmp_ne_u64_e64 s5, v[76:77], v[70:71]
	v_mov_b64_e32 v[36:37], 0
	v_mov_b64_e32 v[34:35], 0
	;; [unrolled: 1-line block ×15, first 2 shown]
	v_dual_mov_b32 v86, 0 :: v_dual_mov_b32 v32, 0
	v_cmp_gt_u32_e64 s6, s44, v1
	v_dual_mov_b32 v33, 0 :: v_dual_mov_b32 v88, 0
	v_dual_mov_b32 v91, 0 :: v_dual_mov_b32 v94, 0
	;; [unrolled: 1-line block ×6, first 2 shown]
	s_mov_b32 s7, 0
                                        ; implicit-def: $sgpr37
	s_and_saveexec_b32 s55, s6
	s_cbranch_execz .LBB167_72
; %bb.57:
	ds_load_2addr_b64 v[18:21], v100 offset0:5 offset1:6
	v_dual_add_nc_u32 v1, 6, v105 :: v_dual_mov_b32 v85, 0
	v_cmp_ne_u64_e64 s6, v[70:71], v[72:73]
	v_mov_b64_e32 v[36:37], 0
	v_mov_b64_e32 v[34:35], 0
	;; [unrolled: 1-line block ×13, first 2 shown]
	v_cmp_gt_u32_e64 s7, s44, v1
	v_dual_mov_b32 v86, 0 :: v_dual_mov_b32 v32, 0
	v_dual_mov_b32 v33, 0 :: v_dual_mov_b32 v88, 0
	;; [unrolled: 1-line block ×6, first 2 shown]
	s_mov_b32 s8, 0
                                        ; implicit-def: $sgpr37
	s_and_saveexec_b32 s56, s7
	s_cbranch_execz .LBB167_71
; %bb.58:
	v_dual_add_nc_u32 v1, 7, v105 :: v_dual_mov_b32 v85, 0
	v_cmp_ne_u64_e64 s7, v[72:73], v[66:67]
	v_mov_b64_e32 v[36:37], 0
	v_mov_b64_e32 v[34:35], 0
	;; [unrolled: 1-line block ×11, first 2 shown]
	v_dual_mov_b32 v86, 0 :: v_dual_mov_b32 v32, 0
	v_cmp_gt_u32_e64 s8, s44, v1
	v_dual_mov_b32 v33, 0 :: v_dual_mov_b32 v88, 0
	v_dual_mov_b32 v87, 0 :: v_dual_mov_b32 v90, 0
	;; [unrolled: 1-line block ×4, first 2 shown]
	s_mov_b32 s9, 0
                                        ; implicit-def: $sgpr37
	s_and_saveexec_b32 s57, s8
	s_cbranch_execz .LBB167_70
; %bb.59:
	ds_load_2addr_b64 v[26:29], v100 offset0:7 offset1:8
	v_cmp_ne_u64_e64 s8, v[66:67], v[68:69]
	v_mov_b64_e32 v[36:37], 0
	v_mov_b64_e32 v[34:35], 0
	;; [unrolled: 1-line block ×9, first 2 shown]
	v_dual_add_nc_u32 v1, 8, v105 :: v_dual_mov_b32 v85, 0
	v_dual_mov_b32 v86, 0 :: v_dual_mov_b32 v32, 0
	v_dual_mov_b32 v33, 0 :: v_dual_mov_b32 v87, 0
	;; [unrolled: 1-line block ×4, first 2 shown]
	s_mov_b32 s10, 0
	s_mov_b32 s58, exec_lo
                                        ; implicit-def: $sgpr37
	v_cmpx_gt_u32_e64 s44, v1
	s_cbranch_execz .LBB167_69
; %bb.60:
	v_cmp_ne_u64_e64 s9, v[68:69], v[62:63]
	v_mov_b64_e32 v[36:37], 0
	v_mov_b64_e32 v[34:35], 0
	;; [unrolled: 1-line block ×7, first 2 shown]
	v_dual_add_nc_u32 v1, 9, v105 :: v_dual_mov_b32 v85, 0
	v_dual_mov_b32 v86, 0 :: v_dual_mov_b32 v32, 0
	v_dual_mov_b32 v87, 0 :: v_dual_mov_b32 v90, 0
	;; [unrolled: 1-line block ×3, first 2 shown]
	s_mov_b32 s11, 0
	s_mov_b32 s59, exec_lo
                                        ; implicit-def: $sgpr37
	v_cmpx_gt_u32_e64 s44, v1
	s_cbranch_execz .LBB167_68
; %bb.61:
	ds_load_2addr_b64 v[30:33], v100 offset0:9 offset1:10
	v_cmp_ne_u64_e64 s10, v[62:63], v[64:65]
	v_mov_b64_e32 v[36:37], 0
	v_mov_b64_e32 v[34:35], 0
	;; [unrolled: 1-line block ×5, first 2 shown]
	v_dual_add_nc_u32 v1, 10, v105 :: v_dual_mov_b32 v85, 0
	v_dual_mov_b32 v86, 0 :: v_dual_mov_b32 v87, 0
	v_mov_b32_e32 v89, 0
	s_mov_b32 s12, 0
	s_mov_b32 s60, exec_lo
                                        ; implicit-def: $sgpr37
	v_cmpx_gt_u32_e64 s44, v1
	s_cbranch_execz .LBB167_67
; %bb.62:
	v_cmp_ne_u64_e64 s11, v[64:65], v[54:55]
	v_mov_b64_e32 v[22:23], 0
	v_mov_b64_e32 v[10:11], 0
	v_dual_add_nc_u32 v1, 11, v105 :: v_dual_mov_b32 v85, 0
	v_mov_b32_e32 v87, 0
	s_mov_b32 s13, 0
	s_mov_b32 s61, exec_lo
                                        ; implicit-def: $sgpr37
	s_delay_alu instid0(VALU_DEP_2)
	v_cmpx_gt_u32_e64 s44, v1
	s_cbranch_execz .LBB167_66
; %bb.63:
	ds_load_2addr_b64 v[22:25], v100 offset0:11 offset1:12
	v_cmp_ne_u64_e64 s12, v[54:55], v[56:57]
	v_mov_b64_e32 v[10:11], 0
	v_dual_add_nc_u32 v1, 12, v105 :: v_dual_mov_b32 v87, 0
	s_mov_b32 s14, 0
	s_mov_b32 s62, exec_lo
                                        ; implicit-def: $sgpr37
	s_delay_alu instid0(VALU_DEP_1)
	v_cmpx_gt_u32_e64 s44, v1
	s_xor_b32 s62, exec_lo, s62
	s_cbranch_execz .LBB167_65
; %bb.64:
	ds_load_b64 v[12:13], v100 offset:104
	v_add_nc_u32_e32 v1, 13, v105
	v_cmp_ne_u64_e64 s14, v[56:57], v[50:51]
	v_cmp_ne_u64_e64 s37, v[50:51], v[52:53]
	s_wait_dscnt 0x1
	v_mov_b64_e32 v[10:11], v[24:25]
	v_cmp_gt_u32_e64 s13, s44, v1
	s_delay_alu instid0(VALU_DEP_4)
	v_cndmask_b32_e64 v87, 0, 1, s14
	s_and_b32 s14, s13, exec_lo
.LBB167_65:
	s_or_b32 exec_lo, exec_lo, s62
	v_cndmask_b32_e64 v85, 0, 1, s12
	s_and_b32 s13, s14, exec_lo
.LBB167_66:
	s_or_b32 exec_lo, exec_lo, s61
	v_cndmask_b32_e64 v86, 0, 1, s11
	s_wait_dscnt 0x0
	v_mov_b64_e32 v[36:37], v[22:23]
	v_mov_b64_e32 v[34:35], v[32:33]
	;; [unrolled: 1-line block ×3, first 2 shown]
	s_and_b32 s12, s13, exec_lo
	v_mov_b32_e32 v89, v86
.LBB167_67:
	s_or_b32 exec_lo, exec_lo, s60
	s_wait_dscnt 0x0
	v_cndmask_b32_e64 v32, 0, 1, s10
	v_mov_b64_e32 v[40:41], v[30:31]
	v_mov_b32_e32 v90, v85
	s_and_b32 s11, s12, exec_lo
	s_delay_alu instid0(VALU_DEP_3)
	v_mov_b32_e32 v92, v32
.LBB167_68:
	s_or_b32 exec_lo, exec_lo, s59
	v_cndmask_b32_e64 v33, 0, 1, s9
	s_wait_dscnt 0x0
	v_mov_b64_e32 v[38:39], v[28:29]
	v_mov_b64_e32 v[82:83], v[28:29]
	s_and_b32 s10, s11, exec_lo
	v_mov_b32_e32 v93, v33
.LBB167_69:
	s_or_b32 exec_lo, exec_lo, s58
	v_cndmask_b32_e64 v88, 0, 1, s8
	s_wait_dscnt 0x0
	v_mov_b64_e32 v[44:45], v[26:27]
	s_and_b32 s9, s10, exec_lo
	s_delay_alu instid0(VALU_DEP_2)
	v_mov_b32_e32 v95, v88
.LBB167_70:
	s_or_b32 exec_lo, exec_lo, s57
	v_cndmask_b32_e64 v91, 0, 1, s7
	s_wait_dscnt 0x0
	v_mov_b64_e32 v[42:43], v[20:21]
	v_mov_b64_e32 v[28:29], v[20:21]
	s_and_b32 s8, s9, exec_lo
	v_mov_b32_e32 v97, v91
.LBB167_71:
	s_or_b32 exec_lo, exec_lo, s56
	v_cndmask_b32_e64 v94, 0, 1, s6
	s_wait_dscnt 0x0
	v_mov_b64_e32 v[48:49], v[18:19]
	s_and_b32 s7, s8, exec_lo
	s_delay_alu instid0(VALU_DEP_2)
	v_mov_b32_e32 v99, v94
.LBB167_72:
	s_or_b32 exec_lo, exec_lo, s55
	v_cndmask_b32_e64 v96, 0, 1, s5
	s_wait_dscnt 0x0
	v_mov_b64_e32 v[46:47], v[16:17]
	v_mov_b64_e32 v[20:21], v[16:17]
	s_and_b32 s6, s7, exec_lo
	v_mov_b32_e32 v101, v96
.LBB167_73:
	s_or_b32 exec_lo, exec_lo, s54
	v_cndmask_b32_e64 v98, 0, 1, s4
	s_wait_dscnt 0x0
	v_mov_b64_e32 v[60:61], v[14:15]
	s_and_b32 s5, s6, exec_lo
	s_delay_alu instid0(VALU_DEP_2)
	v_mov_b32_e32 v103, v98
.LBB167_74:
	s_or_b32 exec_lo, exec_lo, s49
	v_cndmask_b32_e64 v102, 0, 1, s1
	s_wait_dscnt 0x0
	v_mov_b64_e32 v[58:59], v[8:9]
	v_mov_b64_e32 v[16:17], v[8:9]
	s_and_b32 s4, s5, exec_lo
	v_mov_b32_e32 v106, v102
.LBB167_75:
	s_or_b32 exec_lo, exec_lo, s48
	v_cndmask_b32_e64 v104, 0, 1, s0
	s_wait_dscnt 0x0
	v_mov_b64_e32 v[4:5], v[6:7]
	s_and_b32 s1, s4, exec_lo
	s_delay_alu instid0(VALU_DEP_2)
	v_mov_b32_e32 v84, v104
.LBB167_76:
	s_or_b32 exec_lo, exec_lo, s45
	v_cndmask_b32_e64 v107, 0, 1, vcc_lo
	s_and_b32 s0, s1, exec_lo
	s_delay_alu instid0(VALU_DEP_1)
	v_mov_b32_e32 v1, v107
.LBB167_77:
	s_or_b32 exec_lo, exec_lo, s41
	v_lshlrev_b32_e32 v62, 3, v0
	s_and_b32 vcc_lo, exec_lo, s15
	s_cbranch_vccnz .LBB167_79
	s_branch .LBB167_82
.LBB167_78:
	s_mov_b32 s0, s35
                                        ; implicit-def: $sgpr37
                                        ; implicit-def: $vgpr12_vgpr13
                                        ; implicit-def: $vgpr85
                                        ; implicit-def: $vgpr36_vgpr37
                                        ; implicit-def: $vgpr86
                                        ; implicit-def: $vgpr32
                                        ; implicit-def: $vgpr40_vgpr41
                                        ; implicit-def: $vgpr33
                                        ; implicit-def: $vgpr88
                                        ; implicit-def: $vgpr44_vgpr45
                                        ; implicit-def: $vgpr91
                                        ; implicit-def: $vgpr94
                                        ; implicit-def: $vgpr48_vgpr49
                                        ; implicit-def: $vgpr96
                                        ; implicit-def: $vgpr98
                                        ; implicit-def: $vgpr60_vgpr61
                                        ; implicit-def: $vgpr102
                                        ; implicit-def: $vgpr104
                                        ; implicit-def: $vgpr107
                                        ; implicit-def: $vgpr87
                                        ; implicit-def: $vgpr90
                                        ; implicit-def: $vgpr89
                                        ; implicit-def: $vgpr24_vgpr25
                                        ; implicit-def: $vgpr92
                                        ; implicit-def: $vgpr93
                                        ; implicit-def: $vgpr82_vgpr83
                                        ; implicit-def: $vgpr95
                                        ; implicit-def: $vgpr97
                                        ; implicit-def: $vgpr28_vgpr29
                                        ; implicit-def: $vgpr99
                                        ; implicit-def: $vgpr101
                                        ; implicit-def: $vgpr20_vgpr21
                                        ; implicit-def: $vgpr103
                                        ; implicit-def: $vgpr106
                                        ; implicit-def: $vgpr16_vgpr17
                                        ; implicit-def: $vgpr84
                                        ; implicit-def: $vgpr1
                                        ; implicit-def: $vgpr4_vgpr5
                                        ; implicit-def: $vgpr22_vgpr23
                                        ; implicit-def: $vgpr30_vgpr31
                                        ; implicit-def: $vgpr26_vgpr27
                                        ; implicit-def: $vgpr18_vgpr19
                                        ; implicit-def: $vgpr14_vgpr15
                                        ; implicit-def: $vgpr6_vgpr7
	v_lshlrev_b32_e32 v62, 3, v0
	s_cbranch_execz .LBB167_82
.LBB167_79:
	v_mov_b32_e32 v1, 0
	s_lshl_b64 s[0:1], s[18:19], 3
	s_and_b32 s4, s40, exec_lo
	s_add_nc_u64 s[0:1], s[50:51], s[0:1]
	v_mad_u32_u24 v50, 0x68, v0, v62
	v_mov_b32_e32 v63, v1
	s_add_nc_u64 s[0:1], s[0:1], -8
	v_sub_nc_u64_e32 v[32:33], 0, v[0:1]
	s_cselect_b32 s0, s20, s0
	s_cselect_b32 s1, s21, s1
	s_wait_dscnt 0x0
	v_sub_nc_u64_e32 v[2:3], s[20:21], v[62:63]
	s_cmp_eq_u64 s[18:19], 0
	v_mad_i32_i24 v34, 0xffffff98, v0, v50
	s_cselect_b32 s1, s23, s1
	s_cselect_b32 s0, s22, s0
	s_clause 0xd
	flat_load_b64 v[4:5], v[2:3] offset:-8
	flat_load_b64 v[6:7], v[2:3] offset:-2056
	;; [unrolled: 1-line block ×14, first 2 shown]
	s_wait_loadcnt_dscnt 0xc0c
	ds_store_2addr_stride64_b64 v62, v[4:5], v[6:7] offset1:4
	s_wait_loadcnt_dscnt 0xa0b
	ds_store_2addr_stride64_b64 v62, v[8:9], v[10:11] offset0:8 offset1:12
	s_wait_loadcnt_dscnt 0x80a
	ds_store_2addr_stride64_b64 v62, v[12:13], v[14:15] offset0:16 offset1:20
	;; [unrolled: 2-line block ×6, first 2 shown]
	s_wait_dscnt 0x0
	s_barrier_signal -1
	s_barrier_wait -1
	flat_load_b64 v[30:31], v1, s[0:1]
	ds_load_b128 v[22:25], v50 offset:96
	ds_load_b128 v[2:5], v50
	ds_load_b128 v[6:9], v50 offset:16
	ds_load_b128 v[10:13], v50 offset:32
	;; [unrolled: 1-line block ×5, first 2 shown]
	s_wait_dscnt 0x6
	ds_store_b64 v34, v[24:25] offset:28672
	s_wait_loadcnt_dscnt 0x0
	s_barrier_signal -1
	s_barrier_wait -1
	s_and_saveexec_b32 s0, s3
; %bb.80:
	v_mul_i32_i24_e32 v1, 0xffffff98, v0
	s_delay_alu instid0(VALU_DEP_1)
	v_add_nc_u32_e32 v1, v50, v1
	ds_load_b64 v[30:31], v1 offset:28664
; %bb.81:
	s_or_b32 exec_lo, exec_lo, s0
	v_lshl_add_u64 v[32:33], v[32:33], 3, s[16:17]
	s_wait_dscnt 0x0
	s_barrier_signal -1
	s_barrier_wait -1
	s_clause 0xd
	flat_load_b64 v[34:35], v[32:33] offset:-8
	flat_load_b64 v[36:37], v[32:33] offset:-2056
	;; [unrolled: 1-line block ×14, first 2 shown]
	v_cmp_ne_u64_e32 vcc_lo, v[28:29], v[22:23]
	v_cmp_ne_u64_e64 s37, v[22:23], v[24:25]
	s_mov_b32 s0, -1
	s_wait_loadcnt_dscnt 0xc0c
	ds_store_2addr_stride64_b64 v62, v[34:35], v[36:37] offset1:4
	s_wait_loadcnt_dscnt 0xa0b
	ds_store_2addr_stride64_b64 v62, v[38:39], v[40:41] offset0:8 offset1:12
	s_wait_loadcnt_dscnt 0x80a
	ds_store_2addr_stride64_b64 v62, v[42:43], v[44:45] offset0:16 offset1:20
	;; [unrolled: 2-line block ×6, first 2 shown]
	v_cndmask_b32_e64 v87, 0, 1, vcc_lo
	v_cmp_ne_u64_e32 vcc_lo, v[26:27], v[28:29]
	s_wait_dscnt 0x0
	s_barrier_signal -1
	s_barrier_wait -1
	ds_load_b128 v[38:41], v50 offset:64
	ds_load_b128 v[34:37], v50 offset:80
	;; [unrolled: 1-line block ×4, first 2 shown]
	v_cndmask_b32_e64 v85, 0, 1, vcc_lo
	v_cmp_ne_u64_e32 vcc_lo, v[20:21], v[26:27]
	v_cndmask_b32_e64 v86, 0, 1, vcc_lo
	v_cmp_ne_u64_e32 vcc_lo, v[18:19], v[20:21]
	s_delay_alu instid0(VALU_DEP_2)
	v_dual_mov_b32 v90, v85 :: v_dual_mov_b32 v89, v86
	v_cndmask_b32_e64 v32, 0, 1, vcc_lo
	v_cmp_ne_u64_e32 vcc_lo, v[16:17], v[18:19]
	s_wait_dscnt 0x2
	v_mov_b64_e32 v[22:23], v[36:37]
	v_mov_b64_e32 v[24:25], v[34:35]
	;; [unrolled: 1-line block ×3, first 2 shown]
	s_wait_dscnt 0x0
	v_mov_b64_e32 v[26:27], v[44:45]
	v_mov_b64_e32 v[28:29], v[42:43]
	;; [unrolled: 1-line block ×3, first 2 shown]
	v_cndmask_b32_e64 v33, 0, 1, vcc_lo
	v_cmp_ne_u64_e32 vcc_lo, v[14:15], v[16:17]
	v_mov_b64_e32 v[18:19], v[48:49]
	s_delay_alu instid0(VALU_DEP_3) | instskip(SKIP_4) | instid1(VALU_DEP_2)
	v_dual_mov_b32 v92, v32 :: v_dual_mov_b32 v93, v33
	v_cndmask_b32_e64 v88, 0, 1, vcc_lo
	v_cmp_ne_u64_e32 vcc_lo, v[12:13], v[14:15]
	v_cndmask_b32_e64 v91, 0, 1, vcc_lo
	v_cmp_ne_u64_e32 vcc_lo, v[10:11], v[12:13]
	v_dual_mov_b32 v95, v88 :: v_dual_mov_b32 v97, v91
	v_cndmask_b32_e64 v94, 0, 1, vcc_lo
	v_cmp_ne_u64_e32 vcc_lo, v[8:9], v[10:11]
	v_cndmask_b32_e64 v96, 0, 1, vcc_lo
	v_cmp_ne_u64_e32 vcc_lo, v[6:7], v[8:9]
	s_delay_alu instid0(VALU_DEP_2) | instskip(SKIP_4) | instid1(VALU_DEP_2)
	v_dual_mov_b32 v99, v94 :: v_dual_mov_b32 v101, v96
	v_cndmask_b32_e64 v98, 0, 1, vcc_lo
	v_cmp_ne_u64_e32 vcc_lo, v[4:5], v[6:7]
	v_cndmask_b32_e64 v102, 0, 1, vcc_lo
	v_cmp_ne_u64_e32 vcc_lo, v[2:3], v[4:5]
	v_dual_mov_b32 v103, v98 :: v_dual_mov_b32 v106, v102
	v_cndmask_b32_e64 v104, 0, 1, vcc_lo
	v_cmp_ne_u64_e32 vcc_lo, v[30:31], v[2:3]
	ds_load_b128 v[2:5], v50
	ds_load_b128 v[58:61], v50 offset:16
	ds_load_b128 v[10:13], v50 offset:96
	v_mov_b64_e32 v[30:31], v[40:41]
	v_cndmask_b32_e64 v107, 0, 1, vcc_lo
	s_delay_alu instid0(VALU_DEP_1)
	v_dual_mov_b32 v84, v104 :: v_dual_mov_b32 v1, v107
	s_wait_dscnt 0x2
	v_mov_b64_e32 v[6:7], v[4:5]
	s_wait_dscnt 0x1
	v_mov_b64_e32 v[16:17], v[58:59]
	v_mov_b64_e32 v[14:15], v[60:61]
.LBB167_82:
	v_mov_b64_e32 v[8:9], 0
	v_mov_b32_e32 v63, 0
	s_and_saveexec_b32 s1, s0
	s_cbranch_execz .LBB167_84
; %bb.83:
	v_mov_b64_e32 v[6:7], v[4:5]
	v_mov_b64_e32 v[16:17], v[58:59]
	;; [unrolled: 1-line block ×11, first 2 shown]
	s_wait_dscnt 0x0
	v_mov_b64_e32 v[8:9], v[12:13]
	v_cndmask_b32_e64 v63, 0, 1, s37
	v_dual_mov_b32 v1, v107 :: v_dual_mov_b32 v84, v104
	v_dual_mov_b32 v106, v102 :: v_dual_mov_b32 v103, v98
	;; [unrolled: 1-line block ×6, first 2 shown]
.LBB167_84:
	s_or_b32 exec_lo, exec_lo, s1
	v_dual_lshrrev_b32 v66, 1, v0 :: v_dual_bitop2_b32 v65, 1, v106 bitop3:0x40
	v_and_b32_e32 v64, 1, v99
	v_and_b32_e32 v61, 1, v93
	;; [unrolled: 1-line block ×5, first 2 shown]
	v_cmp_eq_u32_e64 s15, 1, v65
	v_and_b32_e32 v80, 0xff, v103
	v_and_b32_e32 v79, 0xff, v101
	v_bitop3_b16 v67, v101, 0xff, v103 bitop3:0xc8
	v_and_b32_e32 v78, 0xff, v99
	v_cmp_eq_u32_e64 s16, 1, v64
	v_and_b32_e32 v77, 0xff, v97
	v_and_b32_e32 v76, 0xff, v95
	v_bitop3_b16 v68, v95, 0xff, v97 bitop3:0xc8
	v_and_b32_e32 v75, 0xff, v93
	v_cmp_eq_u32_e64 s17, 1, v61
	v_and_b32_e32 v74, 0xff, v92
	v_and_b32_e32 v73, 0xff, v89
	v_bitop3_b16 v70, v89, 0xff, v92 bitop3:0xc8
	v_and_b32_e32 v72, 0xff, v90
	v_cmp_eq_u32_e64 s18, 1, v60
	v_and_b32_e32 v71, 0xff, v87
	v_cmp_eq_u16_e64 s0, 0, v63
	v_bitop3_b16 v69, v63, 0xff, v87 bitop3:0xc8
	s_cmp_lg_u32 s36, 0
	s_wait_dscnt 0x0
	v_cmp_gt_u32_e32 vcc_lo, 32, v0
	s_barrier_signal -1
	s_barrier_wait -1
	s_cbranch_scc0 .LBB167_146
; %bb.85:
	v_max_i64 v[4:5], v[6:7], v[2:3]
	v_cmp_eq_u16_e64 s1, 0, v85
	v_cmp_eq_u16_e64 s4, 0, v81
	v_cmp_eq_u16_e64 s5, 0, v80
	v_cmp_eq_u16_e64 s6, 0, v79
	v_cmp_eq_u16_e64 s7, 0, v78
	v_cmp_eq_u16_e64 s8, 0, v77
	v_cmp_eq_u16_e64 s9, 0, v76
	v_cmp_eq_u16_e64 s10, 0, v75
	v_cmp_eq_u16_e64 s11, 0, v74
	v_cmp_eq_u16_e64 s12, 0, v73
	v_cmp_eq_u16_e64 s13, 0, v72
	v_cmp_eq_u16_e64 s14, 0, v71
	v_cmp_ne_u16_e64 s21, 0, v70
	v_bitop3_b16 v12, v84, 0xff, v1 bitop3:0xc8
	v_cmp_ne_u16_e64 s20, 0, v68
	v_cmp_ne_u16_e64 s22, 0, v69
	;; [unrolled: 1-line block ×3, first 2 shown]
	s_or_b32 s18, s21, s18
	v_cmp_ne_u16_e64 s23, 0, v12
	s_or_b32 s17, s20, s17
	s_or_b32 s18, s22, s18
	;; [unrolled: 1-line block ×4, first 2 shown]
	v_and_b32_e32 v13, 0x70, v66
	s_or_b32 s15, s23, s15
	s_or_b32 s16, s17, s16
	s_delay_alu instid0(SALU_CYCLE_1) | instskip(NEXT) | instid1(VALU_DEP_1)
	s_or_b32 s18, s16, s15
	v_lshl_add_u32 v12, v0, 4, v13
	v_cndmask_b32_e64 v37, 0, 1, s18
	v_dual_cndmask_b32 v5, v7, v5, s1 :: v_dual_cndmask_b32 v4, v6, v4, s1
	s_delay_alu instid0(VALU_DEP_1) | instskip(NEXT) | instid1(VALU_DEP_1)
	v_max_i64 v[4:5], v[16:17], v[4:5]
	v_dual_cndmask_b32 v5, v17, v5, s4 :: v_dual_cndmask_b32 v4, v16, v4, s4
	s_delay_alu instid0(VALU_DEP_1) | instskip(NEXT) | instid1(VALU_DEP_1)
	v_max_i64 v[4:5], v[14:15], v[4:5]
	;; [unrolled: 3-line block ×12, first 2 shown]
	v_dual_cndmask_b32 v5, v9, v5, s0 :: v_dual_cndmask_b32 v4, v8, v4, s0
	ds_store_b64 v12, v[4:5]
	ds_store_b8 v12, v37 offset:8
	s_wait_dscnt 0x0
	s_barrier_signal -1
	s_barrier_wait -1
	s_and_saveexec_b32 s19, vcc_lo
	s_cbranch_execz .LBB167_97
; %bb.86:
	v_dual_lshlrev_b32 v12, 2, v0 :: v_dual_lshlrev_b32 v13, 7, v0
	s_mov_b32 s17, exec_lo
	s_delay_alu instid0(VALU_DEP_1) | instskip(NEXT) | instid1(VALU_DEP_1)
	v_and_b32_e32 v12, 0x3f0, v12
	v_add_nc_u32_e32 v36, v12, v13
	ds_load_2addr_b64 v[32:35], v36 offset0:2 offset1:4
	ds_load_b64 v[12:13], v36
	ds_load_b32 v38, v36 offset:8
	ds_load_u8 v39, v36 offset:24
	ds_load_u8 v46, v36 offset:40
	;; [unrolled: 1-line block ×6, first 2 shown]
	s_wait_dscnt 0x7
	v_max_i64 v[40:41], v[32:33], v[12:13]
	s_wait_dscnt 0x5
	v_cmp_eq_u16_e64 s15, 0, v39
	s_delay_alu instid0(VALU_DEP_1) | instskip(SKIP_2) | instid1(VALU_DEP_2)
	v_dual_cndmask_b32 v33, v33, v41, s15 :: v_dual_cndmask_b32 v32, v32, v40, s15
	s_wait_dscnt 0x4
	v_cmp_eq_u16_e64 s15, 0, v46
	v_max_i64 v[32:33], v[34:35], v[32:33]
	s_delay_alu instid0(VALU_DEP_1)
	v_cndmask_b32_e64 v32, v34, v32, s15
	ds_load_2addr_b64 v[40:43], v36 offset0:6 offset1:8
	v_cndmask_b32_e64 v33, v35, v33, s15
	s_wait_dscnt 0x4
	v_cmp_eq_u16_e64 s15, 0, v47
	s_wait_dscnt 0x0
	s_delay_alu instid0(VALU_DEP_2) | instskip(NEXT) | instid1(VALU_DEP_1)
	v_max_i64 v[32:33], v[40:41], v[32:33]
	v_dual_cndmask_b32 v33, v41, v33, s15 :: v_dual_cndmask_b32 v32, v40, v32, s15
	v_cmp_eq_u16_e64 s15, 0, v48
	s_delay_alu instid0(VALU_DEP_2) | instskip(SKIP_4) | instid1(VALU_DEP_2)
	v_max_i64 v[40:41], v[42:43], v[32:33]
	ds_load_2addr_b64 v[32:35], v36 offset0:10 offset1:12
	v_dual_cndmask_b32 v41, v43, v41, s15 :: v_dual_cndmask_b32 v40, v42, v40, s15
	v_cmp_eq_u16_e64 s15, 0, v49
	s_wait_dscnt 0x0
	v_max_i64 v[40:41], v[32:33], v[40:41]
	s_delay_alu instid0(VALU_DEP_1) | instskip(SKIP_4) | instid1(VALU_DEP_1)
	v_dual_cndmask_b32 v33, v33, v41, s15 :: v_dual_cndmask_b32 v32, v32, v40, s15
	ds_load_b64 v[44:45], v36 offset:112
	ds_load_u8 v40, v36 offset:120
	v_cmp_eq_u16_e64 s15, 0, v50
	v_max_i64 v[32:33], v[34:35], v[32:33]
	v_dual_cndmask_b32 v33, v35, v33, s15 :: v_dual_cndmask_b32 v32, v34, v32, s15
	v_bitop3_b16 v34, v46, v47, v39 bitop3:0xfe
	v_bitop3_b16 v35, v49, v50, v48 bitop3:0xfe
	v_and_b32_e32 v39, 0xffffff00, v38
	s_wait_dscnt 0x0
	s_delay_alu instid0(VALU_DEP_2) | instskip(SKIP_2) | instid1(VALU_DEP_3)
	v_bitop3_b16 v34, v40, v34, v35 bitop3:0xfe
	v_and_b32_e32 v35, 1, v38
	v_max_i64 v[32:33], v[44:45], v[32:33]
	v_and_b32_e32 v34, 1, v34
	s_delay_alu instid0(VALU_DEP_3) | instskip(NEXT) | instid1(VALU_DEP_2)
	v_cmp_eq_u32_e64 s15, 1, v35
	v_cmp_eq_u32_e64 s16, 1, v34
	s_or_b32 s15, s16, s15
	v_cmp_eq_u16_e64 s16, 0, v40
	v_cndmask_b32_e64 v34, 0, 1, s15
	v_mbcnt_lo_u32_b32 v40, -1, 0
	v_cndmask_b32_e64 v41, 0, 1, s15
	s_delay_alu instid0(VALU_DEP_3) | instskip(NEXT) | instid1(VALU_DEP_3)
	v_or_b32_e32 v43, v39, v34
	v_dual_cndmask_b32 v33, v45, v33, s16 :: v_dual_bitop2_b32 v42, 15, v40 bitop3:0x40
	v_cndmask_b32_e64 v32, v44, v32, s16
	s_delay_alu instid0(VALU_DEP_3) | instskip(NEXT) | instid1(VALU_DEP_3)
	v_mov_b32_dpp v44, v43 row_shr:1 row_mask:0xf bank_mask:0xf
	v_mov_b32_dpp v35, v33 row_shr:1 row_mask:0xf bank_mask:0xf
	s_delay_alu instid0(VALU_DEP_3)
	v_mov_b32_dpp v34, v32 row_shr:1 row_mask:0xf bank_mask:0xf
	v_cmpx_ne_u32_e32 0, v42
	s_cbranch_execz .LBB167_88
; %bb.87:
	s_delay_alu instid0(VALU_DEP_2) | instskip(SKIP_1) | instid1(VALU_DEP_1)
	v_max_i64 v[34:35], v[32:33], v[34:35]
	v_bitop3_b16 v41, v44, v41, 1 bitop3:0xec
	v_and_b32_e32 v43, 0xffff, v41
	s_delay_alu instid0(VALU_DEP_1) | instskip(NEXT) | instid1(VALU_DEP_4)
	v_or_b32_e32 v43, v39, v43
	v_dual_cndmask_b32 v33, v35, v33, s15 :: v_dual_cndmask_b32 v32, v34, v32, s15
.LBB167_88:
	s_or_b32 exec_lo, exec_lo, s17
	s_delay_alu instid0(VALU_DEP_1) | instskip(NEXT) | instid1(VALU_DEP_2)
	v_mov_b32_dpp v34, v32 row_shr:2 row_mask:0xf bank_mask:0xf
	v_mov_b32_dpp v35, v33 row_shr:2 row_mask:0xf bank_mask:0xf
	;; [unrolled: 1-line block ×3, first 2 shown]
	s_mov_b32 s20, exec_lo
	v_cmpx_lt_u32_e32 1, v42
	s_cbranch_execz .LBB167_90
; %bb.89:
	v_max_i64 v[34:35], v[32:33], v[34:35]
	v_cmp_eq_u16_e64 s17, 0, v41
	v_and_b32_e32 v43, 1, v41
	s_delay_alu instid0(VALU_DEP_2) | instskip(NEXT) | instid1(VALU_DEP_1)
	v_dual_cndmask_b32 v32, v32, v34, s17 :: v_dual_bitop2_b32 v44, 1, v44 bitop3:0x40
	v_cmp_eq_u32_e64 s16, 1, v44
	v_cndmask_b32_e64 v33, v33, v35, s17
	s_delay_alu instid0(VALU_DEP_4) | instskip(SKIP_1) | instid1(SALU_CYCLE_1)
	v_cmp_eq_u32_e64 s15, 1, v43
	s_or_b32 s15, s15, s16
	v_cndmask_b32_e64 v43, 0, 1, s15
	v_cndmask_b32_e64 v41, 0, 1, s15
	s_delay_alu instid0(VALU_DEP_2)
	v_or_b32_e32 v43, v39, v43
.LBB167_90:
	s_or_b32 exec_lo, exec_lo, s20
	v_mov_b32_dpp v34, v32 row_shr:4 row_mask:0xf bank_mask:0xf
	v_mov_b32_dpp v35, v33 row_shr:4 row_mask:0xf bank_mask:0xf
	s_delay_alu instid0(VALU_DEP_3)
	v_mov_b32_dpp v44, v43 row_shr:4 row_mask:0xf bank_mask:0xf
	s_mov_b32 s20, exec_lo
	v_cmpx_lt_u32_e32 3, v42
	s_cbranch_execz .LBB167_92
; %bb.91:
	v_max_i64 v[34:35], v[32:33], v[34:35]
	v_cmp_eq_u16_e64 s17, 0, v41
	v_and_b32_e32 v43, 1, v41
	s_delay_alu instid0(VALU_DEP_2) | instskip(NEXT) | instid1(VALU_DEP_1)
	v_dual_cndmask_b32 v32, v32, v34, s17 :: v_dual_bitop2_b32 v44, 1, v44 bitop3:0x40
	v_cmp_eq_u32_e64 s16, 1, v44
	v_cndmask_b32_e64 v33, v33, v35, s17
	s_delay_alu instid0(VALU_DEP_4) | instskip(SKIP_1) | instid1(SALU_CYCLE_1)
	v_cmp_eq_u32_e64 s15, 1, v43
	s_or_b32 s15, s15, s16
	v_cndmask_b32_e64 v43, 0, 1, s15
	v_cndmask_b32_e64 v41, 0, 1, s15
	s_delay_alu instid0(VALU_DEP_2)
	v_or_b32_e32 v43, v39, v43
.LBB167_92:
	s_or_b32 exec_lo, exec_lo, s20
	v_mov_b32_dpp v34, v32 row_shr:8 row_mask:0xf bank_mask:0xf
	v_mov_b32_dpp v35, v33 row_shr:8 row_mask:0xf bank_mask:0xf
	s_delay_alu instid0(VALU_DEP_3)
	v_mov_b32_dpp v44, v43 row_shr:8 row_mask:0xf bank_mask:0xf
	s_mov_b32 s20, exec_lo
	v_cmpx_lt_u32_e32 7, v42
	s_cbranch_execz .LBB167_94
; %bb.93:
	v_max_i64 v[34:35], v[32:33], v[34:35]
	v_cmp_eq_u16_e64 s17, 0, v41
	v_and_b32_e32 v42, 1, v41
	s_delay_alu instid0(VALU_DEP_2) | instskip(NEXT) | instid1(VALU_DEP_1)
	v_dual_cndmask_b32 v32, v32, v34, s17 :: v_dual_bitop2_b32 v43, 1, v44 bitop3:0x40
	v_cmp_eq_u32_e64 s16, 1, v43
	v_cndmask_b32_e64 v33, v33, v35, s17
	s_delay_alu instid0(VALU_DEP_4) | instskip(SKIP_1) | instid1(SALU_CYCLE_1)
	v_cmp_eq_u32_e64 s15, 1, v42
	s_or_b32 s15, s15, s16
	v_cndmask_b32_e64 v42, 0, 1, s15
	v_cndmask_b32_e64 v41, 0, 1, s15
	s_delay_alu instid0(VALU_DEP_2)
	v_or_b32_e32 v43, v39, v42
.LBB167_94:
	s_or_b32 exec_lo, exec_lo, s20
	ds_swizzle_b32 v34, v32 offset:swizzle(BROADCAST,32,15)
	ds_swizzle_b32 v35, v33 offset:swizzle(BROADCAST,32,15)
	;; [unrolled: 1-line block ×3, first 2 shown]
	v_and_b32_e32 v43, 16, v40
	s_mov_b32 s20, exec_lo
	s_delay_alu instid0(VALU_DEP_1)
	v_cmpx_ne_u32_e32 0, v43
	s_cbranch_execz .LBB167_96
; %bb.95:
	s_wait_dscnt 0x1
	v_max_i64 v[34:35], v[32:33], v[34:35]
	v_cmp_eq_u16_e64 s15, 0, v41
	v_and_b32_e32 v43, 1, v41
	s_wait_dscnt 0x0
	s_delay_alu instid0(VALU_DEP_2) | instskip(NEXT) | instid1(VALU_DEP_1)
	v_dual_cndmask_b32 v33, v33, v35, s15 :: v_dual_bitop2_b32 v42, 1, v42 bitop3:0x40
	v_cmp_eq_u32_e64 s17, 1, v42
	v_cndmask_b32_e64 v32, v32, v34, s15
	v_cmp_eq_u32_e64 s16, 1, v43
	s_or_b32 s15, s16, s17
	s_delay_alu instid0(SALU_CYCLE_1)
	v_cndmask_b32_e64 v41, 0, 1, s15
.LBB167_96:
	s_or_b32 exec_lo, exec_lo, s20
	s_wait_dscnt 0x1
	s_delay_alu instid0(VALU_DEP_1) | instskip(SKIP_1) | instid1(VALU_DEP_2)
	v_and_b32_e32 v35, 0xffff, v41
	v_add_nc_u32_e32 v34, -1, v40
	; wave barrier
	v_or_b32_e32 v35, v39, v35
	s_delay_alu instid0(VALU_DEP_2) | instskip(NEXT) | instid1(VALU_DEP_1)
	v_cmp_gt_i32_e64 s15, 0, v34
	v_cndmask_b32_e64 v34, v34, v40, s15
	s_delay_alu instid0(VALU_DEP_1) | instskip(SKIP_4) | instid1(VALU_DEP_1)
	v_lshlrev_b32_e32 v34, 2, v34
	ds_bpermute_b32 v32, v34, v32
	ds_bpermute_b32 v33, v34, v33
	;; [unrolled: 1-line block ×3, first 2 shown]
	v_and_b32_e32 v35, 0xff, v38
	v_cmp_eq_u32_e64 s15, 0, v35
	s_wait_dscnt 0x1
	v_max_i64 v[32:33], v[12:13], v[32:33]
	s_wait_dscnt 0x0
	s_delay_alu instid0(VALU_DEP_1) | instskip(NEXT) | instid1(VALU_DEP_1)
	v_dual_cndmask_b32 v13, v13, v33, s15 :: v_dual_bitop2_b32 v34, v34, v38 bitop3:0x54
	v_dual_cndmask_b32 v12, v12, v32, s15 :: v_dual_cndmask_b32 v13, v13, v5, s2
	s_delay_alu instid0(VALU_DEP_1) | instskip(NEXT) | instid1(VALU_DEP_1)
	v_dual_cndmask_b32 v12, v12, v4, s2 :: v_dual_bitop2_b32 v32, 1, v34 bitop3:0x40
	v_cndmask_b32_e64 v37, v32, v37, s2
	ds_store_b64 v36, v[12:13]
	ds_store_b8 v36, v37 offset:8
	; wave barrier
	ds_load_2addr_b64 v[32:35], v36 offset0:2 offset1:4
	ds_load_u8 v48, v36 offset:24
	ds_load_u8 v49, v36 offset:40
	;; [unrolled: 1-line block ×6, first 2 shown]
	ds_load_b64 v[42:43], v36 offset:112
	ds_load_u8 v54, v36 offset:120
	s_wait_dscnt 0x7
	v_and_b32_e32 v38, 0xff, v48
	s_wait_dscnt 0x6
	v_and_b32_e32 v44, 0xff, v49
	;; [unrolled: 2-line block ×3, first 2 shown]
	v_cmp_eq_u16_e64 s15, 0, v38
	v_max_i64 v[12:13], v[32:33], v[12:13]
	ds_load_2addr_b64 v[38:41], v36 offset0:6 offset1:8
	v_dual_cndmask_b32 v13, v33, v13, s15 :: v_dual_cndmask_b32 v12, v32, v12, s15
	v_cmp_eq_u16_e64 s15, 0, v44
	v_bitop3_b16 v56, v49, v48, v37 bitop3:0xfe
	s_delay_alu instid0(VALU_DEP_3) | instskip(NEXT) | instid1(VALU_DEP_2)
	v_max_i64 v[32:33], v[34:35], v[12:13]
	v_bitop3_b16 v58, v51, v50, v56 bitop3:0xfe
	s_delay_alu instid0(VALU_DEP_2) | instskip(SKIP_2) | instid1(VALU_DEP_2)
	v_dual_cndmask_b32 v45, v35, v33, s15 :: v_dual_cndmask_b32 v44, v34, v32, s15
	v_and_b32_e32 v34, 0xff, v50
	s_wait_dscnt 0x0
	v_max_i64 v[32:33], v[38:39], v[44:45]
	s_delay_alu instid0(VALU_DEP_2) | instskip(NEXT) | instid1(VALU_DEP_1)
	v_cmp_eq_u16_e64 s15, 0, v34
	v_dual_cndmask_b32 v39, v39, v33, s15 :: v_dual_cndmask_b32 v38, v38, v32, s15
	ds_load_2addr_b64 v[32:35], v36 offset0:10 offset1:12
	v_cmp_eq_u16_e64 s15, 0, v55
	v_and_b32_e32 v55, 0xff, v52
	v_max_i64 v[46:47], v[40:41], v[38:39]
	s_delay_alu instid0(VALU_DEP_1) | instskip(NEXT) | instid1(VALU_DEP_3)
	v_dual_cndmask_b32 v41, v41, v47, s15 :: v_dual_cndmask_b32 v40, v40, v46, s15
	v_cmp_eq_u16_e64 s15, 0, v55
	v_and_b32_e32 v55, 0xff, v53
	s_wait_dscnt 0x0
	s_delay_alu instid0(VALU_DEP_3) | instskip(NEXT) | instid1(VALU_DEP_1)
	v_max_i64 v[46:47], v[32:33], v[40:41]
	v_dual_cndmask_b32 v33, v33, v47, s15 :: v_dual_cndmask_b32 v32, v32, v46, s15
	s_delay_alu instid0(VALU_DEP_3) | instskip(SKIP_2) | instid1(VALU_DEP_4)
	v_cmp_eq_u16_e64 s15, 0, v55
	v_or_b32_e32 v55, v48, v37
	v_bitop3_b16 v37, v48, 1, v37 bitop3:0xc8
	v_max_i64 v[46:47], v[34:35], v[32:33]
	s_delay_alu instid0(VALU_DEP_3) | instskip(SKIP_3) | instid1(VALU_DEP_4)
	v_bitop3_b16 v57, v50, v49, v55 bitop3:0xfe
	v_bitop3_b16 v48, v49, 1, v55 bitop3:0xc8
	;; [unrolled: 1-line block ×7, first 2 shown]
	s_delay_alu instid0(VALU_DEP_3)
	v_bitop3_b16 v49, v53, 1, v49 bitop3:0xc8
	v_bitop3_b16 v53, v54, 1, v55 bitop3:0xc8
	v_dual_cndmask_b32 v35, v35, v47, s15 :: v_dual_cndmask_b32 v34, v34, v46, s15
	v_cmp_eq_u16_e64 s15, 0, v54
	ds_store_2addr_b64 v36, v[12:13], v[44:45] offset0:2 offset1:4
	ds_store_2addr_b64 v36, v[38:39], v[40:41] offset0:6 offset1:8
	;; [unrolled: 1-line block ×3, first 2 shown]
	v_max_i64 v[46:47], v[42:43], v[34:35]
	s_delay_alu instid0(VALU_DEP_1)
	v_dual_cndmask_b32 v13, v43, v47, s15 :: v_dual_cndmask_b32 v12, v42, v46, s15
	ds_store_b8 v36, v37 offset:24
	ds_store_b8 v36, v48 offset:40
	;; [unrolled: 1-line block ×6, first 2 shown]
	ds_store_b64 v36, v[12:13] offset:112
	ds_store_b8 v36, v53 offset:120
.LBB167_97:
	s_or_b32 exec_lo, exec_lo, s19
	s_wait_dscnt 0x0
	s_barrier_signal -1
	s_barrier_wait -1
	s_and_saveexec_b32 s16, s3
	s_cbranch_execz .LBB167_99
; %bb.98:
	v_add_nc_u32_e32 v4, -1, v0
	s_and_not1_b32 s17, s18, exec_lo
	s_delay_alu instid0(VALU_DEP_1) | instskip(NEXT) | instid1(VALU_DEP_1)
	v_lshrrev_b32_e32 v5, 1, v4
	v_and_b32_e32 v5, 0x7ffffff0, v5
	s_delay_alu instid0(VALU_DEP_1) | instskip(SKIP_4) | instid1(VALU_DEP_1)
	v_lshl_add_u32 v4, v4, 4, v5
	ds_load_u8 v12, v4 offset:8
	ds_load_b64 v[4:5], v4
	s_wait_dscnt 0x1
	v_and_b32_e32 v12, 1, v12
	v_cmp_eq_u32_e64 s15, 1, v12
	s_and_b32 s15, s15, exec_lo
	s_delay_alu instid0(SALU_CYCLE_1)
	s_or_b32 s18, s17, s15
.LBB167_99:
	s_or_b32 exec_lo, exec_lo, s16
	s_and_saveexec_b32 s19, vcc_lo
	s_cbranch_execz .LBB167_151
; %bb.100:
	v_mov_b32_e32 v35, 0
	v_mbcnt_lo_u32_b32 v41, -1, 0
	s_mov_b32 s17, 0
	ds_load_b64 v[12:13], v35 offset:4192
	ds_load_u8 v40, v35 offset:4200
	v_cmp_eq_u32_e64 s15, 0, v41
	s_and_saveexec_b32 s20, s15
	s_cbranch_execz .LBB167_102
; %bb.101:
	s_add_co_i32 s16, s36, 32
	s_delay_alu instid0(SALU_CYCLE_1) | instskip(SKIP_1) | instid1(SALU_CYCLE_1)
	v_dual_mov_b32 v32, 1 :: v_dual_mov_b32 v33, s16
	s_lshl_b64 s[22:23], s[16:17], 4
	s_add_nc_u64 s[16:17], s[24:25], s[22:23]
	s_wait_dscnt 0x1
	global_store_b64 v35, v[12:13], s[16:17]
	s_wait_dscnt 0x0
	global_store_b8 v35, v40, s[16:17] offset:8
	global_wb scope:SCOPE_DEV
	s_wait_storecnt 0x0
	global_inv scope:SCOPE_DEV
	s_wait_xcnt 0x0
	global_store_b8 v33, v32, s[28:29] scope:SCOPE_DEV
.LBB167_102:
	s_wait_xcnt 0x0
	s_or_b32 exec_lo, exec_lo, s20
	v_xad_u32 v32, v41, -1, s36
	s_mov_b32 s16, exec_lo
	s_delay_alu instid0(VALU_DEP_1)
	v_add_nc_u32_e32 v34, 32, v32
	global_load_u8 v42, v34, s[28:29] scope:SCOPE_DEV
	s_wait_loadcnt 0x0
	v_cmpx_eq_u16_e32 0, v42
	s_cbranch_execz .LBB167_106
; %bb.103:
	v_add_nc_u64_e32 v[36:37], s[28:29], v[34:35]
	s_mov_b32 s17, 0
.LBB167_104:                            ; =>This Inner Loop Header: Depth=1
	global_load_u8 v42, v[36:37], off scope:SCOPE_DEV
	s_wait_loadcnt 0x0
	v_cmp_ne_u16_e32 vcc_lo, 0, v42
	s_or_b32 s17, vcc_lo, s17
	s_wait_xcnt 0x0
	s_and_not1_b32 exec_lo, exec_lo, s17
	s_cbranch_execnz .LBB167_104
; %bb.105:
	s_or_b32 exec_lo, exec_lo, s17
.LBB167_106:
	s_delay_alu instid0(SALU_CYCLE_1)
	s_or_b32 exec_lo, exec_lo, s16
	v_dual_mov_b32 v33, s25 :: v_dual_mov_b32 v36, s24
	v_cmp_eq_u16_e32 vcc_lo, 1, v42
	global_wb scope:SCOPE_DEV
	s_wait_storecnt_dscnt 0x0
	global_inv scope:SCOPE_DEV
	v_lshlrev_b32_e64 v44, v41, -1
	s_mov_b32 s16, exec_lo
	v_cndmask_b32_e32 v37, s27, v33, vcc_lo
	v_cndmask_b32_e32 v36, s26, v36, vcc_lo
	v_cmp_ne_u32_e32 vcc_lo, 31, v41
	v_add_co_ci_u32_e64 v33, null, 0, v41, vcc_lo
	v_cmp_eq_u16_e32 vcc_lo, 2, v42
	s_delay_alu instid0(VALU_DEP_2)
	v_lshlrev_b32_e32 v43, 2, v33
	v_lshl_add_u64 v[34:35], v[34:35], 4, v[36:37]
	s_clause 0x1
	global_load_u8 v38, v[34:35], off offset:8
	global_load_b64 v[36:37], v[34:35], off
	v_and_or_b32 v33, vcc_lo, v44, 0x80000000
	s_delay_alu instid0(VALU_DEP_1)
	v_ctz_i32_b32_e32 v33, v33
	s_wait_loadcnt 0x1
	v_and_b32_e32 v39, 1, v38
	s_wait_loadcnt 0x0
	ds_bpermute_b32 v34, v43, v36
	ds_bpermute_b32 v35, v43, v37
	;; [unrolled: 1-line block ×3, first 2 shown]
	v_cmpx_lt_u32_e64 v41, v33
	s_cbranch_execz .LBB167_108
; %bb.107:
	s_wait_dscnt 0x1
	v_max_i64 v[34:35], v[36:37], v[34:35]
	v_and_b32_e32 v39, 0xff, v38
	s_wait_dscnt 0x0
	v_bitop3_b16 v38, v45, v38, 1 bitop3:0xec
	s_delay_alu instid0(VALU_DEP_2) | instskip(NEXT) | instid1(VALU_DEP_2)
	v_cmp_eq_u16_e32 vcc_lo, 0, v39
	v_and_b32_e32 v39, 0xff, v38
	v_dual_cndmask_b32 v37, v37, v35 :: v_dual_cndmask_b32 v36, v36, v34
.LBB167_108:
	s_or_b32 exec_lo, exec_lo, s16
	v_cmp_gt_u32_e32 vcc_lo, 30, v41
	v_add_nc_u32_e32 v46, 2, v41
	s_mov_b32 s20, exec_lo
	s_wait_dscnt 0x2
	v_cndmask_b32_e64 v34, 0, 2, vcc_lo
	s_wait_dscnt 0x0
	s_delay_alu instid0(VALU_DEP_1)
	v_add_lshl_u32 v45, v34, v41, 2
	ds_bpermute_b32 v34, v45, v36
	ds_bpermute_b32 v35, v45, v37
	ds_bpermute_b32 v47, v45, v39
	v_cmpx_le_u32_e64 v46, v33
	s_cbranch_execz .LBB167_110
; %bb.109:
	s_wait_dscnt 0x1
	v_max_i64 v[34:35], v[36:37], v[34:35]
	v_and_b32_e32 v39, 1, v38
	v_and_b32_e32 v38, 0xff, v38
	s_delay_alu instid0(VALU_DEP_1) | instskip(SKIP_1) | instid1(VALU_DEP_1)
	v_cmp_eq_u16_e64 s17, 0, v38
	s_wait_dscnt 0x0
	v_dual_cndmask_b32 v36, v36, v34, s17 :: v_dual_bitop2_b32 v47, 1, v47 bitop3:0x40
	s_delay_alu instid0(VALU_DEP_1) | instskip(SKIP_3) | instid1(SALU_CYCLE_1)
	v_cmp_eq_u32_e64 s16, 1, v47
	v_cndmask_b32_e64 v37, v37, v35, s17
	v_cmp_eq_u32_e32 vcc_lo, 1, v39
	s_or_b32 s16, vcc_lo, s16
	v_cndmask_b32_e64 v38, 0, 1, s16
	v_cndmask_b32_e64 v39, 0, 1, s16
.LBB167_110:
	s_or_b32 exec_lo, exec_lo, s20
	v_cmp_gt_u32_e32 vcc_lo, 28, v41
	v_add_nc_u32_e32 v48, 4, v41
	s_mov_b32 s20, exec_lo
	s_wait_dscnt 0x2
	v_cndmask_b32_e64 v34, 0, 4, vcc_lo
	s_wait_dscnt 0x0
	s_delay_alu instid0(VALU_DEP_1)
	v_add_lshl_u32 v47, v34, v41, 2
	ds_bpermute_b32 v34, v47, v36
	ds_bpermute_b32 v35, v47, v37
	ds_bpermute_b32 v49, v47, v39
	v_cmpx_le_u32_e64 v48, v33
	s_cbranch_execz .LBB167_112
; %bb.111:
	s_wait_dscnt 0x1
	v_max_i64 v[34:35], v[36:37], v[34:35]
	v_and_b32_e32 v39, 1, v38
	v_and_b32_e32 v38, 0xff, v38
	s_delay_alu instid0(VALU_DEP_1) | instskip(SKIP_1) | instid1(VALU_DEP_1)
	v_cmp_eq_u16_e64 s17, 0, v38
	s_wait_dscnt 0x0
	v_dual_cndmask_b32 v36, v36, v34, s17 :: v_dual_bitop2_b32 v49, 1, v49 bitop3:0x40
	s_delay_alu instid0(VALU_DEP_1) | instskip(SKIP_3) | instid1(SALU_CYCLE_1)
	v_cmp_eq_u32_e64 s16, 1, v49
	v_cndmask_b32_e64 v37, v37, v35, s17
	v_cmp_eq_u32_e32 vcc_lo, 1, v39
	s_or_b32 s16, vcc_lo, s16
	v_cndmask_b32_e64 v38, 0, 1, s16
	v_cndmask_b32_e64 v39, 0, 1, s16
.LBB167_112:
	;; [unrolled: 31-line block ×3, first 2 shown]
	s_or_b32 exec_lo, exec_lo, s20
	s_wait_dscnt 0x0
	v_lshl_or_b32 v51, v41, 2, 64
	v_add_nc_u32_e32 v52, 16, v41
	s_mov_b32 s20, exec_lo
	ds_bpermute_b32 v34, v51, v36
	ds_bpermute_b32 v35, v51, v37
	ds_bpermute_b32 v39, v51, v39
	v_cmpx_le_u32_e64 v52, v33
	s_cbranch_execz .LBB167_116
; %bb.115:
	s_wait_dscnt 0x1
	v_max_i64 v[34:35], v[36:37], v[34:35]
	v_and_b32_e32 v33, 0xff, v38
	s_delay_alu instid0(VALU_DEP_1) | instskip(SKIP_2) | instid1(VALU_DEP_4)
	v_cmp_eq_u16_e32 vcc_lo, 0, v33
	v_and_b32_e32 v38, 1, v38
	s_wait_dscnt 0x0
	v_dual_cndmask_b32 v36, v36, v34, vcc_lo :: v_dual_bitop2_b32 v39, 1, v39 bitop3:0x40
	s_delay_alu instid0(VALU_DEP_1) | instskip(SKIP_3) | instid1(SALU_CYCLE_1)
	v_cmp_eq_u32_e64 s17, 1, v39
	v_cndmask_b32_e32 v37, v37, v35, vcc_lo
	v_cmp_eq_u32_e64 s16, 1, v38
	s_or_b32 s16, s16, s17
	v_cndmask_b32_e64 v38, 0, 1, s16
.LBB167_116:
	s_or_b32 exec_lo, exec_lo, s20
	v_mov_b32_e32 v33, 0
	s_branch .LBB167_119
.LBB167_117:                            ;   in Loop: Header=BB167_119 Depth=1
	s_or_b32 exec_lo, exec_lo, s21
	v_max_i64 v[36:37], v[34:35], v[36:37]
	s_wait_dscnt 0x2
	v_and_b32_e32 v38, 0xff, v53
	v_subrev_nc_u32_e32 v32, 32, v32
	s_delay_alu instid0(VALU_DEP_2) | instskip(SKIP_1) | instid1(VALU_DEP_4)
	v_cmp_eq_u16_e32 vcc_lo, 0, v38
	s_wait_dscnt 0x1
	v_dual_cndmask_b32 v36, v34, v36, vcc_lo :: v_dual_bitop2_b32 v39, 1, v53 bitop3:0x40
	s_delay_alu instid0(VALU_DEP_1) | instskip(SKIP_2) | instid1(SALU_CYCLE_1)
	v_cmp_eq_u32_e64 s16, 1, v39
	v_cndmask_b32_e32 v37, v35, v37, vcc_lo
	s_or_b32 s16, s16, s20
	v_cndmask_b32_e64 v38, 0, 1, s16
	s_mov_b32 s16, 0
.LBB167_118:                            ;   in Loop: Header=BB167_119 Depth=1
	s_delay_alu instid0(SALU_CYCLE_1)
	s_and_b32 vcc_lo, exec_lo, s16
	s_cbranch_vccnz .LBB167_147
.LBB167_119:                            ; =>This Loop Header: Depth=1
                                        ;     Child Loop BB167_122 Depth 2
	s_wait_dscnt 0x2
	v_and_b32_e32 v34, 0xff, v42
	v_mov_b32_e32 v53, v38
	s_mov_b32 s16, -1
                                        ; implicit-def: $vgpr38
                                        ; implicit-def: $vgpr42
	s_delay_alu instid0(VALU_DEP_2)
	v_cmp_ne_u16_e32 vcc_lo, 2, v34
	s_wait_dscnt 0x1
	v_mov_b64_e32 v[34:35], v[36:37]
                                        ; implicit-def: $vgpr36_vgpr37
	s_cmp_lg_u32 vcc_lo, exec_lo
	s_cbranch_scc1 .LBB167_118
; %bb.120:                              ;   in Loop: Header=BB167_119 Depth=1
	global_load_u8 v42, v32, s[28:29] scope:SCOPE_DEV
	s_mov_b32 s16, exec_lo
	s_wait_loadcnt 0x0
	s_wait_xcnt 0x0
	v_cmpx_eq_u16_e32 0, v42
	s_cbranch_execz .LBB167_124
; %bb.121:                              ;   in Loop: Header=BB167_119 Depth=1
	v_add_nc_u64_e32 v[36:37], s[28:29], v[32:33]
	s_mov_b32 s17, 0
.LBB167_122:                            ;   Parent Loop BB167_119 Depth=1
                                        ; =>  This Inner Loop Header: Depth=2
	global_load_u8 v42, v[36:37], off scope:SCOPE_DEV
	s_wait_loadcnt 0x0
	v_cmp_ne_u16_e32 vcc_lo, 0, v42
	s_or_b32 s17, vcc_lo, s17
	s_wait_xcnt 0x0
	s_and_not1_b32 exec_lo, exec_lo, s17
	s_cbranch_execnz .LBB167_122
; %bb.123:                              ;   in Loop: Header=BB167_119 Depth=1
	s_or_b32 exec_lo, exec_lo, s17
.LBB167_124:                            ;   in Loop: Header=BB167_119 Depth=1
	s_delay_alu instid0(SALU_CYCLE_1)
	s_or_b32 exec_lo, exec_lo, s16
	v_dual_mov_b32 v36, s25 :: v_dual_mov_b32 v38, s24
	v_cmp_eq_u16_e32 vcc_lo, 1, v42
	global_wb scope:SCOPE_DEV
	s_wait_storecnt_dscnt 0x0
	global_inv scope:SCOPE_DEV
	s_mov_b32 s16, exec_lo
	v_cndmask_b32_e32 v37, s27, v36, vcc_lo
	v_cndmask_b32_e32 v36, s26, v38, vcc_lo
	v_cmp_eq_u16_e32 vcc_lo, 2, v42
	s_delay_alu instid0(VALU_DEP_2)
	v_lshl_add_u64 v[38:39], v[32:33], 4, v[36:37]
	v_and_or_b32 v55, vcc_lo, v44, 0x80000000
	s_clause 0x1
	global_load_u8 v54, v[38:39], off offset:8
	global_load_b64 v[36:37], v[38:39], off
	v_ctz_i32_b32_e32 v55, v55
	s_wait_loadcnt 0x1
	v_and_b32_e32 v56, 1, v54
	s_wait_loadcnt 0x0
	s_wait_xcnt 0x0
	ds_bpermute_b32 v38, v43, v36
	ds_bpermute_b32 v39, v43, v37
	;; [unrolled: 1-line block ×3, first 2 shown]
	v_cmpx_lt_u32_e64 v41, v55
	s_cbranch_execz .LBB167_126
; %bb.125:                              ;   in Loop: Header=BB167_119 Depth=1
	s_wait_dscnt 0x1
	v_max_i64 v[38:39], v[36:37], v[38:39]
	v_and_b32_e32 v56, 0xff, v54
	s_wait_dscnt 0x0
	v_bitop3_b16 v54, v57, v54, 1 bitop3:0xec
	s_delay_alu instid0(VALU_DEP_2) | instskip(NEXT) | instid1(VALU_DEP_2)
	v_cmp_eq_u16_e32 vcc_lo, 0, v56
	v_and_b32_e32 v56, 0xff, v54
	v_dual_cndmask_b32 v37, v37, v39 :: v_dual_cndmask_b32 v36, v36, v38
.LBB167_126:                            ;   in Loop: Header=BB167_119 Depth=1
	s_or_b32 exec_lo, exec_lo, s16
	s_wait_dscnt 0x2
	ds_bpermute_b32 v38, v45, v36
	s_wait_dscnt 0x2
	ds_bpermute_b32 v39, v45, v37
	;; [unrolled: 2-line block ×3, first 2 shown]
	v_and_b32_e32 v58, 1, v54
	s_mov_b32 s17, exec_lo
	s_delay_alu instid0(VALU_DEP_1)
	v_cmp_eq_u32_e64 s20, 1, v58
	v_cmpx_le_u32_e64 v46, v55
	s_cbranch_execz .LBB167_128
; %bb.127:                              ;   in Loop: Header=BB167_119 Depth=1
	s_wait_dscnt 0x1
	v_max_i64 v[38:39], v[36:37], v[38:39]
	v_and_b32_e32 v54, 0xff, v54
	s_delay_alu instid0(VALU_DEP_1) | instskip(SKIP_1) | instid1(VALU_DEP_1)
	v_cmp_eq_u16_e64 s16, 0, v54
	s_wait_dscnt 0x0
	v_dual_cndmask_b32 v37, v37, v39, s16 :: v_dual_bitop2_b32 v56, 1, v57 bitop3:0x40
	s_delay_alu instid0(VALU_DEP_1) | instskip(SKIP_3) | instid1(SALU_CYCLE_1)
	v_cmp_eq_u32_e32 vcc_lo, 1, v56
	v_cndmask_b32_e64 v36, v36, v38, s16
	s_and_not1_b32 s16, s20, exec_lo
	s_or_b32 s21, s20, vcc_lo
	v_cndmask_b32_e64 v54, 0, 1, s21
	v_cndmask_b32_e64 v56, 0, 1, s21
	s_and_b32 s20, s21, exec_lo
	s_delay_alu instid0(SALU_CYCLE_1)
	s_or_b32 s20, s16, s20
.LBB167_128:                            ;   in Loop: Header=BB167_119 Depth=1
	s_or_b32 exec_lo, exec_lo, s17
	s_wait_dscnt 0x2
	ds_bpermute_b32 v38, v47, v36
	s_wait_dscnt 0x2
	ds_bpermute_b32 v39, v47, v37
	;; [unrolled: 2-line block ×3, first 2 shown]
	s_mov_b32 s21, exec_lo
	v_cmpx_le_u32_e64 v48, v55
	s_cbranch_execz .LBB167_130
; %bb.129:                              ;   in Loop: Header=BB167_119 Depth=1
	s_wait_dscnt 0x1
	v_max_i64 v[38:39], v[36:37], v[38:39]
	v_and_b32_e32 v56, 1, v54
	v_and_b32_e32 v54, 0xff, v54
	s_delay_alu instid0(VALU_DEP_1) | instskip(SKIP_1) | instid1(VALU_DEP_1)
	v_cmp_eq_u16_e64 s17, 0, v54
	s_wait_dscnt 0x0
	v_dual_cndmask_b32 v36, v36, v38, s17 :: v_dual_bitop2_b32 v57, 1, v57 bitop3:0x40
	s_delay_alu instid0(VALU_DEP_1) | instskip(SKIP_4) | instid1(SALU_CYCLE_1)
	v_cmp_eq_u32_e64 s16, 1, v57
	v_cndmask_b32_e64 v37, v37, v39, s17
	v_cmp_eq_u32_e32 vcc_lo, 1, v56
	s_and_not1_b32 s17, s20, exec_lo
	s_or_b32 s16, vcc_lo, s16
	v_cndmask_b32_e64 v54, 0, 1, s16
	v_cndmask_b32_e64 v56, 0, 1, s16
	s_and_b32 s16, s16, exec_lo
	s_delay_alu instid0(SALU_CYCLE_1)
	s_or_b32 s20, s17, s16
.LBB167_130:                            ;   in Loop: Header=BB167_119 Depth=1
	s_or_b32 exec_lo, exec_lo, s21
	s_wait_dscnt 0x2
	ds_bpermute_b32 v38, v49, v36
	s_wait_dscnt 0x2
	ds_bpermute_b32 v39, v49, v37
	;; [unrolled: 2-line block ×3, first 2 shown]
	s_mov_b32 s21, exec_lo
	v_cmpx_le_u32_e64 v50, v55
	s_cbranch_execz .LBB167_132
; %bb.131:                              ;   in Loop: Header=BB167_119 Depth=1
	s_wait_dscnt 0x1
	v_max_i64 v[38:39], v[36:37], v[38:39]
	v_and_b32_e32 v56, 1, v54
	v_and_b32_e32 v54, 0xff, v54
	s_delay_alu instid0(VALU_DEP_1) | instskip(SKIP_1) | instid1(VALU_DEP_1)
	v_cmp_eq_u16_e64 s17, 0, v54
	s_wait_dscnt 0x0
	v_dual_cndmask_b32 v36, v36, v38, s17 :: v_dual_bitop2_b32 v57, 1, v57 bitop3:0x40
	s_delay_alu instid0(VALU_DEP_1) | instskip(SKIP_4) | instid1(SALU_CYCLE_1)
	v_cmp_eq_u32_e64 s16, 1, v57
	v_cndmask_b32_e64 v37, v37, v39, s17
	v_cmp_eq_u32_e32 vcc_lo, 1, v56
	s_and_not1_b32 s17, s20, exec_lo
	s_or_b32 s16, vcc_lo, s16
	v_cndmask_b32_e64 v54, 0, 1, s16
	v_cndmask_b32_e64 v56, 0, 1, s16
	s_and_b32 s16, s16, exec_lo
	s_delay_alu instid0(SALU_CYCLE_1)
	s_or_b32 s20, s17, s16
.LBB167_132:                            ;   in Loop: Header=BB167_119 Depth=1
	s_or_b32 exec_lo, exec_lo, s21
	s_wait_dscnt 0x2
	ds_bpermute_b32 v38, v51, v36
	s_wait_dscnt 0x2
	ds_bpermute_b32 v39, v51, v37
	ds_bpermute_b32 v56, v51, v56
	s_mov_b32 s21, exec_lo
	v_cmpx_le_u32_e64 v52, v55
	s_cbranch_execz .LBB167_117
; %bb.133:                              ;   in Loop: Header=BB167_119 Depth=1
	s_wait_dscnt 0x1
	v_max_i64 v[38:39], v[36:37], v[38:39]
	v_and_b32_e32 v55, 1, v54
	v_and_b32_e32 v54, 0xff, v54
	s_delay_alu instid0(VALU_DEP_1) | instskip(SKIP_1) | instid1(VALU_DEP_1)
	v_cmp_eq_u16_e64 s17, 0, v54
	s_wait_dscnt 0x0
	v_dual_cndmask_b32 v36, v36, v38, s17 :: v_dual_bitop2_b32 v56, 1, v56 bitop3:0x40
	s_delay_alu instid0(VALU_DEP_1) | instskip(SKIP_4) | instid1(SALU_CYCLE_1)
	v_cmp_eq_u32_e64 s16, 1, v56
	v_cndmask_b32_e64 v37, v37, v39, s17
	v_cmp_eq_u32_e32 vcc_lo, 1, v55
	s_and_not1_b32 s17, s20, exec_lo
	s_or_b32 s16, vcc_lo, s16
	s_and_b32 s16, s16, exec_lo
	s_delay_alu instid0(SALU_CYCLE_1)
	s_or_b32 s20, s17, s16
	s_branch .LBB167_117
.LBB167_134:
	s_or_b32 exec_lo, exec_lo, s15
                                        ; implicit-def: $vgpr6_vgpr7
	s_and_saveexec_b32 s15, s0
	s_cbranch_execz .LBB167_37
.LBB167_135:
	v_mov_b32_e32 v3, 0
	s_delay_alu instid0(VALU_DEP_1)
	v_sub_nc_u64_e32 v[6:7], s[16:17], v[2:3]
	flat_load_b64 v[6:7], v[6:7] offset:-2056
	s_wait_xcnt 0x0
	s_or_b32 exec_lo, exec_lo, s15
                                        ; implicit-def: $vgpr10_vgpr11
	s_and_saveexec_b32 s0, s1
	s_cbranch_execnz .LBB167_38
.LBB167_136:
	s_or_b32 exec_lo, exec_lo, s0
                                        ; implicit-def: $vgpr12_vgpr13
	s_and_saveexec_b32 s0, s4
	s_cbranch_execz .LBB167_39
.LBB167_137:
	v_mov_b32_e32 v3, 0
	s_delay_alu instid0(VALU_DEP_1)
	v_sub_nc_u64_e32 v[12:13], s[16:17], v[2:3]
	flat_load_b64 v[12:13], v[12:13] offset:-6152
	s_wait_xcnt 0x0
	s_or_b32 exec_lo, exec_lo, s0
                                        ; implicit-def: $vgpr14_vgpr15
	s_and_saveexec_b32 s0, s5
	s_cbranch_execnz .LBB167_40
.LBB167_138:
	s_or_b32 exec_lo, exec_lo, s0
                                        ; implicit-def: $vgpr16_vgpr17
	s_and_saveexec_b32 s0, s6
	s_cbranch_execz .LBB167_41
.LBB167_139:
	v_mov_b32_e32 v3, 0
	s_delay_alu instid0(VALU_DEP_1)
	v_sub_nc_u64_e32 v[16:17], s[16:17], v[2:3]
	flat_load_b64 v[16:17], v[16:17] offset:-10248
	s_wait_xcnt 0x0
	s_or_b32 exec_lo, exec_lo, s0
                                        ; implicit-def: $vgpr18_vgpr19
	s_and_saveexec_b32 s0, s7
	s_cbranch_execnz .LBB167_42
.LBB167_140:
	s_or_b32 exec_lo, exec_lo, s0
                                        ; implicit-def: $vgpr20_vgpr21
	s_and_saveexec_b32 s0, s8
	s_cbranch_execz .LBB167_43
.LBB167_141:
	v_mov_b32_e32 v3, 0
	s_delay_alu instid0(VALU_DEP_1)
	v_sub_nc_u64_e32 v[20:21], s[16:17], v[2:3]
	flat_load_b64 v[20:21], v[20:21] offset:-14344
	s_wait_xcnt 0x0
	s_or_b32 exec_lo, exec_lo, s0
                                        ; implicit-def: $vgpr22_vgpr23
	s_and_saveexec_b32 s0, s9
	s_cbranch_execnz .LBB167_44
.LBB167_142:
	s_or_b32 exec_lo, exec_lo, s0
                                        ; implicit-def: $vgpr24_vgpr25
	s_and_saveexec_b32 s0, s10
	s_cbranch_execz .LBB167_45
.LBB167_143:
	v_mov_b32_e32 v3, 0
	s_delay_alu instid0(VALU_DEP_1)
	v_sub_nc_u64_e32 v[24:25], s[16:17], v[2:3]
	flat_load_b64 v[24:25], v[24:25] offset:-18440
	s_wait_xcnt 0x0
	s_or_b32 exec_lo, exec_lo, s0
                                        ; implicit-def: $vgpr26_vgpr27
	s_and_saveexec_b32 s0, s11
	s_cbranch_execnz .LBB167_46
.LBB167_144:
	s_or_b32 exec_lo, exec_lo, s0
                                        ; implicit-def: $vgpr28_vgpr29
	s_and_saveexec_b32 s0, s12
	s_cbranch_execz .LBB167_47
.LBB167_145:
	v_mov_b32_e32 v3, 0
	s_delay_alu instid0(VALU_DEP_1)
	v_sub_nc_u64_e32 v[28:29], s[16:17], v[2:3]
	flat_load_b64 v[28:29], v[28:29] offset:-22536
	s_wait_xcnt 0x0
	s_or_b32 exec_lo, exec_lo, s0
                                        ; implicit-def: $vgpr30_vgpr31
	s_and_saveexec_b32 s0, s13
	s_cbranch_execz .LBB167_49
	s_branch .LBB167_48
.LBB167_146:
                                        ; implicit-def: $vgpr58_vgpr59
                                        ; implicit-def: $vgpr54_vgpr55
                                        ; implicit-def: $vgpr50_vgpr51
                                        ; implicit-def: $vgpr46_vgpr47
                                        ; implicit-def: $vgpr42_vgpr43
                                        ; implicit-def: $vgpr38_vgpr39
                                        ; implicit-def: $vgpr34_vgpr35
	s_cbranch_execnz .LBB167_152
	s_branch .LBB167_171
.LBB167_147:
	s_and_saveexec_b32 s16, s15
	s_cbranch_execz .LBB167_149
; %bb.148:
	v_max_i64 v[32:33], v[12:13], v[34:35]
	v_and_b32_e32 v36, 0xff, v40
	s_add_co_i32 s20, s36, 32
	s_mov_b32 s21, 0
	v_bitop3_b16 v37, v40, 1, v53 bitop3:0xc8
	v_mov_b32_e32 v38, 2
	v_cmp_eq_u32_e32 vcc_lo, 0, v36
	v_mov_b32_e32 v36, 0
	s_lshl_b64 s[22:23], s[20:21], 4
	v_dual_cndmask_b32 v13, v13, v33 :: v_dual_cndmask_b32 v12, v12, v32
	v_mov_b32_e32 v32, s20
	s_add_nc_u64 s[20:21], s[26:27], s[22:23]
	s_clause 0x1
	global_store_b64 v36, v[12:13], s[20:21]
	global_store_b8 v36, v37, s[20:21] offset:8
	global_wb scope:SCOPE_DEV
	s_wait_storecnt_dscnt 0x0
	global_inv scope:SCOPE_DEV
	s_wait_xcnt 0x0
	global_store_b8 v32, v38, s[28:29] scope:SCOPE_DEV
.LBB167_149:
	s_wait_xcnt 0x0
	s_or_b32 exec_lo, exec_lo, s16
	s_delay_alu instid0(SALU_CYCLE_1)
	s_and_b32 exec_lo, exec_lo, s2
	s_cbranch_execz .LBB167_151
; %bb.150:
	v_mov_b32_e32 v12, 0
	ds_store_b64 v12, v[34:35]
	ds_store_b8 v12, v53 offset:8
.LBB167_151:
	s_or_b32 exec_lo, exec_lo, s19
	s_wait_dscnt 0x0
	v_max_i64 v[4:5], v[2:3], v[4:5]
	v_and_b32_e32 v32, 0xff, v1
	s_wait_loadcnt 0x0
	s_wait_storecnt 0x0
	s_barrier_signal -1
	s_barrier_wait -1
	v_cmp_eq_u16_e32 vcc_lo, 0, v32
	v_dual_mov_b32 v12, 0 :: v_dual_bitop2_b32 v32, 1, v1 bitop3:0x40
	s_delay_alu instid0(VALU_DEP_4) | instskip(SKIP_3) | instid1(VALU_DEP_2)
	v_cndmask_b32_e32 v4, v2, v4, vcc_lo
	ds_load_b64 v[12:13], v12
	v_cndmask_b32_e32 v5, v3, v5, vcc_lo
	v_cmp_eq_u32_e32 vcc_lo, 1, v32
	v_dual_cndmask_b32 v4, v4, v2, s2 :: v_dual_cndmask_b32 v5, v5, v3, s2
	s_or_b32 s15, vcc_lo, s18
	s_delay_alu instid0(SALU_CYCLE_1) | instskip(NEXT) | instid1(VALU_DEP_1)
	v_cndmask_b32_e64 v32, 0, 1, s15
	v_cndmask_b32_e64 v32, v32, v1, s2
	s_delay_alu instid0(VALU_DEP_1) | instskip(SKIP_2) | instid1(VALU_DEP_2)
	v_and_b32_e32 v32, 0xff, v32
	s_wait_dscnt 0x0
	v_max_i64 v[12:13], v[4:5], v[12:13]
	v_cmp_eq_u16_e32 vcc_lo, 0, v32
	s_delay_alu instid0(VALU_DEP_2) | instskip(NEXT) | instid1(VALU_DEP_1)
	v_dual_cndmask_b32 v33, v5, v13 :: v_dual_cndmask_b32 v32, v4, v12
	v_max_i64 v[4:5], v[6:7], v[32:33]
	s_delay_alu instid0(VALU_DEP_1) | instskip(NEXT) | instid1(VALU_DEP_1)
	v_dual_cndmask_b32 v35, v7, v5, s1 :: v_dual_cndmask_b32 v34, v6, v4, s1
	v_max_i64 v[4:5], v[16:17], v[34:35]
	s_delay_alu instid0(VALU_DEP_1) | instskip(NEXT) | instid1(VALU_DEP_1)
	v_dual_cndmask_b32 v37, v17, v5, s4 :: v_dual_cndmask_b32 v36, v16, v4, s4
	;; [unrolled: 3-line block ×12, first 2 shown]
	v_max_i64 v[4:5], v[8:9], v[56:57]
	s_delay_alu instid0(VALU_DEP_1)
	v_dual_cndmask_b32 v59, v9, v5, s0 :: v_dual_cndmask_b32 v58, v8, v4, s0
	s_branch .LBB167_171
.LBB167_152:
	s_cmp_lg_u64 s[52:53], 0
	s_cselect_b32 s0, -1, 0
	s_cmp_lg_u64 s[46:47], 0
	s_cselect_b32 s1, -1, 0
	s_delay_alu instid0(SALU_CYCLE_1) | instskip(NEXT) | instid1(SALU_CYCLE_1)
	s_and_b32 s0, s0, s1
	s_and_b32 s1, s2, s0
	s_delay_alu instid0(SALU_CYCLE_1)
	s_and_saveexec_b32 s0, s1
	s_cbranch_execz .LBB167_154
; %bb.153:
	v_mov_b32_e32 v12, 0
	s_clause 0x1
	global_load_b64 v[4:5], v12, s[46:47]
	global_load_u8 v13, v12, s[46:47] offset:8
	s_wait_xcnt 0x0
	v_and_b32_e32 v12, 0xff, v1
	s_delay_alu instid0(VALU_DEP_1) | instskip(SKIP_4) | instid1(VALU_DEP_2)
	v_cmp_eq_u16_e32 vcc_lo, 0, v12
	s_wait_loadcnt 0x1
	v_max_i64 v[4:5], v[2:3], v[4:5]
	s_wait_loadcnt 0x0
	v_bitop3_b16 v1, v1, 1, v13 bitop3:0xc8
	v_dual_cndmask_b32 v3, v3, v5 :: v_dual_cndmask_b32 v2, v2, v4
.LBB167_154:
	s_or_b32 exec_lo, exec_lo, s0
	s_delay_alu instid0(VALU_DEP_1)
	v_max_i64 v[4:5], v[6:7], v[2:3]
	v_cmp_eq_u16_e32 vcc_lo, 0, v85
	v_cmp_eq_u16_e64 s0, 0, v81
	v_cmp_eq_u16_e64 s1, 0, v80
	;; [unrolled: 1-line block ×11, first 2 shown]
	v_cmp_ne_u16_e64 s13, 0, v67
	v_cmp_eq_u32_e64 s15, 1, v64
	v_cmp_ne_u16_e64 s18, 0, v70
	v_cmp_eq_u32_e64 s19, 1, v60
	v_bitop3_b16 v12, v1, 0xff, v84 bitop3:0xc8
	v_cmp_ne_u16_e64 s16, 0, v68
	v_cmp_eq_u32_e64 s17, 1, v61
	v_cmp_ne_u16_e64 s20, 0, v69
	s_or_b32 s15, s13, s15
	s_or_b32 s13, s18, s19
	v_cmp_eq_u32_e64 s14, 1, v65
	v_cmp_ne_u16_e64 s21, 0, v12
	s_or_b32 s16, s16, s17
	s_or_b32 s17, s20, s13
	v_and_b32_e32 v13, 0x70, v66
	s_or_b32 s16, s17, s16
	v_cmp_eq_u16_e64 s13, 0, v63
	s_or_b32 s14, s21, s14
	s_or_b32 s15, s16, s15
	v_dual_cndmask_b32 v35, v7, v5 :: v_dual_cndmask_b32 v34, v6, v4
	s_or_b32 s14, s15, s14
	v_lshl_add_u32 v12, v0, 4, v13
	v_cndmask_b32_e64 v61, 0, 1, s14
	s_mov_b32 s17, exec_lo
	v_max_i64 v[4:5], v[16:17], v[34:35]
	s_delay_alu instid0(VALU_DEP_1) | instskip(NEXT) | instid1(VALU_DEP_1)
	v_dual_cndmask_b32 v37, v17, v5, s0 :: v_dual_cndmask_b32 v36, v16, v4, s0
	v_max_i64 v[4:5], v[14:15], v[36:37]
	s_delay_alu instid0(VALU_DEP_1) | instskip(NEXT) | instid1(VALU_DEP_1)
	v_dual_cndmask_b32 v39, v15, v5, s1 :: v_dual_cndmask_b32 v38, v14, v4, s1
	;; [unrolled: 3-line block ×11, first 2 shown]
	v_max_i64 v[4:5], v[8:9], v[56:57]
	s_delay_alu instid0(VALU_DEP_1)
	v_dual_cndmask_b32 v59, v9, v5, s13 :: v_dual_cndmask_b32 v58, v8, v4, s13
	ds_store_b64 v12, v[58:59]
	ds_store_b8 v12, v61 offset:8
	s_wait_dscnt 0x0
	s_barrier_signal -1
	s_barrier_wait -1
	v_cmpx_gt_u32_e32 32, v0
	s_cbranch_execz .LBB167_166
; %bb.155:
	v_dual_lshlrev_b32 v4, 2, v0 :: v_dual_lshlrev_b32 v5, 7, v0
	s_mov_b32 s16, exec_lo
	s_delay_alu instid0(VALU_DEP_1) | instskip(NEXT) | instid1(VALU_DEP_1)
	v_and_b32_e32 v4, 0x3f0, v4
	v_add_nc_u32_e32 v60, v4, v5
	ds_load_2addr_b64 v[64:67], v60 offset0:2 offset1:4
	ds_load_b64 v[4:5], v60
	ds_load_b32 v63, v60 offset:8
	ds_load_u8 v72, v60 offset:24
	ds_load_u8 v73, v60 offset:40
	;; [unrolled: 1-line block ×6, first 2 shown]
	s_wait_dscnt 0x7
	v_max_i64 v[12:13], v[64:65], v[4:5]
	s_wait_dscnt 0x5
	v_cmp_eq_u16_e64 s14, 0, v72
	s_delay_alu instid0(VALU_DEP_1) | instskip(SKIP_2) | instid1(VALU_DEP_2)
	v_dual_cndmask_b32 v13, v65, v13, s14 :: v_dual_cndmask_b32 v12, v64, v12, s14
	s_wait_dscnt 0x4
	v_cmp_eq_u16_e64 s14, 0, v73
	v_max_i64 v[12:13], v[66:67], v[12:13]
	s_delay_alu instid0(VALU_DEP_1)
	v_cndmask_b32_e64 v12, v66, v12, s14
	ds_load_2addr_b64 v[68:71], v60 offset0:6 offset1:8
	v_cndmask_b32_e64 v13, v67, v13, s14
	s_wait_dscnt 0x4
	v_cmp_eq_u16_e64 s14, 0, v74
	ds_load_2addr_b64 v[64:67], v60 offset0:10 offset1:12
	s_wait_dscnt 0x1
	v_max_i64 v[12:13], v[68:69], v[12:13]
	s_delay_alu instid0(VALU_DEP_1) | instskip(SKIP_1) | instid1(VALU_DEP_2)
	v_dual_cndmask_b32 v13, v69, v13, s14 :: v_dual_cndmask_b32 v12, v68, v12, s14
	v_cmp_eq_u16_e64 s14, 0, v75
	v_max_i64 v[12:13], v[70:71], v[12:13]
	s_delay_alu instid0(VALU_DEP_1) | instskip(SKIP_2) | instid1(VALU_DEP_2)
	v_dual_cndmask_b32 v13, v71, v13, s14 :: v_dual_cndmask_b32 v12, v70, v12, s14
	v_cmp_eq_u16_e64 s14, 0, v76
	s_wait_dscnt 0x0
	v_max_i64 v[12:13], v[64:65], v[12:13]
	s_delay_alu instid0(VALU_DEP_1)
	v_dual_cndmask_b32 v13, v65, v13, s14 :: v_dual_cndmask_b32 v12, v64, v12, s14
	ds_load_b64 v[32:33], v60 offset:112
	ds_load_u8 v65, v60 offset:120
	v_cmp_eq_u16_e64 s14, 0, v77
	v_bitop3_b16 v64, v73, v74, v72 bitop3:0xfe
	v_max_i64 v[12:13], v[66:67], v[12:13]
	s_delay_alu instid0(VALU_DEP_1) | instskip(SKIP_2) | instid1(VALU_DEP_1)
	v_dual_cndmask_b32 v13, v67, v13, s14 :: v_dual_cndmask_b32 v12, v66, v12, s14
	v_bitop3_b16 v66, v76, v77, v75 bitop3:0xfe
	s_wait_dscnt 0x0
	v_bitop3_b16 v64, v65, v64, v66 bitop3:0xfe
	v_and_b32_e32 v66, 1, v63
	v_max_i64 v[12:13], v[32:33], v[12:13]
	s_delay_alu instid0(VALU_DEP_3) | instskip(NEXT) | instid1(VALU_DEP_3)
	v_and_b32_e32 v64, 1, v64
	v_cmp_eq_u32_e64 s14, 1, v66
	s_delay_alu instid0(VALU_DEP_2)
	v_cmp_eq_u32_e64 s15, 1, v64
	v_and_b32_e32 v64, 0xffffff00, v63
	s_or_b32 s14, s15, s14
	v_cmp_eq_u16_e64 s15, 0, v65
	v_cndmask_b32_e64 v67, 0, 1, s14
	v_mbcnt_lo_u32_b32 v65, -1, 0
	v_cndmask_b32_e64 v66, 0, 1, s14
	s_delay_alu instid0(VALU_DEP_3) | instskip(NEXT) | instid1(VALU_DEP_3)
	v_or_b32_e32 v68, v64, v67
	v_and_b32_e32 v67, 15, v65
	s_delay_alu instid0(VALU_DEP_2) | instskip(SKIP_1) | instid1(VALU_DEP_1)
	v_mov_b32_dpp v69, v68 row_shr:1 row_mask:0xf bank_mask:0xf
	v_dual_cndmask_b32 v13, v33, v13, s15 :: v_dual_cndmask_b32 v12, v32, v12, s15
	v_mov_b32_dpp v33, v13 row_shr:1 row_mask:0xf bank_mask:0xf
	s_delay_alu instid0(VALU_DEP_2)
	v_mov_b32_dpp v32, v12 row_shr:1 row_mask:0xf bank_mask:0xf
	v_cmpx_ne_u32_e32 0, v67
	s_cbranch_execz .LBB167_157
; %bb.156:
	s_delay_alu instid0(VALU_DEP_2) | instskip(SKIP_1) | instid1(VALU_DEP_1)
	v_max_i64 v[32:33], v[12:13], v[32:33]
	v_bitop3_b16 v66, v69, v66, 1 bitop3:0xec
	v_and_b32_e32 v68, 0xffff, v66
	s_delay_alu instid0(VALU_DEP_1) | instskip(NEXT) | instid1(VALU_DEP_4)
	v_dual_cndmask_b32 v13, v33, v13, s14 :: v_dual_bitop2_b32 v68, v64, v68 bitop3:0x54
	v_cndmask_b32_e64 v12, v32, v12, s14
.LBB167_157:
	s_or_b32 exec_lo, exec_lo, s16
	s_delay_alu instid0(VALU_DEP_1) | instskip(NEXT) | instid1(VALU_DEP_3)
	v_mov_b32_dpp v32, v12 row_shr:2 row_mask:0xf bank_mask:0xf
	v_mov_b32_dpp v33, v13 row_shr:2 row_mask:0xf bank_mask:0xf
	;; [unrolled: 1-line block ×3, first 2 shown]
	s_mov_b32 s18, exec_lo
	v_cmpx_lt_u32_e32 1, v67
	s_cbranch_execz .LBB167_159
; %bb.158:
	v_max_i64 v[32:33], v[12:13], v[32:33]
	v_cmp_eq_u16_e64 s16, 0, v66
	v_and_b32_e32 v68, 1, v66
	s_delay_alu instid0(VALU_DEP_2) | instskip(NEXT) | instid1(VALU_DEP_1)
	v_dual_cndmask_b32 v12, v12, v32, s16 :: v_dual_bitop2_b32 v69, 1, v69 bitop3:0x40
	v_cmp_eq_u32_e64 s15, 1, v69
	v_cndmask_b32_e64 v13, v13, v33, s16
	s_delay_alu instid0(VALU_DEP_4) | instskip(SKIP_1) | instid1(SALU_CYCLE_1)
	v_cmp_eq_u32_e64 s14, 1, v68
	s_or_b32 s14, s14, s15
	v_cndmask_b32_e64 v68, 0, 1, s14
	v_cndmask_b32_e64 v66, 0, 1, s14
	s_delay_alu instid0(VALU_DEP_2)
	v_or_b32_e32 v68, v64, v68
.LBB167_159:
	s_or_b32 exec_lo, exec_lo, s18
	v_mov_b32_dpp v32, v12 row_shr:4 row_mask:0xf bank_mask:0xf
	v_mov_b32_dpp v33, v13 row_shr:4 row_mask:0xf bank_mask:0xf
	s_delay_alu instid0(VALU_DEP_3)
	v_mov_b32_dpp v69, v68 row_shr:4 row_mask:0xf bank_mask:0xf
	s_mov_b32 s18, exec_lo
	v_cmpx_lt_u32_e32 3, v67
	s_cbranch_execz .LBB167_161
; %bb.160:
	v_max_i64 v[32:33], v[12:13], v[32:33]
	v_cmp_eq_u16_e64 s16, 0, v66
	v_and_b32_e32 v68, 1, v66
	s_delay_alu instid0(VALU_DEP_2) | instskip(NEXT) | instid1(VALU_DEP_1)
	v_dual_cndmask_b32 v12, v12, v32, s16 :: v_dual_bitop2_b32 v69, 1, v69 bitop3:0x40
	v_cmp_eq_u32_e64 s15, 1, v69
	v_cndmask_b32_e64 v13, v13, v33, s16
	s_delay_alu instid0(VALU_DEP_4) | instskip(SKIP_1) | instid1(SALU_CYCLE_1)
	v_cmp_eq_u32_e64 s14, 1, v68
	s_or_b32 s14, s14, s15
	v_cndmask_b32_e64 v68, 0, 1, s14
	v_cndmask_b32_e64 v66, 0, 1, s14
	s_delay_alu instid0(VALU_DEP_2)
	v_or_b32_e32 v68, v64, v68
.LBB167_161:
	s_or_b32 exec_lo, exec_lo, s18
	v_mov_b32_dpp v32, v12 row_shr:8 row_mask:0xf bank_mask:0xf
	v_mov_b32_dpp v33, v13 row_shr:8 row_mask:0xf bank_mask:0xf
	s_delay_alu instid0(VALU_DEP_3)
	v_mov_b32_dpp v69, v68 row_shr:8 row_mask:0xf bank_mask:0xf
	s_mov_b32 s18, exec_lo
	v_cmpx_lt_u32_e32 7, v67
	s_cbranch_execz .LBB167_163
; %bb.162:
	v_max_i64 v[32:33], v[12:13], v[32:33]
	v_cmp_eq_u16_e64 s16, 0, v66
	v_and_b32_e32 v67, 1, v66
	s_delay_alu instid0(VALU_DEP_2) | instskip(NEXT) | instid1(VALU_DEP_1)
	v_dual_cndmask_b32 v12, v12, v32, s16 :: v_dual_bitop2_b32 v68, 1, v69 bitop3:0x40
	v_cmp_eq_u32_e64 s15, 1, v68
	v_cndmask_b32_e64 v13, v13, v33, s16
	s_delay_alu instid0(VALU_DEP_4) | instskip(SKIP_1) | instid1(SALU_CYCLE_1)
	v_cmp_eq_u32_e64 s14, 1, v67
	s_or_b32 s14, s14, s15
	v_cndmask_b32_e64 v67, 0, 1, s14
	v_cndmask_b32_e64 v66, 0, 1, s14
	s_delay_alu instid0(VALU_DEP_2)
	v_or_b32_e32 v68, v64, v67
.LBB167_163:
	s_or_b32 exec_lo, exec_lo, s18
	ds_swizzle_b32 v32, v12 offset:swizzle(BROADCAST,32,15)
	ds_swizzle_b32 v33, v13 offset:swizzle(BROADCAST,32,15)
	;; [unrolled: 1-line block ×3, first 2 shown]
	v_and_b32_e32 v68, 16, v65
	s_mov_b32 s18, exec_lo
	s_delay_alu instid0(VALU_DEP_1)
	v_cmpx_ne_u32_e32 0, v68
	s_cbranch_execz .LBB167_165
; %bb.164:
	s_wait_dscnt 0x1
	v_max_i64 v[32:33], v[12:13], v[32:33]
	v_cmp_eq_u16_e64 s14, 0, v66
	v_and_b32_e32 v68, 1, v66
	s_wait_dscnt 0x0
	s_delay_alu instid0(VALU_DEP_2) | instskip(NEXT) | instid1(VALU_DEP_1)
	v_dual_cndmask_b32 v13, v13, v33, s14 :: v_dual_bitop2_b32 v67, 1, v67 bitop3:0x40
	v_cmp_eq_u32_e64 s16, 1, v67
	v_cndmask_b32_e64 v12, v12, v32, s14
	v_cmp_eq_u32_e64 s15, 1, v68
	s_or_b32 s14, s15, s16
	s_delay_alu instid0(SALU_CYCLE_1)
	v_cndmask_b32_e64 v66, 0, 1, s14
.LBB167_165:
	s_or_b32 exec_lo, exec_lo, s18
	s_wait_dscnt 0x2
	v_add_nc_u32_e32 v32, -1, v65
	s_wait_dscnt 0x1
	v_and_b32_e32 v33, 0xffff, v66
	; wave barrier
	s_delay_alu instid0(VALU_DEP_2) | instskip(NEXT) | instid1(VALU_DEP_2)
	v_cmp_gt_i32_e64 s14, 0, v32
	v_or_b32_e32 v33, v64, v33
	s_delay_alu instid0(VALU_DEP_2) | instskip(NEXT) | instid1(VALU_DEP_1)
	v_cndmask_b32_e64 v32, v32, v65, s14
	v_lshlrev_b32_e32 v32, 2, v32
	ds_bpermute_b32 v12, v32, v12
	ds_bpermute_b32 v13, v32, v13
	;; [unrolled: 1-line block ×3, first 2 shown]
	v_and_b32_e32 v33, 0xff, v63
	s_delay_alu instid0(VALU_DEP_1) | instskip(SKIP_3) | instid1(VALU_DEP_1)
	v_cmp_eq_u32_e64 s14, 0, v33
	s_wait_dscnt 0x1
	v_max_i64 v[12:13], v[4:5], v[12:13]
	s_wait_dscnt 0x0
	v_dual_cndmask_b32 v5, v5, v13, s14 :: v_dual_bitop2_b32 v32, v32, v63 bitop3:0x54
	s_delay_alu instid0(VALU_DEP_2) | instskip(NEXT) | instid1(VALU_DEP_2)
	v_cndmask_b32_e64 v4, v4, v12, s14
	v_dual_cndmask_b32 v5, v5, v59, s2 :: v_dual_bitop2_b32 v12, 1, v32 bitop3:0x40
	s_delay_alu instid0(VALU_DEP_2) | instskip(NEXT) | instid1(VALU_DEP_2)
	v_cndmask_b32_e64 v4, v4, v58, s2
	v_cndmask_b32_e64 v61, v12, v61, s2
	ds_store_b64 v60, v[4:5]
	ds_store_b8 v60, v61 offset:8
	; wave barrier
	ds_load_2addr_b64 v[64:67], v60 offset0:2 offset1:4
	ds_load_u8 v63, v60 offset:24
	ds_load_u8 v74, v60 offset:40
	;; [unrolled: 1-line block ×6, first 2 shown]
	ds_load_b64 v[12:13], v60 offset:112
	ds_load_u8 v79, v60 offset:120
	ds_load_2addr_b64 v[68:71], v60 offset0:6 offset1:8
	s_wait_dscnt 0x8
	v_and_b32_e32 v32, 0xff, v63
	s_wait_dscnt 0x5
	v_and_b32_e32 v80, 0xff, v76
	s_delay_alu instid0(VALU_DEP_2) | instskip(SKIP_1) | instid1(VALU_DEP_1)
	v_cmp_eq_u16_e64 s14, 0, v32
	v_max_i64 v[4:5], v[64:65], v[4:5]
	v_dual_cndmask_b32 v5, v65, v5, s14 :: v_dual_cndmask_b32 v4, v64, v4, s14
	v_and_b32_e32 v64, 0xff, v74
	s_delay_alu instid0(VALU_DEP_2) | instskip(NEXT) | instid1(VALU_DEP_2)
	v_max_i64 v[32:33], v[66:67], v[4:5]
	v_cmp_eq_u16_e64 s14, 0, v64
	s_delay_alu instid0(VALU_DEP_1) | instskip(SKIP_3) | instid1(VALU_DEP_3)
	v_dual_cndmask_b32 v33, v67, v33, s14 :: v_dual_cndmask_b32 v32, v66, v32, s14
	v_and_b32_e32 v66, 0xff, v75
	v_bitop3_b16 v81, v74, v63, v61 bitop3:0xfe
	s_wait_dscnt 0x0
	v_max_i64 v[64:65], v[68:69], v[32:33]
	s_delay_alu instid0(VALU_DEP_3) | instskip(NEXT) | instid1(VALU_DEP_3)
	v_cmp_eq_u16_e64 s14, 0, v66
	v_bitop3_b16 v85, v76, v75, v81 bitop3:0xfe
	s_delay_alu instid0(VALU_DEP_2) | instskip(SKIP_4) | instid1(VALU_DEP_1)
	v_dual_cndmask_b32 v69, v69, v65, s14 :: v_dual_cndmask_b32 v68, v68, v64, s14
	ds_load_2addr_b64 v[64:67], v60 offset0:10 offset1:12
	v_cmp_eq_u16_e64 s14, 0, v80
	v_and_b32_e32 v80, 0xff, v77
	v_max_i64 v[72:73], v[70:71], v[68:69]
	v_dual_cndmask_b32 v71, v71, v73, s14 :: v_dual_cndmask_b32 v70, v70, v72, s14
	s_delay_alu instid0(VALU_DEP_3) | instskip(SKIP_2) | instid1(VALU_DEP_3)
	v_cmp_eq_u16_e64 s14, 0, v80
	v_and_b32_e32 v80, 0xff, v78
	s_wait_dscnt 0x0
	v_max_i64 v[72:73], v[64:65], v[70:71]
	s_delay_alu instid0(VALU_DEP_1) | instskip(NEXT) | instid1(VALU_DEP_3)
	v_dual_cndmask_b32 v65, v65, v73, s14 :: v_dual_cndmask_b32 v64, v64, v72, s14
	v_cmp_eq_u16_e64 s14, 0, v80
	v_or_b32_e32 v80, v63, v61
	v_bitop3_b16 v61, v63, 1, v61 bitop3:0xc8
	s_delay_alu instid0(VALU_DEP_4) | instskip(NEXT) | instid1(VALU_DEP_3)
	v_max_i64 v[72:73], v[66:67], v[64:65]
	v_bitop3_b16 v84, v75, v74, v80 bitop3:0xfe
	v_bitop3_b16 v63, v74, 1, v80 bitop3:0xc8
	;; [unrolled: 1-line block ×4, first 2 shown]
	s_delay_alu instid0(VALU_DEP_4) | instskip(SKIP_2) | instid1(VALU_DEP_3)
	v_bitop3_b16 v74, v77, v76, v84 bitop3:0xfe
	v_bitop3_b16 v76, v76, 1, v84 bitop3:0xc8
	;; [unrolled: 1-line block ×5, first 2 shown]
	v_dual_cndmask_b32 v67, v67, v73, s14 :: v_dual_cndmask_b32 v66, v66, v72, s14
	v_cmp_eq_u16_e64 s14, 0, v79
	ds_store_2addr_b64 v60, v[4:5], v[32:33] offset0:2 offset1:4
	ds_store_2addr_b64 v60, v[68:69], v[70:71] offset0:6 offset1:8
	;; [unrolled: 1-line block ×3, first 2 shown]
	v_max_i64 v[72:73], v[12:13], v[66:67]
	s_delay_alu instid0(VALU_DEP_1)
	v_dual_cndmask_b32 v5, v13, v73, s14 :: v_dual_cndmask_b32 v4, v12, v72, s14
	ds_store_b8 v60, v61 offset:24
	ds_store_b8 v60, v63 offset:40
	;; [unrolled: 1-line block ×6, first 2 shown]
	ds_store_b64 v60, v[4:5] offset:112
	ds_store_b8 v60, v78 offset:120
.LBB167_166:
	s_or_b32 exec_lo, exec_lo, s17
	s_wait_dscnt 0x0
	s_barrier_signal -1
	s_barrier_wait -1
	s_and_saveexec_b32 s14, s3
	s_cbranch_execz .LBB167_168
; %bb.167:
	v_and_b32_e32 v1, 0xff, v1
	s_delay_alu instid0(VALU_DEP_1) | instskip(SKIP_1) | instid1(VALU_DEP_1)
	v_cmp_eq_u16_e64 s3, 0, v1
	v_add_nc_u32_e32 v4, -1, v0
	v_lshrrev_b32_e32 v5, 1, v4
	s_delay_alu instid0(VALU_DEP_1) | instskip(NEXT) | instid1(VALU_DEP_1)
	v_and_b32_e32 v5, 0x7ffffff0, v5
	v_lshl_add_u32 v4, v4, 4, v5
	ds_load_b64 v[4:5], v4
	;;#ASMSTART
	;;#ASMEND
	s_wait_dscnt 0x0
	v_max_i64 v[4:5], v[2:3], v[4:5]
	s_delay_alu instid0(VALU_DEP_1) | instskip(NEXT) | instid1(VALU_DEP_1)
	v_dual_cndmask_b32 v3, v3, v5, s3 :: v_dual_cndmask_b32 v2, v2, v4, s3
	v_max_i64 v[4:5], v[6:7], v[2:3]
	s_delay_alu instid0(VALU_DEP_1) | instskip(NEXT) | instid1(VALU_DEP_1)
	v_dual_cndmask_b32 v35, v7, v5 :: v_dual_cndmask_b32 v34, v6, v4
	v_max_i64 v[4:5], v[16:17], v[34:35]
	s_delay_alu instid0(VALU_DEP_1) | instskip(NEXT) | instid1(VALU_DEP_1)
	v_dual_cndmask_b32 v37, v17, v5, s0 :: v_dual_cndmask_b32 v36, v16, v4, s0
	v_max_i64 v[4:5], v[14:15], v[36:37]
	s_delay_alu instid0(VALU_DEP_1) | instskip(NEXT) | instid1(VALU_DEP_1)
	v_dual_cndmask_b32 v39, v15, v5, s1 :: v_dual_cndmask_b32 v38, v14, v4, s1
	v_max_i64 v[4:5], v[20:21], v[38:39]
	s_delay_alu instid0(VALU_DEP_1) | instskip(NEXT) | instid1(VALU_DEP_1)
	v_dual_cndmask_b32 v41, v21, v5, s4 :: v_dual_cndmask_b32 v40, v20, v4, s4
	v_max_i64 v[4:5], v[18:19], v[40:41]
	s_delay_alu instid0(VALU_DEP_1) | instskip(NEXT) | instid1(VALU_DEP_1)
	v_dual_cndmask_b32 v43, v19, v5, s5 :: v_dual_cndmask_b32 v42, v18, v4, s5
	v_max_i64 v[4:5], v[28:29], v[42:43]
	s_delay_alu instid0(VALU_DEP_1) | instskip(NEXT) | instid1(VALU_DEP_1)
	v_dual_cndmask_b32 v45, v29, v5, s6 :: v_dual_cndmask_b32 v44, v28, v4, s6
	v_max_i64 v[4:5], v[26:27], v[44:45]
	s_delay_alu instid0(VALU_DEP_1) | instskip(NEXT) | instid1(VALU_DEP_1)
	v_dual_cndmask_b32 v47, v27, v5, s7 :: v_dual_cndmask_b32 v46, v26, v4, s7
	v_max_i64 v[4:5], v[82:83], v[46:47]
	s_delay_alu instid0(VALU_DEP_1) | instskip(NEXT) | instid1(VALU_DEP_1)
	v_dual_cndmask_b32 v49, v83, v5, s8 :: v_dual_cndmask_b32 v48, v82, v4, s8
	v_max_i64 v[4:5], v[30:31], v[48:49]
	s_delay_alu instid0(VALU_DEP_1) | instskip(NEXT) | instid1(VALU_DEP_1)
	v_dual_cndmask_b32 v51, v31, v5, s9 :: v_dual_cndmask_b32 v50, v30, v4, s9
	v_max_i64 v[4:5], v[24:25], v[50:51]
	s_delay_alu instid0(VALU_DEP_1) | instskip(NEXT) | instid1(VALU_DEP_1)
	v_dual_cndmask_b32 v53, v25, v5, s10 :: v_dual_cndmask_b32 v52, v24, v4, s10
	v_max_i64 v[4:5], v[22:23], v[52:53]
	s_delay_alu instid0(VALU_DEP_1) | instskip(NEXT) | instid1(VALU_DEP_1)
	v_dual_cndmask_b32 v55, v23, v5, s11 :: v_dual_cndmask_b32 v54, v22, v4, s11
	v_max_i64 v[4:5], v[10:11], v[54:55]
	s_delay_alu instid0(VALU_DEP_1) | instskip(NEXT) | instid1(VALU_DEP_1)
	v_dual_cndmask_b32 v57, v11, v5, s12 :: v_dual_cndmask_b32 v56, v10, v4, s12
	v_max_i64 v[4:5], v[8:9], v[56:57]
	s_delay_alu instid0(VALU_DEP_1)
	v_dual_cndmask_b32 v59, v9, v5, s13 :: v_dual_cndmask_b32 v58, v8, v4, s13
.LBB167_168:
	s_or_b32 exec_lo, exec_lo, s14
	s_and_saveexec_b32 s0, s2
	s_cbranch_execz .LBB167_170
; %bb.169:
	v_dual_mov_b32 v1, 0 :: v_dual_mov_b32 v7, 2
	ds_load_b64 v[4:5], v1 offset:4192
	ds_load_u8 v6, v1 offset:4200
	s_wait_dscnt 0x1
	global_store_b64 v1, v[4:5], s[26:27] offset:512
	s_wait_dscnt 0x0
	global_store_b8 v1, v6, s[26:27] offset:520
	global_wb scope:SCOPE_DEV
	s_wait_storecnt 0x0
	global_inv scope:SCOPE_DEV
	s_wait_xcnt 0x0
	global_store_b8 v1, v7, s[28:29] offset:32 scope:SCOPE_DEV
.LBB167_170:
	s_wait_xcnt 0x0
	s_or_b32 exec_lo, exec_lo, s0
	v_mov_b64_e32 v[32:33], v[2:3]
.LBB167_171:
	s_sub_nc_u64 s[2:3], 0, s[38:39]
	s_sub_nc_u64 s[0:1], 0, s[34:35]
	s_lshl_b64 s[2:3], s[2:3], 3
	s_lshl_b64 s[0:1], s[0:1], 3
	s_add_nc_u64 s[2:3], s[42:43], s[2:3]
	s_and_b32 vcc_lo, exec_lo, s31
	s_add_nc_u64 s[0:1], s[2:3], s[0:1]
	s_cbranch_vccz .LBB167_219
; %bb.172:
	v_mul_u32_u24_e32 v1, 14, v0
	s_add_co_i32 s33, s33, s30
	s_mov_b32 s2, exec_lo
	s_delay_alu instid0(VALU_DEP_1)
	v_cmpx_gt_u32_e64 s33, v1
	s_cbranch_execz .LBB167_192
; %bb.173:
	v_or_b32_e32 v2, 1, v1
	s_mov_b32 s3, exec_lo
	s_delay_alu instid0(VALU_DEP_1)
	v_cmpx_gt_u32_e64 s33, v2
	s_cbranch_execz .LBB167_191
; %bb.174:
	v_add_nc_u32_e32 v2, 2, v1
	s_mov_b32 s4, exec_lo
	s_delay_alu instid0(VALU_DEP_1)
	v_cmpx_gt_u32_e64 s33, v2
	s_cbranch_execz .LBB167_190
; %bb.175:
	v_add_nc_u32_e32 v2, 3, v1
	;; [unrolled: 6-line block ×8, first 2 shown]
	s_mov_b32 s11, exec_lo
	s_delay_alu instid0(VALU_DEP_1)
	v_cmpx_gt_u32_e64 s33, v2
; %bb.182:
	v_add_nc_u32_e32 v2, 10, v1
	s_mov_b32 s12, exec_lo
	s_delay_alu instid0(VALU_DEP_1)
	v_cmpx_gt_u32_e64 s33, v2
	s_or_b32 exec_lo, exec_lo, s12
; %bb.183:
	s_delay_alu instid0(SALU_CYCLE_1)
	s_or_b32 exec_lo, exec_lo, s11
.LBB167_184:
	s_delay_alu instid0(SALU_CYCLE_1)
	s_or_b32 exec_lo, exec_lo, s10
.LBB167_185:
	s_delay_alu instid0(SALU_CYCLE_1)
	s_or_b32 exec_lo, exec_lo, s9
.LBB167_186:
	s_delay_alu instid0(SALU_CYCLE_1)
	s_or_b32 exec_lo, exec_lo, s8
.LBB167_187:
	s_delay_alu instid0(SALU_CYCLE_1)
	s_or_b32 exec_lo, exec_lo, s7
.LBB167_188:
	s_delay_alu instid0(SALU_CYCLE_1)
	s_or_b32 exec_lo, exec_lo, s6
.LBB167_189:
	s_delay_alu instid0(SALU_CYCLE_1)
	s_or_b32 exec_lo, exec_lo, s5
.LBB167_190:
	s_delay_alu instid0(SALU_CYCLE_1)
	s_or_b32 exec_lo, exec_lo, s4
.LBB167_191:
	s_delay_alu instid0(SALU_CYCLE_1)
	s_or_b32 exec_lo, exec_lo, s3
.LBB167_192:
	s_delay_alu instid0(SALU_CYCLE_1)
	s_or_b32 exec_lo, exec_lo, s2
	v_lshlrev_b32_e32 v30, 3, v1
	s_wait_loadcnt 0x0
	s_wait_storecnt 0x0
	s_barrier_signal -1
	s_barrier_wait -1
	v_mad_i32_i24 v1, 0xffffff98, v0, v30
	ds_store_b128 v30, v[32:35]
	ds_store_b128 v30, v[36:39] offset:16
	ds_store_b128 v30, v[40:43] offset:32
	;; [unrolled: 1-line block ×6, first 2 shown]
	s_wait_dscnt 0x0
	s_barrier_signal -1
	s_barrier_wait -1
	ds_load_2addr_stride64_b64 v[26:29], v1 offset0:4 offset1:8
	ds_load_2addr_stride64_b64 v[22:25], v1 offset0:12 offset1:16
	;; [unrolled: 1-line block ×6, first 2 shown]
	ds_load_b64 v[4:5], v1 offset:26624
	v_mov_b32_e32 v1, 0
	s_mov_b32 s2, exec_lo
	s_delay_alu instid0(VALU_DEP_1) | instskip(NEXT) | instid1(VALU_DEP_1)
	v_mov_b32_e32 v63, v1
	v_sub_nc_u64_e32 v[2:3], s[0:1], v[62:63]
	v_cmpx_gt_u32_e64 s33, v0
	s_cbranch_execz .LBB167_194
; %bb.193:
	v_mul_i32_i24_e32 v31, 0xffffff98, v0
	s_delay_alu instid0(VALU_DEP_1)
	v_add_nc_u32_e32 v30, v30, v31
	ds_load_b64 v[30:31], v30
	s_wait_dscnt 0x0
	flat_store_b64 v[2:3], v[30:31] offset:-8
.LBB167_194:
	s_wait_xcnt 0x0
	s_or_b32 exec_lo, exec_lo, s2
	v_or_b32_e32 v30, 0x100, v0
	s_mov_b32 s2, exec_lo
	s_delay_alu instid0(VALU_DEP_1)
	v_cmpx_gt_u32_e64 s33, v30
	s_cbranch_execz .LBB167_196
; %bb.195:
	s_wait_dscnt 0x6
	flat_store_b64 v[2:3], v[26:27] offset:-2056
.LBB167_196:
	s_wait_xcnt 0x0
	s_or_b32 exec_lo, exec_lo, s2
	s_wait_dscnt 0x6
	v_or_b32_e32 v26, 0x200, v0
	s_mov_b32 s2, exec_lo
	s_delay_alu instid0(VALU_DEP_1)
	v_cmpx_gt_u32_e64 s33, v26
	s_cbranch_execz .LBB167_198
; %bb.197:
	flat_store_b64 v[2:3], v[28:29] offset:-4104
.LBB167_198:
	s_wait_xcnt 0x0
	s_or_b32 exec_lo, exec_lo, s2
	v_or_b32_e32 v26, 0x300, v0
	s_mov_b32 s2, exec_lo
	s_delay_alu instid0(VALU_DEP_1)
	v_cmpx_gt_u32_e64 s33, v26
	s_cbranch_execz .LBB167_200
; %bb.199:
	s_wait_dscnt 0x5
	flat_store_b64 v[2:3], v[22:23] offset:-6152
.LBB167_200:
	s_wait_xcnt 0x0
	s_or_b32 exec_lo, exec_lo, s2
	s_wait_dscnt 0x5
	v_or_b32_e32 v22, 0x400, v0
	s_mov_b32 s2, exec_lo
	s_delay_alu instid0(VALU_DEP_1)
	v_cmpx_gt_u32_e64 s33, v22
	s_cbranch_execz .LBB167_202
; %bb.201:
	flat_store_b64 v[2:3], v[24:25] offset:-8200
.LBB167_202:
	;; [unrolled: 22-line block ×6, first 2 shown]
	s_wait_xcnt 0x0
	s_or_b32 exec_lo, exec_lo, s2
	v_or_b32_e32 v2, 0xd00, v0
	v_sub_nc_u64_e32 v[6:7], 0, v[0:1]
	s_delay_alu instid0(VALU_DEP_2)
	v_cmp_gt_u32_e64 s2, s33, v2
	s_branch .LBB167_221
.LBB167_219:
	s_mov_b32 s2, 0
                                        ; implicit-def: $vgpr4_vgpr5
                                        ; implicit-def: $vgpr6_vgpr7
	s_cbranch_execz .LBB167_221
; %bb.220:
	v_mul_i32_i24_e32 v2, 0xffffff98, v0
	v_mul_u32_u24_e32 v1, 0x70, v0
	s_wait_storecnt 0x0
	s_wait_loadcnt_dscnt 0x0
	s_barrier_signal -1
	s_barrier_wait -1
	v_mad_u32_u24 v2, 0x70, v0, v2
	ds_store_b128 v1, v[32:35]
	ds_store_b128 v1, v[36:39] offset:16
	ds_store_b128 v1, v[40:43] offset:32
	;; [unrolled: 1-line block ×6, first 2 shown]
	s_wait_dscnt 0x0
	s_barrier_signal -1
	s_barrier_wait -1
	ds_load_2addr_stride64_b64 v[8:11], v2 offset1:4
	ds_load_2addr_stride64_b64 v[12:15], v2 offset0:8 offset1:12
	ds_load_2addr_stride64_b64 v[16:19], v2 offset0:16 offset1:20
	;; [unrolled: 1-line block ×6, first 2 shown]
	v_mov_b32_e32 v1, 0
	s_or_b32 s2, s2, exec_lo
	s_delay_alu instid0(VALU_DEP_1) | instskip(SKIP_1) | instid1(VALU_DEP_2)
	v_mov_b32_e32 v63, v1
	v_sub_nc_u64_e32 v[6:7], 0, v[0:1]
	v_sub_nc_u64_e32 v[32:33], s[0:1], v[62:63]
	s_wait_dscnt 0x6
	s_clause 0x1
	flat_store_b64 v[32:33], v[8:9] offset:-8
	flat_store_b64 v[32:33], v[10:11] offset:-2056
	s_wait_dscnt 0x7
	s_clause 0x1
	flat_store_b64 v[32:33], v[12:13] offset:-4104
	flat_store_b64 v[32:33], v[14:15] offset:-6152
	;; [unrolled: 4-line block ×6, first 2 shown]
	s_wait_dscnt 0xc
	flat_store_b64 v[32:33], v[2:3] offset:-24584
.LBB167_221:
	s_wait_xcnt 0x0
	s_delay_alu instid0(VALU_DEP_1)
	s_and_saveexec_b32 s3, s2
	s_cbranch_execz .LBB167_223
; %bb.222:
	s_delay_alu instid0(VALU_DEP_2)
	v_lshl_add_u64 v[0:1], v[6:7], 3, s[0:1]
	s_wait_dscnt 0x0
	flat_store_b64 v[0:1], v[4:5] offset:-26632
	s_sendmsg sendmsg(MSG_DEALLOC_VGPRS)
	s_endpgm
.LBB167_223:
	s_sendmsg sendmsg(MSG_DEALLOC_VGPRS)
	s_endpgm
	.section	.rodata,"a",@progbits
	.p2align	6, 0x0
	.amdhsa_kernel _ZN7rocprim17ROCPRIM_400000_NS6detail17trampoline_kernelINS0_14default_configENS1_27scan_by_key_config_selectorIllEEZZNS1_16scan_by_key_implILNS1_25lookback_scan_determinismE0ELb0ES3_N6thrust23THRUST_200600_302600_NS16reverse_iteratorIPKlEESD_NSA_IPlEElN6hipcub16HIPCUB_304000_NS3MaxENSH_8EqualityElEE10hipError_tPvRmT2_T3_T4_T5_mT6_T7_P12ihipStream_tbENKUlT_T0_E_clISt17integral_constantIbLb0EESZ_IbLb1EEEEDaSV_SW_EUlSV_E_NS1_11comp_targetILNS1_3genE0ELNS1_11target_archE4294967295ELNS1_3gpuE0ELNS1_3repE0EEENS1_30default_config_static_selectorELNS0_4arch9wavefront6targetE0EEEvT1_
		.amdhsa_group_segment_fixed_size 32768
		.amdhsa_private_segment_fixed_size 0
		.amdhsa_kernarg_size 136
		.amdhsa_user_sgpr_count 2
		.amdhsa_user_sgpr_dispatch_ptr 0
		.amdhsa_user_sgpr_queue_ptr 0
		.amdhsa_user_sgpr_kernarg_segment_ptr 1
		.amdhsa_user_sgpr_dispatch_id 0
		.amdhsa_user_sgpr_kernarg_preload_length 0
		.amdhsa_user_sgpr_kernarg_preload_offset 0
		.amdhsa_user_sgpr_private_segment_size 0
		.amdhsa_wavefront_size32 1
		.amdhsa_uses_dynamic_stack 0
		.amdhsa_enable_private_segment 0
		.amdhsa_system_sgpr_workgroup_id_x 1
		.amdhsa_system_sgpr_workgroup_id_y 0
		.amdhsa_system_sgpr_workgroup_id_z 0
		.amdhsa_system_sgpr_workgroup_info 0
		.amdhsa_system_vgpr_workitem_id 0
		.amdhsa_next_free_vgpr 108
		.amdhsa_next_free_sgpr 63
		.amdhsa_named_barrier_count 0
		.amdhsa_reserve_vcc 1
		.amdhsa_float_round_mode_32 0
		.amdhsa_float_round_mode_16_64 0
		.amdhsa_float_denorm_mode_32 3
		.amdhsa_float_denorm_mode_16_64 3
		.amdhsa_fp16_overflow 0
		.amdhsa_memory_ordered 1
		.amdhsa_forward_progress 1
		.amdhsa_inst_pref_size 131
		.amdhsa_round_robin_scheduling 0
		.amdhsa_exception_fp_ieee_invalid_op 0
		.amdhsa_exception_fp_denorm_src 0
		.amdhsa_exception_fp_ieee_div_zero 0
		.amdhsa_exception_fp_ieee_overflow 0
		.amdhsa_exception_fp_ieee_underflow 0
		.amdhsa_exception_fp_ieee_inexact 0
		.amdhsa_exception_int_div_zero 0
	.end_amdhsa_kernel
	.section	.text._ZN7rocprim17ROCPRIM_400000_NS6detail17trampoline_kernelINS0_14default_configENS1_27scan_by_key_config_selectorIllEEZZNS1_16scan_by_key_implILNS1_25lookback_scan_determinismE0ELb0ES3_N6thrust23THRUST_200600_302600_NS16reverse_iteratorIPKlEESD_NSA_IPlEElN6hipcub16HIPCUB_304000_NS3MaxENSH_8EqualityElEE10hipError_tPvRmT2_T3_T4_T5_mT6_T7_P12ihipStream_tbENKUlT_T0_E_clISt17integral_constantIbLb0EESZ_IbLb1EEEEDaSV_SW_EUlSV_E_NS1_11comp_targetILNS1_3genE0ELNS1_11target_archE4294967295ELNS1_3gpuE0ELNS1_3repE0EEENS1_30default_config_static_selectorELNS0_4arch9wavefront6targetE0EEEvT1_,"axG",@progbits,_ZN7rocprim17ROCPRIM_400000_NS6detail17trampoline_kernelINS0_14default_configENS1_27scan_by_key_config_selectorIllEEZZNS1_16scan_by_key_implILNS1_25lookback_scan_determinismE0ELb0ES3_N6thrust23THRUST_200600_302600_NS16reverse_iteratorIPKlEESD_NSA_IPlEElN6hipcub16HIPCUB_304000_NS3MaxENSH_8EqualityElEE10hipError_tPvRmT2_T3_T4_T5_mT6_T7_P12ihipStream_tbENKUlT_T0_E_clISt17integral_constantIbLb0EESZ_IbLb1EEEEDaSV_SW_EUlSV_E_NS1_11comp_targetILNS1_3genE0ELNS1_11target_archE4294967295ELNS1_3gpuE0ELNS1_3repE0EEENS1_30default_config_static_selectorELNS0_4arch9wavefront6targetE0EEEvT1_,comdat
.Lfunc_end167:
	.size	_ZN7rocprim17ROCPRIM_400000_NS6detail17trampoline_kernelINS0_14default_configENS1_27scan_by_key_config_selectorIllEEZZNS1_16scan_by_key_implILNS1_25lookback_scan_determinismE0ELb0ES3_N6thrust23THRUST_200600_302600_NS16reverse_iteratorIPKlEESD_NSA_IPlEElN6hipcub16HIPCUB_304000_NS3MaxENSH_8EqualityElEE10hipError_tPvRmT2_T3_T4_T5_mT6_T7_P12ihipStream_tbENKUlT_T0_E_clISt17integral_constantIbLb0EESZ_IbLb1EEEEDaSV_SW_EUlSV_E_NS1_11comp_targetILNS1_3genE0ELNS1_11target_archE4294967295ELNS1_3gpuE0ELNS1_3repE0EEENS1_30default_config_static_selectorELNS0_4arch9wavefront6targetE0EEEvT1_, .Lfunc_end167-_ZN7rocprim17ROCPRIM_400000_NS6detail17trampoline_kernelINS0_14default_configENS1_27scan_by_key_config_selectorIllEEZZNS1_16scan_by_key_implILNS1_25lookback_scan_determinismE0ELb0ES3_N6thrust23THRUST_200600_302600_NS16reverse_iteratorIPKlEESD_NSA_IPlEElN6hipcub16HIPCUB_304000_NS3MaxENSH_8EqualityElEE10hipError_tPvRmT2_T3_T4_T5_mT6_T7_P12ihipStream_tbENKUlT_T0_E_clISt17integral_constantIbLb0EESZ_IbLb1EEEEDaSV_SW_EUlSV_E_NS1_11comp_targetILNS1_3genE0ELNS1_11target_archE4294967295ELNS1_3gpuE0ELNS1_3repE0EEENS1_30default_config_static_selectorELNS0_4arch9wavefront6targetE0EEEvT1_
                                        ; -- End function
	.set _ZN7rocprim17ROCPRIM_400000_NS6detail17trampoline_kernelINS0_14default_configENS1_27scan_by_key_config_selectorIllEEZZNS1_16scan_by_key_implILNS1_25lookback_scan_determinismE0ELb0ES3_N6thrust23THRUST_200600_302600_NS16reverse_iteratorIPKlEESD_NSA_IPlEElN6hipcub16HIPCUB_304000_NS3MaxENSH_8EqualityElEE10hipError_tPvRmT2_T3_T4_T5_mT6_T7_P12ihipStream_tbENKUlT_T0_E_clISt17integral_constantIbLb0EESZ_IbLb1EEEEDaSV_SW_EUlSV_E_NS1_11comp_targetILNS1_3genE0ELNS1_11target_archE4294967295ELNS1_3gpuE0ELNS1_3repE0EEENS1_30default_config_static_selectorELNS0_4arch9wavefront6targetE0EEEvT1_.num_vgpr, 108
	.set _ZN7rocprim17ROCPRIM_400000_NS6detail17trampoline_kernelINS0_14default_configENS1_27scan_by_key_config_selectorIllEEZZNS1_16scan_by_key_implILNS1_25lookback_scan_determinismE0ELb0ES3_N6thrust23THRUST_200600_302600_NS16reverse_iteratorIPKlEESD_NSA_IPlEElN6hipcub16HIPCUB_304000_NS3MaxENSH_8EqualityElEE10hipError_tPvRmT2_T3_T4_T5_mT6_T7_P12ihipStream_tbENKUlT_T0_E_clISt17integral_constantIbLb0EESZ_IbLb1EEEEDaSV_SW_EUlSV_E_NS1_11comp_targetILNS1_3genE0ELNS1_11target_archE4294967295ELNS1_3gpuE0ELNS1_3repE0EEENS1_30default_config_static_selectorELNS0_4arch9wavefront6targetE0EEEvT1_.num_agpr, 0
	.set _ZN7rocprim17ROCPRIM_400000_NS6detail17trampoline_kernelINS0_14default_configENS1_27scan_by_key_config_selectorIllEEZZNS1_16scan_by_key_implILNS1_25lookback_scan_determinismE0ELb0ES3_N6thrust23THRUST_200600_302600_NS16reverse_iteratorIPKlEESD_NSA_IPlEElN6hipcub16HIPCUB_304000_NS3MaxENSH_8EqualityElEE10hipError_tPvRmT2_T3_T4_T5_mT6_T7_P12ihipStream_tbENKUlT_T0_E_clISt17integral_constantIbLb0EESZ_IbLb1EEEEDaSV_SW_EUlSV_E_NS1_11comp_targetILNS1_3genE0ELNS1_11target_archE4294967295ELNS1_3gpuE0ELNS1_3repE0EEENS1_30default_config_static_selectorELNS0_4arch9wavefront6targetE0EEEvT1_.numbered_sgpr, 63
	.set _ZN7rocprim17ROCPRIM_400000_NS6detail17trampoline_kernelINS0_14default_configENS1_27scan_by_key_config_selectorIllEEZZNS1_16scan_by_key_implILNS1_25lookback_scan_determinismE0ELb0ES3_N6thrust23THRUST_200600_302600_NS16reverse_iteratorIPKlEESD_NSA_IPlEElN6hipcub16HIPCUB_304000_NS3MaxENSH_8EqualityElEE10hipError_tPvRmT2_T3_T4_T5_mT6_T7_P12ihipStream_tbENKUlT_T0_E_clISt17integral_constantIbLb0EESZ_IbLb1EEEEDaSV_SW_EUlSV_E_NS1_11comp_targetILNS1_3genE0ELNS1_11target_archE4294967295ELNS1_3gpuE0ELNS1_3repE0EEENS1_30default_config_static_selectorELNS0_4arch9wavefront6targetE0EEEvT1_.num_named_barrier, 0
	.set _ZN7rocprim17ROCPRIM_400000_NS6detail17trampoline_kernelINS0_14default_configENS1_27scan_by_key_config_selectorIllEEZZNS1_16scan_by_key_implILNS1_25lookback_scan_determinismE0ELb0ES3_N6thrust23THRUST_200600_302600_NS16reverse_iteratorIPKlEESD_NSA_IPlEElN6hipcub16HIPCUB_304000_NS3MaxENSH_8EqualityElEE10hipError_tPvRmT2_T3_T4_T5_mT6_T7_P12ihipStream_tbENKUlT_T0_E_clISt17integral_constantIbLb0EESZ_IbLb1EEEEDaSV_SW_EUlSV_E_NS1_11comp_targetILNS1_3genE0ELNS1_11target_archE4294967295ELNS1_3gpuE0ELNS1_3repE0EEENS1_30default_config_static_selectorELNS0_4arch9wavefront6targetE0EEEvT1_.private_seg_size, 0
	.set _ZN7rocprim17ROCPRIM_400000_NS6detail17trampoline_kernelINS0_14default_configENS1_27scan_by_key_config_selectorIllEEZZNS1_16scan_by_key_implILNS1_25lookback_scan_determinismE0ELb0ES3_N6thrust23THRUST_200600_302600_NS16reverse_iteratorIPKlEESD_NSA_IPlEElN6hipcub16HIPCUB_304000_NS3MaxENSH_8EqualityElEE10hipError_tPvRmT2_T3_T4_T5_mT6_T7_P12ihipStream_tbENKUlT_T0_E_clISt17integral_constantIbLb0EESZ_IbLb1EEEEDaSV_SW_EUlSV_E_NS1_11comp_targetILNS1_3genE0ELNS1_11target_archE4294967295ELNS1_3gpuE0ELNS1_3repE0EEENS1_30default_config_static_selectorELNS0_4arch9wavefront6targetE0EEEvT1_.uses_vcc, 1
	.set _ZN7rocprim17ROCPRIM_400000_NS6detail17trampoline_kernelINS0_14default_configENS1_27scan_by_key_config_selectorIllEEZZNS1_16scan_by_key_implILNS1_25lookback_scan_determinismE0ELb0ES3_N6thrust23THRUST_200600_302600_NS16reverse_iteratorIPKlEESD_NSA_IPlEElN6hipcub16HIPCUB_304000_NS3MaxENSH_8EqualityElEE10hipError_tPvRmT2_T3_T4_T5_mT6_T7_P12ihipStream_tbENKUlT_T0_E_clISt17integral_constantIbLb0EESZ_IbLb1EEEEDaSV_SW_EUlSV_E_NS1_11comp_targetILNS1_3genE0ELNS1_11target_archE4294967295ELNS1_3gpuE0ELNS1_3repE0EEENS1_30default_config_static_selectorELNS0_4arch9wavefront6targetE0EEEvT1_.uses_flat_scratch, 1
	.set _ZN7rocprim17ROCPRIM_400000_NS6detail17trampoline_kernelINS0_14default_configENS1_27scan_by_key_config_selectorIllEEZZNS1_16scan_by_key_implILNS1_25lookback_scan_determinismE0ELb0ES3_N6thrust23THRUST_200600_302600_NS16reverse_iteratorIPKlEESD_NSA_IPlEElN6hipcub16HIPCUB_304000_NS3MaxENSH_8EqualityElEE10hipError_tPvRmT2_T3_T4_T5_mT6_T7_P12ihipStream_tbENKUlT_T0_E_clISt17integral_constantIbLb0EESZ_IbLb1EEEEDaSV_SW_EUlSV_E_NS1_11comp_targetILNS1_3genE0ELNS1_11target_archE4294967295ELNS1_3gpuE0ELNS1_3repE0EEENS1_30default_config_static_selectorELNS0_4arch9wavefront6targetE0EEEvT1_.has_dyn_sized_stack, 0
	.set _ZN7rocprim17ROCPRIM_400000_NS6detail17trampoline_kernelINS0_14default_configENS1_27scan_by_key_config_selectorIllEEZZNS1_16scan_by_key_implILNS1_25lookback_scan_determinismE0ELb0ES3_N6thrust23THRUST_200600_302600_NS16reverse_iteratorIPKlEESD_NSA_IPlEElN6hipcub16HIPCUB_304000_NS3MaxENSH_8EqualityElEE10hipError_tPvRmT2_T3_T4_T5_mT6_T7_P12ihipStream_tbENKUlT_T0_E_clISt17integral_constantIbLb0EESZ_IbLb1EEEEDaSV_SW_EUlSV_E_NS1_11comp_targetILNS1_3genE0ELNS1_11target_archE4294967295ELNS1_3gpuE0ELNS1_3repE0EEENS1_30default_config_static_selectorELNS0_4arch9wavefront6targetE0EEEvT1_.has_recursion, 0
	.set _ZN7rocprim17ROCPRIM_400000_NS6detail17trampoline_kernelINS0_14default_configENS1_27scan_by_key_config_selectorIllEEZZNS1_16scan_by_key_implILNS1_25lookback_scan_determinismE0ELb0ES3_N6thrust23THRUST_200600_302600_NS16reverse_iteratorIPKlEESD_NSA_IPlEElN6hipcub16HIPCUB_304000_NS3MaxENSH_8EqualityElEE10hipError_tPvRmT2_T3_T4_T5_mT6_T7_P12ihipStream_tbENKUlT_T0_E_clISt17integral_constantIbLb0EESZ_IbLb1EEEEDaSV_SW_EUlSV_E_NS1_11comp_targetILNS1_3genE0ELNS1_11target_archE4294967295ELNS1_3gpuE0ELNS1_3repE0EEENS1_30default_config_static_selectorELNS0_4arch9wavefront6targetE0EEEvT1_.has_indirect_call, 0
	.section	.AMDGPU.csdata,"",@progbits
; Kernel info:
; codeLenInByte = 16696
; TotalNumSgprs: 65
; NumVgprs: 108
; ScratchSize: 0
; MemoryBound: 0
; FloatMode: 240
; IeeeMode: 1
; LDSByteSize: 32768 bytes/workgroup (compile time only)
; SGPRBlocks: 0
; VGPRBlocks: 6
; NumSGPRsForWavesPerEU: 65
; NumVGPRsForWavesPerEU: 108
; NamedBarCnt: 0
; Occupancy: 9
; WaveLimiterHint : 1
; COMPUTE_PGM_RSRC2:SCRATCH_EN: 0
; COMPUTE_PGM_RSRC2:USER_SGPR: 2
; COMPUTE_PGM_RSRC2:TRAP_HANDLER: 0
; COMPUTE_PGM_RSRC2:TGID_X_EN: 1
; COMPUTE_PGM_RSRC2:TGID_Y_EN: 0
; COMPUTE_PGM_RSRC2:TGID_Z_EN: 0
; COMPUTE_PGM_RSRC2:TIDIG_COMP_CNT: 0
	.section	.text._ZN7rocprim17ROCPRIM_400000_NS6detail17trampoline_kernelINS0_14default_configENS1_27scan_by_key_config_selectorIllEEZZNS1_16scan_by_key_implILNS1_25lookback_scan_determinismE0ELb0ES3_N6thrust23THRUST_200600_302600_NS16reverse_iteratorIPKlEESD_NSA_IPlEElN6hipcub16HIPCUB_304000_NS3MaxENSH_8EqualityElEE10hipError_tPvRmT2_T3_T4_T5_mT6_T7_P12ihipStream_tbENKUlT_T0_E_clISt17integral_constantIbLb0EESZ_IbLb1EEEEDaSV_SW_EUlSV_E_NS1_11comp_targetILNS1_3genE10ELNS1_11target_archE1201ELNS1_3gpuE5ELNS1_3repE0EEENS1_30default_config_static_selectorELNS0_4arch9wavefront6targetE0EEEvT1_,"axG",@progbits,_ZN7rocprim17ROCPRIM_400000_NS6detail17trampoline_kernelINS0_14default_configENS1_27scan_by_key_config_selectorIllEEZZNS1_16scan_by_key_implILNS1_25lookback_scan_determinismE0ELb0ES3_N6thrust23THRUST_200600_302600_NS16reverse_iteratorIPKlEESD_NSA_IPlEElN6hipcub16HIPCUB_304000_NS3MaxENSH_8EqualityElEE10hipError_tPvRmT2_T3_T4_T5_mT6_T7_P12ihipStream_tbENKUlT_T0_E_clISt17integral_constantIbLb0EESZ_IbLb1EEEEDaSV_SW_EUlSV_E_NS1_11comp_targetILNS1_3genE10ELNS1_11target_archE1201ELNS1_3gpuE5ELNS1_3repE0EEENS1_30default_config_static_selectorELNS0_4arch9wavefront6targetE0EEEvT1_,comdat
	.protected	_ZN7rocprim17ROCPRIM_400000_NS6detail17trampoline_kernelINS0_14default_configENS1_27scan_by_key_config_selectorIllEEZZNS1_16scan_by_key_implILNS1_25lookback_scan_determinismE0ELb0ES3_N6thrust23THRUST_200600_302600_NS16reverse_iteratorIPKlEESD_NSA_IPlEElN6hipcub16HIPCUB_304000_NS3MaxENSH_8EqualityElEE10hipError_tPvRmT2_T3_T4_T5_mT6_T7_P12ihipStream_tbENKUlT_T0_E_clISt17integral_constantIbLb0EESZ_IbLb1EEEEDaSV_SW_EUlSV_E_NS1_11comp_targetILNS1_3genE10ELNS1_11target_archE1201ELNS1_3gpuE5ELNS1_3repE0EEENS1_30default_config_static_selectorELNS0_4arch9wavefront6targetE0EEEvT1_ ; -- Begin function _ZN7rocprim17ROCPRIM_400000_NS6detail17trampoline_kernelINS0_14default_configENS1_27scan_by_key_config_selectorIllEEZZNS1_16scan_by_key_implILNS1_25lookback_scan_determinismE0ELb0ES3_N6thrust23THRUST_200600_302600_NS16reverse_iteratorIPKlEESD_NSA_IPlEElN6hipcub16HIPCUB_304000_NS3MaxENSH_8EqualityElEE10hipError_tPvRmT2_T3_T4_T5_mT6_T7_P12ihipStream_tbENKUlT_T0_E_clISt17integral_constantIbLb0EESZ_IbLb1EEEEDaSV_SW_EUlSV_E_NS1_11comp_targetILNS1_3genE10ELNS1_11target_archE1201ELNS1_3gpuE5ELNS1_3repE0EEENS1_30default_config_static_selectorELNS0_4arch9wavefront6targetE0EEEvT1_
	.globl	_ZN7rocprim17ROCPRIM_400000_NS6detail17trampoline_kernelINS0_14default_configENS1_27scan_by_key_config_selectorIllEEZZNS1_16scan_by_key_implILNS1_25lookback_scan_determinismE0ELb0ES3_N6thrust23THRUST_200600_302600_NS16reverse_iteratorIPKlEESD_NSA_IPlEElN6hipcub16HIPCUB_304000_NS3MaxENSH_8EqualityElEE10hipError_tPvRmT2_T3_T4_T5_mT6_T7_P12ihipStream_tbENKUlT_T0_E_clISt17integral_constantIbLb0EESZ_IbLb1EEEEDaSV_SW_EUlSV_E_NS1_11comp_targetILNS1_3genE10ELNS1_11target_archE1201ELNS1_3gpuE5ELNS1_3repE0EEENS1_30default_config_static_selectorELNS0_4arch9wavefront6targetE0EEEvT1_
	.p2align	8
	.type	_ZN7rocprim17ROCPRIM_400000_NS6detail17trampoline_kernelINS0_14default_configENS1_27scan_by_key_config_selectorIllEEZZNS1_16scan_by_key_implILNS1_25lookback_scan_determinismE0ELb0ES3_N6thrust23THRUST_200600_302600_NS16reverse_iteratorIPKlEESD_NSA_IPlEElN6hipcub16HIPCUB_304000_NS3MaxENSH_8EqualityElEE10hipError_tPvRmT2_T3_T4_T5_mT6_T7_P12ihipStream_tbENKUlT_T0_E_clISt17integral_constantIbLb0EESZ_IbLb1EEEEDaSV_SW_EUlSV_E_NS1_11comp_targetILNS1_3genE10ELNS1_11target_archE1201ELNS1_3gpuE5ELNS1_3repE0EEENS1_30default_config_static_selectorELNS0_4arch9wavefront6targetE0EEEvT1_,@function
_ZN7rocprim17ROCPRIM_400000_NS6detail17trampoline_kernelINS0_14default_configENS1_27scan_by_key_config_selectorIllEEZZNS1_16scan_by_key_implILNS1_25lookback_scan_determinismE0ELb0ES3_N6thrust23THRUST_200600_302600_NS16reverse_iteratorIPKlEESD_NSA_IPlEElN6hipcub16HIPCUB_304000_NS3MaxENSH_8EqualityElEE10hipError_tPvRmT2_T3_T4_T5_mT6_T7_P12ihipStream_tbENKUlT_T0_E_clISt17integral_constantIbLb0EESZ_IbLb1EEEEDaSV_SW_EUlSV_E_NS1_11comp_targetILNS1_3genE10ELNS1_11target_archE1201ELNS1_3gpuE5ELNS1_3repE0EEENS1_30default_config_static_selectorELNS0_4arch9wavefront6targetE0EEEvT1_: ; @_ZN7rocprim17ROCPRIM_400000_NS6detail17trampoline_kernelINS0_14default_configENS1_27scan_by_key_config_selectorIllEEZZNS1_16scan_by_key_implILNS1_25lookback_scan_determinismE0ELb0ES3_N6thrust23THRUST_200600_302600_NS16reverse_iteratorIPKlEESD_NSA_IPlEElN6hipcub16HIPCUB_304000_NS3MaxENSH_8EqualityElEE10hipError_tPvRmT2_T3_T4_T5_mT6_T7_P12ihipStream_tbENKUlT_T0_E_clISt17integral_constantIbLb0EESZ_IbLb1EEEEDaSV_SW_EUlSV_E_NS1_11comp_targetILNS1_3genE10ELNS1_11target_archE1201ELNS1_3gpuE5ELNS1_3repE0EEENS1_30default_config_static_selectorELNS0_4arch9wavefront6targetE0EEEvT1_
; %bb.0:
	.section	.rodata,"a",@progbits
	.p2align	6, 0x0
	.amdhsa_kernel _ZN7rocprim17ROCPRIM_400000_NS6detail17trampoline_kernelINS0_14default_configENS1_27scan_by_key_config_selectorIllEEZZNS1_16scan_by_key_implILNS1_25lookback_scan_determinismE0ELb0ES3_N6thrust23THRUST_200600_302600_NS16reverse_iteratorIPKlEESD_NSA_IPlEElN6hipcub16HIPCUB_304000_NS3MaxENSH_8EqualityElEE10hipError_tPvRmT2_T3_T4_T5_mT6_T7_P12ihipStream_tbENKUlT_T0_E_clISt17integral_constantIbLb0EESZ_IbLb1EEEEDaSV_SW_EUlSV_E_NS1_11comp_targetILNS1_3genE10ELNS1_11target_archE1201ELNS1_3gpuE5ELNS1_3repE0EEENS1_30default_config_static_selectorELNS0_4arch9wavefront6targetE0EEEvT1_
		.amdhsa_group_segment_fixed_size 0
		.amdhsa_private_segment_fixed_size 0
		.amdhsa_kernarg_size 136
		.amdhsa_user_sgpr_count 2
		.amdhsa_user_sgpr_dispatch_ptr 0
		.amdhsa_user_sgpr_queue_ptr 0
		.amdhsa_user_sgpr_kernarg_segment_ptr 1
		.amdhsa_user_sgpr_dispatch_id 0
		.amdhsa_user_sgpr_kernarg_preload_length 0
		.amdhsa_user_sgpr_kernarg_preload_offset 0
		.amdhsa_user_sgpr_private_segment_size 0
		.amdhsa_wavefront_size32 1
		.amdhsa_uses_dynamic_stack 0
		.amdhsa_enable_private_segment 0
		.amdhsa_system_sgpr_workgroup_id_x 1
		.amdhsa_system_sgpr_workgroup_id_y 0
		.amdhsa_system_sgpr_workgroup_id_z 0
		.amdhsa_system_sgpr_workgroup_info 0
		.amdhsa_system_vgpr_workitem_id 0
		.amdhsa_next_free_vgpr 1
		.amdhsa_next_free_sgpr 1
		.amdhsa_named_barrier_count 0
		.amdhsa_reserve_vcc 0
		.amdhsa_float_round_mode_32 0
		.amdhsa_float_round_mode_16_64 0
		.amdhsa_float_denorm_mode_32 3
		.amdhsa_float_denorm_mode_16_64 3
		.amdhsa_fp16_overflow 0
		.amdhsa_memory_ordered 1
		.amdhsa_forward_progress 1
		.amdhsa_inst_pref_size 0
		.amdhsa_round_robin_scheduling 0
		.amdhsa_exception_fp_ieee_invalid_op 0
		.amdhsa_exception_fp_denorm_src 0
		.amdhsa_exception_fp_ieee_div_zero 0
		.amdhsa_exception_fp_ieee_overflow 0
		.amdhsa_exception_fp_ieee_underflow 0
		.amdhsa_exception_fp_ieee_inexact 0
		.amdhsa_exception_int_div_zero 0
	.end_amdhsa_kernel
	.section	.text._ZN7rocprim17ROCPRIM_400000_NS6detail17trampoline_kernelINS0_14default_configENS1_27scan_by_key_config_selectorIllEEZZNS1_16scan_by_key_implILNS1_25lookback_scan_determinismE0ELb0ES3_N6thrust23THRUST_200600_302600_NS16reverse_iteratorIPKlEESD_NSA_IPlEElN6hipcub16HIPCUB_304000_NS3MaxENSH_8EqualityElEE10hipError_tPvRmT2_T3_T4_T5_mT6_T7_P12ihipStream_tbENKUlT_T0_E_clISt17integral_constantIbLb0EESZ_IbLb1EEEEDaSV_SW_EUlSV_E_NS1_11comp_targetILNS1_3genE10ELNS1_11target_archE1201ELNS1_3gpuE5ELNS1_3repE0EEENS1_30default_config_static_selectorELNS0_4arch9wavefront6targetE0EEEvT1_,"axG",@progbits,_ZN7rocprim17ROCPRIM_400000_NS6detail17trampoline_kernelINS0_14default_configENS1_27scan_by_key_config_selectorIllEEZZNS1_16scan_by_key_implILNS1_25lookback_scan_determinismE0ELb0ES3_N6thrust23THRUST_200600_302600_NS16reverse_iteratorIPKlEESD_NSA_IPlEElN6hipcub16HIPCUB_304000_NS3MaxENSH_8EqualityElEE10hipError_tPvRmT2_T3_T4_T5_mT6_T7_P12ihipStream_tbENKUlT_T0_E_clISt17integral_constantIbLb0EESZ_IbLb1EEEEDaSV_SW_EUlSV_E_NS1_11comp_targetILNS1_3genE10ELNS1_11target_archE1201ELNS1_3gpuE5ELNS1_3repE0EEENS1_30default_config_static_selectorELNS0_4arch9wavefront6targetE0EEEvT1_,comdat
.Lfunc_end168:
	.size	_ZN7rocprim17ROCPRIM_400000_NS6detail17trampoline_kernelINS0_14default_configENS1_27scan_by_key_config_selectorIllEEZZNS1_16scan_by_key_implILNS1_25lookback_scan_determinismE0ELb0ES3_N6thrust23THRUST_200600_302600_NS16reverse_iteratorIPKlEESD_NSA_IPlEElN6hipcub16HIPCUB_304000_NS3MaxENSH_8EqualityElEE10hipError_tPvRmT2_T3_T4_T5_mT6_T7_P12ihipStream_tbENKUlT_T0_E_clISt17integral_constantIbLb0EESZ_IbLb1EEEEDaSV_SW_EUlSV_E_NS1_11comp_targetILNS1_3genE10ELNS1_11target_archE1201ELNS1_3gpuE5ELNS1_3repE0EEENS1_30default_config_static_selectorELNS0_4arch9wavefront6targetE0EEEvT1_, .Lfunc_end168-_ZN7rocprim17ROCPRIM_400000_NS6detail17trampoline_kernelINS0_14default_configENS1_27scan_by_key_config_selectorIllEEZZNS1_16scan_by_key_implILNS1_25lookback_scan_determinismE0ELb0ES3_N6thrust23THRUST_200600_302600_NS16reverse_iteratorIPKlEESD_NSA_IPlEElN6hipcub16HIPCUB_304000_NS3MaxENSH_8EqualityElEE10hipError_tPvRmT2_T3_T4_T5_mT6_T7_P12ihipStream_tbENKUlT_T0_E_clISt17integral_constantIbLb0EESZ_IbLb1EEEEDaSV_SW_EUlSV_E_NS1_11comp_targetILNS1_3genE10ELNS1_11target_archE1201ELNS1_3gpuE5ELNS1_3repE0EEENS1_30default_config_static_selectorELNS0_4arch9wavefront6targetE0EEEvT1_
                                        ; -- End function
	.set _ZN7rocprim17ROCPRIM_400000_NS6detail17trampoline_kernelINS0_14default_configENS1_27scan_by_key_config_selectorIllEEZZNS1_16scan_by_key_implILNS1_25lookback_scan_determinismE0ELb0ES3_N6thrust23THRUST_200600_302600_NS16reverse_iteratorIPKlEESD_NSA_IPlEElN6hipcub16HIPCUB_304000_NS3MaxENSH_8EqualityElEE10hipError_tPvRmT2_T3_T4_T5_mT6_T7_P12ihipStream_tbENKUlT_T0_E_clISt17integral_constantIbLb0EESZ_IbLb1EEEEDaSV_SW_EUlSV_E_NS1_11comp_targetILNS1_3genE10ELNS1_11target_archE1201ELNS1_3gpuE5ELNS1_3repE0EEENS1_30default_config_static_selectorELNS0_4arch9wavefront6targetE0EEEvT1_.num_vgpr, 0
	.set _ZN7rocprim17ROCPRIM_400000_NS6detail17trampoline_kernelINS0_14default_configENS1_27scan_by_key_config_selectorIllEEZZNS1_16scan_by_key_implILNS1_25lookback_scan_determinismE0ELb0ES3_N6thrust23THRUST_200600_302600_NS16reverse_iteratorIPKlEESD_NSA_IPlEElN6hipcub16HIPCUB_304000_NS3MaxENSH_8EqualityElEE10hipError_tPvRmT2_T3_T4_T5_mT6_T7_P12ihipStream_tbENKUlT_T0_E_clISt17integral_constantIbLb0EESZ_IbLb1EEEEDaSV_SW_EUlSV_E_NS1_11comp_targetILNS1_3genE10ELNS1_11target_archE1201ELNS1_3gpuE5ELNS1_3repE0EEENS1_30default_config_static_selectorELNS0_4arch9wavefront6targetE0EEEvT1_.num_agpr, 0
	.set _ZN7rocprim17ROCPRIM_400000_NS6detail17trampoline_kernelINS0_14default_configENS1_27scan_by_key_config_selectorIllEEZZNS1_16scan_by_key_implILNS1_25lookback_scan_determinismE0ELb0ES3_N6thrust23THRUST_200600_302600_NS16reverse_iteratorIPKlEESD_NSA_IPlEElN6hipcub16HIPCUB_304000_NS3MaxENSH_8EqualityElEE10hipError_tPvRmT2_T3_T4_T5_mT6_T7_P12ihipStream_tbENKUlT_T0_E_clISt17integral_constantIbLb0EESZ_IbLb1EEEEDaSV_SW_EUlSV_E_NS1_11comp_targetILNS1_3genE10ELNS1_11target_archE1201ELNS1_3gpuE5ELNS1_3repE0EEENS1_30default_config_static_selectorELNS0_4arch9wavefront6targetE0EEEvT1_.numbered_sgpr, 0
	.set _ZN7rocprim17ROCPRIM_400000_NS6detail17trampoline_kernelINS0_14default_configENS1_27scan_by_key_config_selectorIllEEZZNS1_16scan_by_key_implILNS1_25lookback_scan_determinismE0ELb0ES3_N6thrust23THRUST_200600_302600_NS16reverse_iteratorIPKlEESD_NSA_IPlEElN6hipcub16HIPCUB_304000_NS3MaxENSH_8EqualityElEE10hipError_tPvRmT2_T3_T4_T5_mT6_T7_P12ihipStream_tbENKUlT_T0_E_clISt17integral_constantIbLb0EESZ_IbLb1EEEEDaSV_SW_EUlSV_E_NS1_11comp_targetILNS1_3genE10ELNS1_11target_archE1201ELNS1_3gpuE5ELNS1_3repE0EEENS1_30default_config_static_selectorELNS0_4arch9wavefront6targetE0EEEvT1_.num_named_barrier, 0
	.set _ZN7rocprim17ROCPRIM_400000_NS6detail17trampoline_kernelINS0_14default_configENS1_27scan_by_key_config_selectorIllEEZZNS1_16scan_by_key_implILNS1_25lookback_scan_determinismE0ELb0ES3_N6thrust23THRUST_200600_302600_NS16reverse_iteratorIPKlEESD_NSA_IPlEElN6hipcub16HIPCUB_304000_NS3MaxENSH_8EqualityElEE10hipError_tPvRmT2_T3_T4_T5_mT6_T7_P12ihipStream_tbENKUlT_T0_E_clISt17integral_constantIbLb0EESZ_IbLb1EEEEDaSV_SW_EUlSV_E_NS1_11comp_targetILNS1_3genE10ELNS1_11target_archE1201ELNS1_3gpuE5ELNS1_3repE0EEENS1_30default_config_static_selectorELNS0_4arch9wavefront6targetE0EEEvT1_.private_seg_size, 0
	.set _ZN7rocprim17ROCPRIM_400000_NS6detail17trampoline_kernelINS0_14default_configENS1_27scan_by_key_config_selectorIllEEZZNS1_16scan_by_key_implILNS1_25lookback_scan_determinismE0ELb0ES3_N6thrust23THRUST_200600_302600_NS16reverse_iteratorIPKlEESD_NSA_IPlEElN6hipcub16HIPCUB_304000_NS3MaxENSH_8EqualityElEE10hipError_tPvRmT2_T3_T4_T5_mT6_T7_P12ihipStream_tbENKUlT_T0_E_clISt17integral_constantIbLb0EESZ_IbLb1EEEEDaSV_SW_EUlSV_E_NS1_11comp_targetILNS1_3genE10ELNS1_11target_archE1201ELNS1_3gpuE5ELNS1_3repE0EEENS1_30default_config_static_selectorELNS0_4arch9wavefront6targetE0EEEvT1_.uses_vcc, 0
	.set _ZN7rocprim17ROCPRIM_400000_NS6detail17trampoline_kernelINS0_14default_configENS1_27scan_by_key_config_selectorIllEEZZNS1_16scan_by_key_implILNS1_25lookback_scan_determinismE0ELb0ES3_N6thrust23THRUST_200600_302600_NS16reverse_iteratorIPKlEESD_NSA_IPlEElN6hipcub16HIPCUB_304000_NS3MaxENSH_8EqualityElEE10hipError_tPvRmT2_T3_T4_T5_mT6_T7_P12ihipStream_tbENKUlT_T0_E_clISt17integral_constantIbLb0EESZ_IbLb1EEEEDaSV_SW_EUlSV_E_NS1_11comp_targetILNS1_3genE10ELNS1_11target_archE1201ELNS1_3gpuE5ELNS1_3repE0EEENS1_30default_config_static_selectorELNS0_4arch9wavefront6targetE0EEEvT1_.uses_flat_scratch, 0
	.set _ZN7rocprim17ROCPRIM_400000_NS6detail17trampoline_kernelINS0_14default_configENS1_27scan_by_key_config_selectorIllEEZZNS1_16scan_by_key_implILNS1_25lookback_scan_determinismE0ELb0ES3_N6thrust23THRUST_200600_302600_NS16reverse_iteratorIPKlEESD_NSA_IPlEElN6hipcub16HIPCUB_304000_NS3MaxENSH_8EqualityElEE10hipError_tPvRmT2_T3_T4_T5_mT6_T7_P12ihipStream_tbENKUlT_T0_E_clISt17integral_constantIbLb0EESZ_IbLb1EEEEDaSV_SW_EUlSV_E_NS1_11comp_targetILNS1_3genE10ELNS1_11target_archE1201ELNS1_3gpuE5ELNS1_3repE0EEENS1_30default_config_static_selectorELNS0_4arch9wavefront6targetE0EEEvT1_.has_dyn_sized_stack, 0
	.set _ZN7rocprim17ROCPRIM_400000_NS6detail17trampoline_kernelINS0_14default_configENS1_27scan_by_key_config_selectorIllEEZZNS1_16scan_by_key_implILNS1_25lookback_scan_determinismE0ELb0ES3_N6thrust23THRUST_200600_302600_NS16reverse_iteratorIPKlEESD_NSA_IPlEElN6hipcub16HIPCUB_304000_NS3MaxENSH_8EqualityElEE10hipError_tPvRmT2_T3_T4_T5_mT6_T7_P12ihipStream_tbENKUlT_T0_E_clISt17integral_constantIbLb0EESZ_IbLb1EEEEDaSV_SW_EUlSV_E_NS1_11comp_targetILNS1_3genE10ELNS1_11target_archE1201ELNS1_3gpuE5ELNS1_3repE0EEENS1_30default_config_static_selectorELNS0_4arch9wavefront6targetE0EEEvT1_.has_recursion, 0
	.set _ZN7rocprim17ROCPRIM_400000_NS6detail17trampoline_kernelINS0_14default_configENS1_27scan_by_key_config_selectorIllEEZZNS1_16scan_by_key_implILNS1_25lookback_scan_determinismE0ELb0ES3_N6thrust23THRUST_200600_302600_NS16reverse_iteratorIPKlEESD_NSA_IPlEElN6hipcub16HIPCUB_304000_NS3MaxENSH_8EqualityElEE10hipError_tPvRmT2_T3_T4_T5_mT6_T7_P12ihipStream_tbENKUlT_T0_E_clISt17integral_constantIbLb0EESZ_IbLb1EEEEDaSV_SW_EUlSV_E_NS1_11comp_targetILNS1_3genE10ELNS1_11target_archE1201ELNS1_3gpuE5ELNS1_3repE0EEENS1_30default_config_static_selectorELNS0_4arch9wavefront6targetE0EEEvT1_.has_indirect_call, 0
	.section	.AMDGPU.csdata,"",@progbits
; Kernel info:
; codeLenInByte = 0
; TotalNumSgprs: 0
; NumVgprs: 0
; ScratchSize: 0
; MemoryBound: 0
; FloatMode: 240
; IeeeMode: 1
; LDSByteSize: 0 bytes/workgroup (compile time only)
; SGPRBlocks: 0
; VGPRBlocks: 0
; NumSGPRsForWavesPerEU: 1
; NumVGPRsForWavesPerEU: 1
; NamedBarCnt: 0
; Occupancy: 16
; WaveLimiterHint : 0
; COMPUTE_PGM_RSRC2:SCRATCH_EN: 0
; COMPUTE_PGM_RSRC2:USER_SGPR: 2
; COMPUTE_PGM_RSRC2:TRAP_HANDLER: 0
; COMPUTE_PGM_RSRC2:TGID_X_EN: 1
; COMPUTE_PGM_RSRC2:TGID_Y_EN: 0
; COMPUTE_PGM_RSRC2:TGID_Z_EN: 0
; COMPUTE_PGM_RSRC2:TIDIG_COMP_CNT: 0
	.section	.text._ZN7rocprim17ROCPRIM_400000_NS6detail17trampoline_kernelINS0_14default_configENS1_27scan_by_key_config_selectorIllEEZZNS1_16scan_by_key_implILNS1_25lookback_scan_determinismE0ELb0ES3_N6thrust23THRUST_200600_302600_NS16reverse_iteratorIPKlEESD_NSA_IPlEElN6hipcub16HIPCUB_304000_NS3MaxENSH_8EqualityElEE10hipError_tPvRmT2_T3_T4_T5_mT6_T7_P12ihipStream_tbENKUlT_T0_E_clISt17integral_constantIbLb0EESZ_IbLb1EEEEDaSV_SW_EUlSV_E_NS1_11comp_targetILNS1_3genE5ELNS1_11target_archE942ELNS1_3gpuE9ELNS1_3repE0EEENS1_30default_config_static_selectorELNS0_4arch9wavefront6targetE0EEEvT1_,"axG",@progbits,_ZN7rocprim17ROCPRIM_400000_NS6detail17trampoline_kernelINS0_14default_configENS1_27scan_by_key_config_selectorIllEEZZNS1_16scan_by_key_implILNS1_25lookback_scan_determinismE0ELb0ES3_N6thrust23THRUST_200600_302600_NS16reverse_iteratorIPKlEESD_NSA_IPlEElN6hipcub16HIPCUB_304000_NS3MaxENSH_8EqualityElEE10hipError_tPvRmT2_T3_T4_T5_mT6_T7_P12ihipStream_tbENKUlT_T0_E_clISt17integral_constantIbLb0EESZ_IbLb1EEEEDaSV_SW_EUlSV_E_NS1_11comp_targetILNS1_3genE5ELNS1_11target_archE942ELNS1_3gpuE9ELNS1_3repE0EEENS1_30default_config_static_selectorELNS0_4arch9wavefront6targetE0EEEvT1_,comdat
	.protected	_ZN7rocprim17ROCPRIM_400000_NS6detail17trampoline_kernelINS0_14default_configENS1_27scan_by_key_config_selectorIllEEZZNS1_16scan_by_key_implILNS1_25lookback_scan_determinismE0ELb0ES3_N6thrust23THRUST_200600_302600_NS16reverse_iteratorIPKlEESD_NSA_IPlEElN6hipcub16HIPCUB_304000_NS3MaxENSH_8EqualityElEE10hipError_tPvRmT2_T3_T4_T5_mT6_T7_P12ihipStream_tbENKUlT_T0_E_clISt17integral_constantIbLb0EESZ_IbLb1EEEEDaSV_SW_EUlSV_E_NS1_11comp_targetILNS1_3genE5ELNS1_11target_archE942ELNS1_3gpuE9ELNS1_3repE0EEENS1_30default_config_static_selectorELNS0_4arch9wavefront6targetE0EEEvT1_ ; -- Begin function _ZN7rocprim17ROCPRIM_400000_NS6detail17trampoline_kernelINS0_14default_configENS1_27scan_by_key_config_selectorIllEEZZNS1_16scan_by_key_implILNS1_25lookback_scan_determinismE0ELb0ES3_N6thrust23THRUST_200600_302600_NS16reverse_iteratorIPKlEESD_NSA_IPlEElN6hipcub16HIPCUB_304000_NS3MaxENSH_8EqualityElEE10hipError_tPvRmT2_T3_T4_T5_mT6_T7_P12ihipStream_tbENKUlT_T0_E_clISt17integral_constantIbLb0EESZ_IbLb1EEEEDaSV_SW_EUlSV_E_NS1_11comp_targetILNS1_3genE5ELNS1_11target_archE942ELNS1_3gpuE9ELNS1_3repE0EEENS1_30default_config_static_selectorELNS0_4arch9wavefront6targetE0EEEvT1_
	.globl	_ZN7rocprim17ROCPRIM_400000_NS6detail17trampoline_kernelINS0_14default_configENS1_27scan_by_key_config_selectorIllEEZZNS1_16scan_by_key_implILNS1_25lookback_scan_determinismE0ELb0ES3_N6thrust23THRUST_200600_302600_NS16reverse_iteratorIPKlEESD_NSA_IPlEElN6hipcub16HIPCUB_304000_NS3MaxENSH_8EqualityElEE10hipError_tPvRmT2_T3_T4_T5_mT6_T7_P12ihipStream_tbENKUlT_T0_E_clISt17integral_constantIbLb0EESZ_IbLb1EEEEDaSV_SW_EUlSV_E_NS1_11comp_targetILNS1_3genE5ELNS1_11target_archE942ELNS1_3gpuE9ELNS1_3repE0EEENS1_30default_config_static_selectorELNS0_4arch9wavefront6targetE0EEEvT1_
	.p2align	8
	.type	_ZN7rocprim17ROCPRIM_400000_NS6detail17trampoline_kernelINS0_14default_configENS1_27scan_by_key_config_selectorIllEEZZNS1_16scan_by_key_implILNS1_25lookback_scan_determinismE0ELb0ES3_N6thrust23THRUST_200600_302600_NS16reverse_iteratorIPKlEESD_NSA_IPlEElN6hipcub16HIPCUB_304000_NS3MaxENSH_8EqualityElEE10hipError_tPvRmT2_T3_T4_T5_mT6_T7_P12ihipStream_tbENKUlT_T0_E_clISt17integral_constantIbLb0EESZ_IbLb1EEEEDaSV_SW_EUlSV_E_NS1_11comp_targetILNS1_3genE5ELNS1_11target_archE942ELNS1_3gpuE9ELNS1_3repE0EEENS1_30default_config_static_selectorELNS0_4arch9wavefront6targetE0EEEvT1_,@function
_ZN7rocprim17ROCPRIM_400000_NS6detail17trampoline_kernelINS0_14default_configENS1_27scan_by_key_config_selectorIllEEZZNS1_16scan_by_key_implILNS1_25lookback_scan_determinismE0ELb0ES3_N6thrust23THRUST_200600_302600_NS16reverse_iteratorIPKlEESD_NSA_IPlEElN6hipcub16HIPCUB_304000_NS3MaxENSH_8EqualityElEE10hipError_tPvRmT2_T3_T4_T5_mT6_T7_P12ihipStream_tbENKUlT_T0_E_clISt17integral_constantIbLb0EESZ_IbLb1EEEEDaSV_SW_EUlSV_E_NS1_11comp_targetILNS1_3genE5ELNS1_11target_archE942ELNS1_3gpuE9ELNS1_3repE0EEENS1_30default_config_static_selectorELNS0_4arch9wavefront6targetE0EEEvT1_: ; @_ZN7rocprim17ROCPRIM_400000_NS6detail17trampoline_kernelINS0_14default_configENS1_27scan_by_key_config_selectorIllEEZZNS1_16scan_by_key_implILNS1_25lookback_scan_determinismE0ELb0ES3_N6thrust23THRUST_200600_302600_NS16reverse_iteratorIPKlEESD_NSA_IPlEElN6hipcub16HIPCUB_304000_NS3MaxENSH_8EqualityElEE10hipError_tPvRmT2_T3_T4_T5_mT6_T7_P12ihipStream_tbENKUlT_T0_E_clISt17integral_constantIbLb0EESZ_IbLb1EEEEDaSV_SW_EUlSV_E_NS1_11comp_targetILNS1_3genE5ELNS1_11target_archE942ELNS1_3gpuE9ELNS1_3repE0EEENS1_30default_config_static_selectorELNS0_4arch9wavefront6targetE0EEEvT1_
; %bb.0:
	.section	.rodata,"a",@progbits
	.p2align	6, 0x0
	.amdhsa_kernel _ZN7rocprim17ROCPRIM_400000_NS6detail17trampoline_kernelINS0_14default_configENS1_27scan_by_key_config_selectorIllEEZZNS1_16scan_by_key_implILNS1_25lookback_scan_determinismE0ELb0ES3_N6thrust23THRUST_200600_302600_NS16reverse_iteratorIPKlEESD_NSA_IPlEElN6hipcub16HIPCUB_304000_NS3MaxENSH_8EqualityElEE10hipError_tPvRmT2_T3_T4_T5_mT6_T7_P12ihipStream_tbENKUlT_T0_E_clISt17integral_constantIbLb0EESZ_IbLb1EEEEDaSV_SW_EUlSV_E_NS1_11comp_targetILNS1_3genE5ELNS1_11target_archE942ELNS1_3gpuE9ELNS1_3repE0EEENS1_30default_config_static_selectorELNS0_4arch9wavefront6targetE0EEEvT1_
		.amdhsa_group_segment_fixed_size 0
		.amdhsa_private_segment_fixed_size 0
		.amdhsa_kernarg_size 136
		.amdhsa_user_sgpr_count 2
		.amdhsa_user_sgpr_dispatch_ptr 0
		.amdhsa_user_sgpr_queue_ptr 0
		.amdhsa_user_sgpr_kernarg_segment_ptr 1
		.amdhsa_user_sgpr_dispatch_id 0
		.amdhsa_user_sgpr_kernarg_preload_length 0
		.amdhsa_user_sgpr_kernarg_preload_offset 0
		.amdhsa_user_sgpr_private_segment_size 0
		.amdhsa_wavefront_size32 1
		.amdhsa_uses_dynamic_stack 0
		.amdhsa_enable_private_segment 0
		.amdhsa_system_sgpr_workgroup_id_x 1
		.amdhsa_system_sgpr_workgroup_id_y 0
		.amdhsa_system_sgpr_workgroup_id_z 0
		.amdhsa_system_sgpr_workgroup_info 0
		.amdhsa_system_vgpr_workitem_id 0
		.amdhsa_next_free_vgpr 1
		.amdhsa_next_free_sgpr 1
		.amdhsa_named_barrier_count 0
		.amdhsa_reserve_vcc 0
		.amdhsa_float_round_mode_32 0
		.amdhsa_float_round_mode_16_64 0
		.amdhsa_float_denorm_mode_32 3
		.amdhsa_float_denorm_mode_16_64 3
		.amdhsa_fp16_overflow 0
		.amdhsa_memory_ordered 1
		.amdhsa_forward_progress 1
		.amdhsa_inst_pref_size 0
		.amdhsa_round_robin_scheduling 0
		.amdhsa_exception_fp_ieee_invalid_op 0
		.amdhsa_exception_fp_denorm_src 0
		.amdhsa_exception_fp_ieee_div_zero 0
		.amdhsa_exception_fp_ieee_overflow 0
		.amdhsa_exception_fp_ieee_underflow 0
		.amdhsa_exception_fp_ieee_inexact 0
		.amdhsa_exception_int_div_zero 0
	.end_amdhsa_kernel
	.section	.text._ZN7rocprim17ROCPRIM_400000_NS6detail17trampoline_kernelINS0_14default_configENS1_27scan_by_key_config_selectorIllEEZZNS1_16scan_by_key_implILNS1_25lookback_scan_determinismE0ELb0ES3_N6thrust23THRUST_200600_302600_NS16reverse_iteratorIPKlEESD_NSA_IPlEElN6hipcub16HIPCUB_304000_NS3MaxENSH_8EqualityElEE10hipError_tPvRmT2_T3_T4_T5_mT6_T7_P12ihipStream_tbENKUlT_T0_E_clISt17integral_constantIbLb0EESZ_IbLb1EEEEDaSV_SW_EUlSV_E_NS1_11comp_targetILNS1_3genE5ELNS1_11target_archE942ELNS1_3gpuE9ELNS1_3repE0EEENS1_30default_config_static_selectorELNS0_4arch9wavefront6targetE0EEEvT1_,"axG",@progbits,_ZN7rocprim17ROCPRIM_400000_NS6detail17trampoline_kernelINS0_14default_configENS1_27scan_by_key_config_selectorIllEEZZNS1_16scan_by_key_implILNS1_25lookback_scan_determinismE0ELb0ES3_N6thrust23THRUST_200600_302600_NS16reverse_iteratorIPKlEESD_NSA_IPlEElN6hipcub16HIPCUB_304000_NS3MaxENSH_8EqualityElEE10hipError_tPvRmT2_T3_T4_T5_mT6_T7_P12ihipStream_tbENKUlT_T0_E_clISt17integral_constantIbLb0EESZ_IbLb1EEEEDaSV_SW_EUlSV_E_NS1_11comp_targetILNS1_3genE5ELNS1_11target_archE942ELNS1_3gpuE9ELNS1_3repE0EEENS1_30default_config_static_selectorELNS0_4arch9wavefront6targetE0EEEvT1_,comdat
.Lfunc_end169:
	.size	_ZN7rocprim17ROCPRIM_400000_NS6detail17trampoline_kernelINS0_14default_configENS1_27scan_by_key_config_selectorIllEEZZNS1_16scan_by_key_implILNS1_25lookback_scan_determinismE0ELb0ES3_N6thrust23THRUST_200600_302600_NS16reverse_iteratorIPKlEESD_NSA_IPlEElN6hipcub16HIPCUB_304000_NS3MaxENSH_8EqualityElEE10hipError_tPvRmT2_T3_T4_T5_mT6_T7_P12ihipStream_tbENKUlT_T0_E_clISt17integral_constantIbLb0EESZ_IbLb1EEEEDaSV_SW_EUlSV_E_NS1_11comp_targetILNS1_3genE5ELNS1_11target_archE942ELNS1_3gpuE9ELNS1_3repE0EEENS1_30default_config_static_selectorELNS0_4arch9wavefront6targetE0EEEvT1_, .Lfunc_end169-_ZN7rocprim17ROCPRIM_400000_NS6detail17trampoline_kernelINS0_14default_configENS1_27scan_by_key_config_selectorIllEEZZNS1_16scan_by_key_implILNS1_25lookback_scan_determinismE0ELb0ES3_N6thrust23THRUST_200600_302600_NS16reverse_iteratorIPKlEESD_NSA_IPlEElN6hipcub16HIPCUB_304000_NS3MaxENSH_8EqualityElEE10hipError_tPvRmT2_T3_T4_T5_mT6_T7_P12ihipStream_tbENKUlT_T0_E_clISt17integral_constantIbLb0EESZ_IbLb1EEEEDaSV_SW_EUlSV_E_NS1_11comp_targetILNS1_3genE5ELNS1_11target_archE942ELNS1_3gpuE9ELNS1_3repE0EEENS1_30default_config_static_selectorELNS0_4arch9wavefront6targetE0EEEvT1_
                                        ; -- End function
	.set _ZN7rocprim17ROCPRIM_400000_NS6detail17trampoline_kernelINS0_14default_configENS1_27scan_by_key_config_selectorIllEEZZNS1_16scan_by_key_implILNS1_25lookback_scan_determinismE0ELb0ES3_N6thrust23THRUST_200600_302600_NS16reverse_iteratorIPKlEESD_NSA_IPlEElN6hipcub16HIPCUB_304000_NS3MaxENSH_8EqualityElEE10hipError_tPvRmT2_T3_T4_T5_mT6_T7_P12ihipStream_tbENKUlT_T0_E_clISt17integral_constantIbLb0EESZ_IbLb1EEEEDaSV_SW_EUlSV_E_NS1_11comp_targetILNS1_3genE5ELNS1_11target_archE942ELNS1_3gpuE9ELNS1_3repE0EEENS1_30default_config_static_selectorELNS0_4arch9wavefront6targetE0EEEvT1_.num_vgpr, 0
	.set _ZN7rocprim17ROCPRIM_400000_NS6detail17trampoline_kernelINS0_14default_configENS1_27scan_by_key_config_selectorIllEEZZNS1_16scan_by_key_implILNS1_25lookback_scan_determinismE0ELb0ES3_N6thrust23THRUST_200600_302600_NS16reverse_iteratorIPKlEESD_NSA_IPlEElN6hipcub16HIPCUB_304000_NS3MaxENSH_8EqualityElEE10hipError_tPvRmT2_T3_T4_T5_mT6_T7_P12ihipStream_tbENKUlT_T0_E_clISt17integral_constantIbLb0EESZ_IbLb1EEEEDaSV_SW_EUlSV_E_NS1_11comp_targetILNS1_3genE5ELNS1_11target_archE942ELNS1_3gpuE9ELNS1_3repE0EEENS1_30default_config_static_selectorELNS0_4arch9wavefront6targetE0EEEvT1_.num_agpr, 0
	.set _ZN7rocprim17ROCPRIM_400000_NS6detail17trampoline_kernelINS0_14default_configENS1_27scan_by_key_config_selectorIllEEZZNS1_16scan_by_key_implILNS1_25lookback_scan_determinismE0ELb0ES3_N6thrust23THRUST_200600_302600_NS16reverse_iteratorIPKlEESD_NSA_IPlEElN6hipcub16HIPCUB_304000_NS3MaxENSH_8EqualityElEE10hipError_tPvRmT2_T3_T4_T5_mT6_T7_P12ihipStream_tbENKUlT_T0_E_clISt17integral_constantIbLb0EESZ_IbLb1EEEEDaSV_SW_EUlSV_E_NS1_11comp_targetILNS1_3genE5ELNS1_11target_archE942ELNS1_3gpuE9ELNS1_3repE0EEENS1_30default_config_static_selectorELNS0_4arch9wavefront6targetE0EEEvT1_.numbered_sgpr, 0
	.set _ZN7rocprim17ROCPRIM_400000_NS6detail17trampoline_kernelINS0_14default_configENS1_27scan_by_key_config_selectorIllEEZZNS1_16scan_by_key_implILNS1_25lookback_scan_determinismE0ELb0ES3_N6thrust23THRUST_200600_302600_NS16reverse_iteratorIPKlEESD_NSA_IPlEElN6hipcub16HIPCUB_304000_NS3MaxENSH_8EqualityElEE10hipError_tPvRmT2_T3_T4_T5_mT6_T7_P12ihipStream_tbENKUlT_T0_E_clISt17integral_constantIbLb0EESZ_IbLb1EEEEDaSV_SW_EUlSV_E_NS1_11comp_targetILNS1_3genE5ELNS1_11target_archE942ELNS1_3gpuE9ELNS1_3repE0EEENS1_30default_config_static_selectorELNS0_4arch9wavefront6targetE0EEEvT1_.num_named_barrier, 0
	.set _ZN7rocprim17ROCPRIM_400000_NS6detail17trampoline_kernelINS0_14default_configENS1_27scan_by_key_config_selectorIllEEZZNS1_16scan_by_key_implILNS1_25lookback_scan_determinismE0ELb0ES3_N6thrust23THRUST_200600_302600_NS16reverse_iteratorIPKlEESD_NSA_IPlEElN6hipcub16HIPCUB_304000_NS3MaxENSH_8EqualityElEE10hipError_tPvRmT2_T3_T4_T5_mT6_T7_P12ihipStream_tbENKUlT_T0_E_clISt17integral_constantIbLb0EESZ_IbLb1EEEEDaSV_SW_EUlSV_E_NS1_11comp_targetILNS1_3genE5ELNS1_11target_archE942ELNS1_3gpuE9ELNS1_3repE0EEENS1_30default_config_static_selectorELNS0_4arch9wavefront6targetE0EEEvT1_.private_seg_size, 0
	.set _ZN7rocprim17ROCPRIM_400000_NS6detail17trampoline_kernelINS0_14default_configENS1_27scan_by_key_config_selectorIllEEZZNS1_16scan_by_key_implILNS1_25lookback_scan_determinismE0ELb0ES3_N6thrust23THRUST_200600_302600_NS16reverse_iteratorIPKlEESD_NSA_IPlEElN6hipcub16HIPCUB_304000_NS3MaxENSH_8EqualityElEE10hipError_tPvRmT2_T3_T4_T5_mT6_T7_P12ihipStream_tbENKUlT_T0_E_clISt17integral_constantIbLb0EESZ_IbLb1EEEEDaSV_SW_EUlSV_E_NS1_11comp_targetILNS1_3genE5ELNS1_11target_archE942ELNS1_3gpuE9ELNS1_3repE0EEENS1_30default_config_static_selectorELNS0_4arch9wavefront6targetE0EEEvT1_.uses_vcc, 0
	.set _ZN7rocprim17ROCPRIM_400000_NS6detail17trampoline_kernelINS0_14default_configENS1_27scan_by_key_config_selectorIllEEZZNS1_16scan_by_key_implILNS1_25lookback_scan_determinismE0ELb0ES3_N6thrust23THRUST_200600_302600_NS16reverse_iteratorIPKlEESD_NSA_IPlEElN6hipcub16HIPCUB_304000_NS3MaxENSH_8EqualityElEE10hipError_tPvRmT2_T3_T4_T5_mT6_T7_P12ihipStream_tbENKUlT_T0_E_clISt17integral_constantIbLb0EESZ_IbLb1EEEEDaSV_SW_EUlSV_E_NS1_11comp_targetILNS1_3genE5ELNS1_11target_archE942ELNS1_3gpuE9ELNS1_3repE0EEENS1_30default_config_static_selectorELNS0_4arch9wavefront6targetE0EEEvT1_.uses_flat_scratch, 0
	.set _ZN7rocprim17ROCPRIM_400000_NS6detail17trampoline_kernelINS0_14default_configENS1_27scan_by_key_config_selectorIllEEZZNS1_16scan_by_key_implILNS1_25lookback_scan_determinismE0ELb0ES3_N6thrust23THRUST_200600_302600_NS16reverse_iteratorIPKlEESD_NSA_IPlEElN6hipcub16HIPCUB_304000_NS3MaxENSH_8EqualityElEE10hipError_tPvRmT2_T3_T4_T5_mT6_T7_P12ihipStream_tbENKUlT_T0_E_clISt17integral_constantIbLb0EESZ_IbLb1EEEEDaSV_SW_EUlSV_E_NS1_11comp_targetILNS1_3genE5ELNS1_11target_archE942ELNS1_3gpuE9ELNS1_3repE0EEENS1_30default_config_static_selectorELNS0_4arch9wavefront6targetE0EEEvT1_.has_dyn_sized_stack, 0
	.set _ZN7rocprim17ROCPRIM_400000_NS6detail17trampoline_kernelINS0_14default_configENS1_27scan_by_key_config_selectorIllEEZZNS1_16scan_by_key_implILNS1_25lookback_scan_determinismE0ELb0ES3_N6thrust23THRUST_200600_302600_NS16reverse_iteratorIPKlEESD_NSA_IPlEElN6hipcub16HIPCUB_304000_NS3MaxENSH_8EqualityElEE10hipError_tPvRmT2_T3_T4_T5_mT6_T7_P12ihipStream_tbENKUlT_T0_E_clISt17integral_constantIbLb0EESZ_IbLb1EEEEDaSV_SW_EUlSV_E_NS1_11comp_targetILNS1_3genE5ELNS1_11target_archE942ELNS1_3gpuE9ELNS1_3repE0EEENS1_30default_config_static_selectorELNS0_4arch9wavefront6targetE0EEEvT1_.has_recursion, 0
	.set _ZN7rocprim17ROCPRIM_400000_NS6detail17trampoline_kernelINS0_14default_configENS1_27scan_by_key_config_selectorIllEEZZNS1_16scan_by_key_implILNS1_25lookback_scan_determinismE0ELb0ES3_N6thrust23THRUST_200600_302600_NS16reverse_iteratorIPKlEESD_NSA_IPlEElN6hipcub16HIPCUB_304000_NS3MaxENSH_8EqualityElEE10hipError_tPvRmT2_T3_T4_T5_mT6_T7_P12ihipStream_tbENKUlT_T0_E_clISt17integral_constantIbLb0EESZ_IbLb1EEEEDaSV_SW_EUlSV_E_NS1_11comp_targetILNS1_3genE5ELNS1_11target_archE942ELNS1_3gpuE9ELNS1_3repE0EEENS1_30default_config_static_selectorELNS0_4arch9wavefront6targetE0EEEvT1_.has_indirect_call, 0
	.section	.AMDGPU.csdata,"",@progbits
; Kernel info:
; codeLenInByte = 0
; TotalNumSgprs: 0
; NumVgprs: 0
; ScratchSize: 0
; MemoryBound: 0
; FloatMode: 240
; IeeeMode: 1
; LDSByteSize: 0 bytes/workgroup (compile time only)
; SGPRBlocks: 0
; VGPRBlocks: 0
; NumSGPRsForWavesPerEU: 1
; NumVGPRsForWavesPerEU: 1
; NamedBarCnt: 0
; Occupancy: 16
; WaveLimiterHint : 0
; COMPUTE_PGM_RSRC2:SCRATCH_EN: 0
; COMPUTE_PGM_RSRC2:USER_SGPR: 2
; COMPUTE_PGM_RSRC2:TRAP_HANDLER: 0
; COMPUTE_PGM_RSRC2:TGID_X_EN: 1
; COMPUTE_PGM_RSRC2:TGID_Y_EN: 0
; COMPUTE_PGM_RSRC2:TGID_Z_EN: 0
; COMPUTE_PGM_RSRC2:TIDIG_COMP_CNT: 0
	.section	.text._ZN7rocprim17ROCPRIM_400000_NS6detail17trampoline_kernelINS0_14default_configENS1_27scan_by_key_config_selectorIllEEZZNS1_16scan_by_key_implILNS1_25lookback_scan_determinismE0ELb0ES3_N6thrust23THRUST_200600_302600_NS16reverse_iteratorIPKlEESD_NSA_IPlEElN6hipcub16HIPCUB_304000_NS3MaxENSH_8EqualityElEE10hipError_tPvRmT2_T3_T4_T5_mT6_T7_P12ihipStream_tbENKUlT_T0_E_clISt17integral_constantIbLb0EESZ_IbLb1EEEEDaSV_SW_EUlSV_E_NS1_11comp_targetILNS1_3genE4ELNS1_11target_archE910ELNS1_3gpuE8ELNS1_3repE0EEENS1_30default_config_static_selectorELNS0_4arch9wavefront6targetE0EEEvT1_,"axG",@progbits,_ZN7rocprim17ROCPRIM_400000_NS6detail17trampoline_kernelINS0_14default_configENS1_27scan_by_key_config_selectorIllEEZZNS1_16scan_by_key_implILNS1_25lookback_scan_determinismE0ELb0ES3_N6thrust23THRUST_200600_302600_NS16reverse_iteratorIPKlEESD_NSA_IPlEElN6hipcub16HIPCUB_304000_NS3MaxENSH_8EqualityElEE10hipError_tPvRmT2_T3_T4_T5_mT6_T7_P12ihipStream_tbENKUlT_T0_E_clISt17integral_constantIbLb0EESZ_IbLb1EEEEDaSV_SW_EUlSV_E_NS1_11comp_targetILNS1_3genE4ELNS1_11target_archE910ELNS1_3gpuE8ELNS1_3repE0EEENS1_30default_config_static_selectorELNS0_4arch9wavefront6targetE0EEEvT1_,comdat
	.protected	_ZN7rocprim17ROCPRIM_400000_NS6detail17trampoline_kernelINS0_14default_configENS1_27scan_by_key_config_selectorIllEEZZNS1_16scan_by_key_implILNS1_25lookback_scan_determinismE0ELb0ES3_N6thrust23THRUST_200600_302600_NS16reverse_iteratorIPKlEESD_NSA_IPlEElN6hipcub16HIPCUB_304000_NS3MaxENSH_8EqualityElEE10hipError_tPvRmT2_T3_T4_T5_mT6_T7_P12ihipStream_tbENKUlT_T0_E_clISt17integral_constantIbLb0EESZ_IbLb1EEEEDaSV_SW_EUlSV_E_NS1_11comp_targetILNS1_3genE4ELNS1_11target_archE910ELNS1_3gpuE8ELNS1_3repE0EEENS1_30default_config_static_selectorELNS0_4arch9wavefront6targetE0EEEvT1_ ; -- Begin function _ZN7rocprim17ROCPRIM_400000_NS6detail17trampoline_kernelINS0_14default_configENS1_27scan_by_key_config_selectorIllEEZZNS1_16scan_by_key_implILNS1_25lookback_scan_determinismE0ELb0ES3_N6thrust23THRUST_200600_302600_NS16reverse_iteratorIPKlEESD_NSA_IPlEElN6hipcub16HIPCUB_304000_NS3MaxENSH_8EqualityElEE10hipError_tPvRmT2_T3_T4_T5_mT6_T7_P12ihipStream_tbENKUlT_T0_E_clISt17integral_constantIbLb0EESZ_IbLb1EEEEDaSV_SW_EUlSV_E_NS1_11comp_targetILNS1_3genE4ELNS1_11target_archE910ELNS1_3gpuE8ELNS1_3repE0EEENS1_30default_config_static_selectorELNS0_4arch9wavefront6targetE0EEEvT1_
	.globl	_ZN7rocprim17ROCPRIM_400000_NS6detail17trampoline_kernelINS0_14default_configENS1_27scan_by_key_config_selectorIllEEZZNS1_16scan_by_key_implILNS1_25lookback_scan_determinismE0ELb0ES3_N6thrust23THRUST_200600_302600_NS16reverse_iteratorIPKlEESD_NSA_IPlEElN6hipcub16HIPCUB_304000_NS3MaxENSH_8EqualityElEE10hipError_tPvRmT2_T3_T4_T5_mT6_T7_P12ihipStream_tbENKUlT_T0_E_clISt17integral_constantIbLb0EESZ_IbLb1EEEEDaSV_SW_EUlSV_E_NS1_11comp_targetILNS1_3genE4ELNS1_11target_archE910ELNS1_3gpuE8ELNS1_3repE0EEENS1_30default_config_static_selectorELNS0_4arch9wavefront6targetE0EEEvT1_
	.p2align	8
	.type	_ZN7rocprim17ROCPRIM_400000_NS6detail17trampoline_kernelINS0_14default_configENS1_27scan_by_key_config_selectorIllEEZZNS1_16scan_by_key_implILNS1_25lookback_scan_determinismE0ELb0ES3_N6thrust23THRUST_200600_302600_NS16reverse_iteratorIPKlEESD_NSA_IPlEElN6hipcub16HIPCUB_304000_NS3MaxENSH_8EqualityElEE10hipError_tPvRmT2_T3_T4_T5_mT6_T7_P12ihipStream_tbENKUlT_T0_E_clISt17integral_constantIbLb0EESZ_IbLb1EEEEDaSV_SW_EUlSV_E_NS1_11comp_targetILNS1_3genE4ELNS1_11target_archE910ELNS1_3gpuE8ELNS1_3repE0EEENS1_30default_config_static_selectorELNS0_4arch9wavefront6targetE0EEEvT1_,@function
_ZN7rocprim17ROCPRIM_400000_NS6detail17trampoline_kernelINS0_14default_configENS1_27scan_by_key_config_selectorIllEEZZNS1_16scan_by_key_implILNS1_25lookback_scan_determinismE0ELb0ES3_N6thrust23THRUST_200600_302600_NS16reverse_iteratorIPKlEESD_NSA_IPlEElN6hipcub16HIPCUB_304000_NS3MaxENSH_8EqualityElEE10hipError_tPvRmT2_T3_T4_T5_mT6_T7_P12ihipStream_tbENKUlT_T0_E_clISt17integral_constantIbLb0EESZ_IbLb1EEEEDaSV_SW_EUlSV_E_NS1_11comp_targetILNS1_3genE4ELNS1_11target_archE910ELNS1_3gpuE8ELNS1_3repE0EEENS1_30default_config_static_selectorELNS0_4arch9wavefront6targetE0EEEvT1_: ; @_ZN7rocprim17ROCPRIM_400000_NS6detail17trampoline_kernelINS0_14default_configENS1_27scan_by_key_config_selectorIllEEZZNS1_16scan_by_key_implILNS1_25lookback_scan_determinismE0ELb0ES3_N6thrust23THRUST_200600_302600_NS16reverse_iteratorIPKlEESD_NSA_IPlEElN6hipcub16HIPCUB_304000_NS3MaxENSH_8EqualityElEE10hipError_tPvRmT2_T3_T4_T5_mT6_T7_P12ihipStream_tbENKUlT_T0_E_clISt17integral_constantIbLb0EESZ_IbLb1EEEEDaSV_SW_EUlSV_E_NS1_11comp_targetILNS1_3genE4ELNS1_11target_archE910ELNS1_3gpuE8ELNS1_3repE0EEENS1_30default_config_static_selectorELNS0_4arch9wavefront6targetE0EEEvT1_
; %bb.0:
	.section	.rodata,"a",@progbits
	.p2align	6, 0x0
	.amdhsa_kernel _ZN7rocprim17ROCPRIM_400000_NS6detail17trampoline_kernelINS0_14default_configENS1_27scan_by_key_config_selectorIllEEZZNS1_16scan_by_key_implILNS1_25lookback_scan_determinismE0ELb0ES3_N6thrust23THRUST_200600_302600_NS16reverse_iteratorIPKlEESD_NSA_IPlEElN6hipcub16HIPCUB_304000_NS3MaxENSH_8EqualityElEE10hipError_tPvRmT2_T3_T4_T5_mT6_T7_P12ihipStream_tbENKUlT_T0_E_clISt17integral_constantIbLb0EESZ_IbLb1EEEEDaSV_SW_EUlSV_E_NS1_11comp_targetILNS1_3genE4ELNS1_11target_archE910ELNS1_3gpuE8ELNS1_3repE0EEENS1_30default_config_static_selectorELNS0_4arch9wavefront6targetE0EEEvT1_
		.amdhsa_group_segment_fixed_size 0
		.amdhsa_private_segment_fixed_size 0
		.amdhsa_kernarg_size 136
		.amdhsa_user_sgpr_count 2
		.amdhsa_user_sgpr_dispatch_ptr 0
		.amdhsa_user_sgpr_queue_ptr 0
		.amdhsa_user_sgpr_kernarg_segment_ptr 1
		.amdhsa_user_sgpr_dispatch_id 0
		.amdhsa_user_sgpr_kernarg_preload_length 0
		.amdhsa_user_sgpr_kernarg_preload_offset 0
		.amdhsa_user_sgpr_private_segment_size 0
		.amdhsa_wavefront_size32 1
		.amdhsa_uses_dynamic_stack 0
		.amdhsa_enable_private_segment 0
		.amdhsa_system_sgpr_workgroup_id_x 1
		.amdhsa_system_sgpr_workgroup_id_y 0
		.amdhsa_system_sgpr_workgroup_id_z 0
		.amdhsa_system_sgpr_workgroup_info 0
		.amdhsa_system_vgpr_workitem_id 0
		.amdhsa_next_free_vgpr 1
		.amdhsa_next_free_sgpr 1
		.amdhsa_named_barrier_count 0
		.amdhsa_reserve_vcc 0
		.amdhsa_float_round_mode_32 0
		.amdhsa_float_round_mode_16_64 0
		.amdhsa_float_denorm_mode_32 3
		.amdhsa_float_denorm_mode_16_64 3
		.amdhsa_fp16_overflow 0
		.amdhsa_memory_ordered 1
		.amdhsa_forward_progress 1
		.amdhsa_inst_pref_size 0
		.amdhsa_round_robin_scheduling 0
		.amdhsa_exception_fp_ieee_invalid_op 0
		.amdhsa_exception_fp_denorm_src 0
		.amdhsa_exception_fp_ieee_div_zero 0
		.amdhsa_exception_fp_ieee_overflow 0
		.amdhsa_exception_fp_ieee_underflow 0
		.amdhsa_exception_fp_ieee_inexact 0
		.amdhsa_exception_int_div_zero 0
	.end_amdhsa_kernel
	.section	.text._ZN7rocprim17ROCPRIM_400000_NS6detail17trampoline_kernelINS0_14default_configENS1_27scan_by_key_config_selectorIllEEZZNS1_16scan_by_key_implILNS1_25lookback_scan_determinismE0ELb0ES3_N6thrust23THRUST_200600_302600_NS16reverse_iteratorIPKlEESD_NSA_IPlEElN6hipcub16HIPCUB_304000_NS3MaxENSH_8EqualityElEE10hipError_tPvRmT2_T3_T4_T5_mT6_T7_P12ihipStream_tbENKUlT_T0_E_clISt17integral_constantIbLb0EESZ_IbLb1EEEEDaSV_SW_EUlSV_E_NS1_11comp_targetILNS1_3genE4ELNS1_11target_archE910ELNS1_3gpuE8ELNS1_3repE0EEENS1_30default_config_static_selectorELNS0_4arch9wavefront6targetE0EEEvT1_,"axG",@progbits,_ZN7rocprim17ROCPRIM_400000_NS6detail17trampoline_kernelINS0_14default_configENS1_27scan_by_key_config_selectorIllEEZZNS1_16scan_by_key_implILNS1_25lookback_scan_determinismE0ELb0ES3_N6thrust23THRUST_200600_302600_NS16reverse_iteratorIPKlEESD_NSA_IPlEElN6hipcub16HIPCUB_304000_NS3MaxENSH_8EqualityElEE10hipError_tPvRmT2_T3_T4_T5_mT6_T7_P12ihipStream_tbENKUlT_T0_E_clISt17integral_constantIbLb0EESZ_IbLb1EEEEDaSV_SW_EUlSV_E_NS1_11comp_targetILNS1_3genE4ELNS1_11target_archE910ELNS1_3gpuE8ELNS1_3repE0EEENS1_30default_config_static_selectorELNS0_4arch9wavefront6targetE0EEEvT1_,comdat
.Lfunc_end170:
	.size	_ZN7rocprim17ROCPRIM_400000_NS6detail17trampoline_kernelINS0_14default_configENS1_27scan_by_key_config_selectorIllEEZZNS1_16scan_by_key_implILNS1_25lookback_scan_determinismE0ELb0ES3_N6thrust23THRUST_200600_302600_NS16reverse_iteratorIPKlEESD_NSA_IPlEElN6hipcub16HIPCUB_304000_NS3MaxENSH_8EqualityElEE10hipError_tPvRmT2_T3_T4_T5_mT6_T7_P12ihipStream_tbENKUlT_T0_E_clISt17integral_constantIbLb0EESZ_IbLb1EEEEDaSV_SW_EUlSV_E_NS1_11comp_targetILNS1_3genE4ELNS1_11target_archE910ELNS1_3gpuE8ELNS1_3repE0EEENS1_30default_config_static_selectorELNS0_4arch9wavefront6targetE0EEEvT1_, .Lfunc_end170-_ZN7rocprim17ROCPRIM_400000_NS6detail17trampoline_kernelINS0_14default_configENS1_27scan_by_key_config_selectorIllEEZZNS1_16scan_by_key_implILNS1_25lookback_scan_determinismE0ELb0ES3_N6thrust23THRUST_200600_302600_NS16reverse_iteratorIPKlEESD_NSA_IPlEElN6hipcub16HIPCUB_304000_NS3MaxENSH_8EqualityElEE10hipError_tPvRmT2_T3_T4_T5_mT6_T7_P12ihipStream_tbENKUlT_T0_E_clISt17integral_constantIbLb0EESZ_IbLb1EEEEDaSV_SW_EUlSV_E_NS1_11comp_targetILNS1_3genE4ELNS1_11target_archE910ELNS1_3gpuE8ELNS1_3repE0EEENS1_30default_config_static_selectorELNS0_4arch9wavefront6targetE0EEEvT1_
                                        ; -- End function
	.set _ZN7rocprim17ROCPRIM_400000_NS6detail17trampoline_kernelINS0_14default_configENS1_27scan_by_key_config_selectorIllEEZZNS1_16scan_by_key_implILNS1_25lookback_scan_determinismE0ELb0ES3_N6thrust23THRUST_200600_302600_NS16reverse_iteratorIPKlEESD_NSA_IPlEElN6hipcub16HIPCUB_304000_NS3MaxENSH_8EqualityElEE10hipError_tPvRmT2_T3_T4_T5_mT6_T7_P12ihipStream_tbENKUlT_T0_E_clISt17integral_constantIbLb0EESZ_IbLb1EEEEDaSV_SW_EUlSV_E_NS1_11comp_targetILNS1_3genE4ELNS1_11target_archE910ELNS1_3gpuE8ELNS1_3repE0EEENS1_30default_config_static_selectorELNS0_4arch9wavefront6targetE0EEEvT1_.num_vgpr, 0
	.set _ZN7rocprim17ROCPRIM_400000_NS6detail17trampoline_kernelINS0_14default_configENS1_27scan_by_key_config_selectorIllEEZZNS1_16scan_by_key_implILNS1_25lookback_scan_determinismE0ELb0ES3_N6thrust23THRUST_200600_302600_NS16reverse_iteratorIPKlEESD_NSA_IPlEElN6hipcub16HIPCUB_304000_NS3MaxENSH_8EqualityElEE10hipError_tPvRmT2_T3_T4_T5_mT6_T7_P12ihipStream_tbENKUlT_T0_E_clISt17integral_constantIbLb0EESZ_IbLb1EEEEDaSV_SW_EUlSV_E_NS1_11comp_targetILNS1_3genE4ELNS1_11target_archE910ELNS1_3gpuE8ELNS1_3repE0EEENS1_30default_config_static_selectorELNS0_4arch9wavefront6targetE0EEEvT1_.num_agpr, 0
	.set _ZN7rocprim17ROCPRIM_400000_NS6detail17trampoline_kernelINS0_14default_configENS1_27scan_by_key_config_selectorIllEEZZNS1_16scan_by_key_implILNS1_25lookback_scan_determinismE0ELb0ES3_N6thrust23THRUST_200600_302600_NS16reverse_iteratorIPKlEESD_NSA_IPlEElN6hipcub16HIPCUB_304000_NS3MaxENSH_8EqualityElEE10hipError_tPvRmT2_T3_T4_T5_mT6_T7_P12ihipStream_tbENKUlT_T0_E_clISt17integral_constantIbLb0EESZ_IbLb1EEEEDaSV_SW_EUlSV_E_NS1_11comp_targetILNS1_3genE4ELNS1_11target_archE910ELNS1_3gpuE8ELNS1_3repE0EEENS1_30default_config_static_selectorELNS0_4arch9wavefront6targetE0EEEvT1_.numbered_sgpr, 0
	.set _ZN7rocprim17ROCPRIM_400000_NS6detail17trampoline_kernelINS0_14default_configENS1_27scan_by_key_config_selectorIllEEZZNS1_16scan_by_key_implILNS1_25lookback_scan_determinismE0ELb0ES3_N6thrust23THRUST_200600_302600_NS16reverse_iteratorIPKlEESD_NSA_IPlEElN6hipcub16HIPCUB_304000_NS3MaxENSH_8EqualityElEE10hipError_tPvRmT2_T3_T4_T5_mT6_T7_P12ihipStream_tbENKUlT_T0_E_clISt17integral_constantIbLb0EESZ_IbLb1EEEEDaSV_SW_EUlSV_E_NS1_11comp_targetILNS1_3genE4ELNS1_11target_archE910ELNS1_3gpuE8ELNS1_3repE0EEENS1_30default_config_static_selectorELNS0_4arch9wavefront6targetE0EEEvT1_.num_named_barrier, 0
	.set _ZN7rocprim17ROCPRIM_400000_NS6detail17trampoline_kernelINS0_14default_configENS1_27scan_by_key_config_selectorIllEEZZNS1_16scan_by_key_implILNS1_25lookback_scan_determinismE0ELb0ES3_N6thrust23THRUST_200600_302600_NS16reverse_iteratorIPKlEESD_NSA_IPlEElN6hipcub16HIPCUB_304000_NS3MaxENSH_8EqualityElEE10hipError_tPvRmT2_T3_T4_T5_mT6_T7_P12ihipStream_tbENKUlT_T0_E_clISt17integral_constantIbLb0EESZ_IbLb1EEEEDaSV_SW_EUlSV_E_NS1_11comp_targetILNS1_3genE4ELNS1_11target_archE910ELNS1_3gpuE8ELNS1_3repE0EEENS1_30default_config_static_selectorELNS0_4arch9wavefront6targetE0EEEvT1_.private_seg_size, 0
	.set _ZN7rocprim17ROCPRIM_400000_NS6detail17trampoline_kernelINS0_14default_configENS1_27scan_by_key_config_selectorIllEEZZNS1_16scan_by_key_implILNS1_25lookback_scan_determinismE0ELb0ES3_N6thrust23THRUST_200600_302600_NS16reverse_iteratorIPKlEESD_NSA_IPlEElN6hipcub16HIPCUB_304000_NS3MaxENSH_8EqualityElEE10hipError_tPvRmT2_T3_T4_T5_mT6_T7_P12ihipStream_tbENKUlT_T0_E_clISt17integral_constantIbLb0EESZ_IbLb1EEEEDaSV_SW_EUlSV_E_NS1_11comp_targetILNS1_3genE4ELNS1_11target_archE910ELNS1_3gpuE8ELNS1_3repE0EEENS1_30default_config_static_selectorELNS0_4arch9wavefront6targetE0EEEvT1_.uses_vcc, 0
	.set _ZN7rocprim17ROCPRIM_400000_NS6detail17trampoline_kernelINS0_14default_configENS1_27scan_by_key_config_selectorIllEEZZNS1_16scan_by_key_implILNS1_25lookback_scan_determinismE0ELb0ES3_N6thrust23THRUST_200600_302600_NS16reverse_iteratorIPKlEESD_NSA_IPlEElN6hipcub16HIPCUB_304000_NS3MaxENSH_8EqualityElEE10hipError_tPvRmT2_T3_T4_T5_mT6_T7_P12ihipStream_tbENKUlT_T0_E_clISt17integral_constantIbLb0EESZ_IbLb1EEEEDaSV_SW_EUlSV_E_NS1_11comp_targetILNS1_3genE4ELNS1_11target_archE910ELNS1_3gpuE8ELNS1_3repE0EEENS1_30default_config_static_selectorELNS0_4arch9wavefront6targetE0EEEvT1_.uses_flat_scratch, 0
	.set _ZN7rocprim17ROCPRIM_400000_NS6detail17trampoline_kernelINS0_14default_configENS1_27scan_by_key_config_selectorIllEEZZNS1_16scan_by_key_implILNS1_25lookback_scan_determinismE0ELb0ES3_N6thrust23THRUST_200600_302600_NS16reverse_iteratorIPKlEESD_NSA_IPlEElN6hipcub16HIPCUB_304000_NS3MaxENSH_8EqualityElEE10hipError_tPvRmT2_T3_T4_T5_mT6_T7_P12ihipStream_tbENKUlT_T0_E_clISt17integral_constantIbLb0EESZ_IbLb1EEEEDaSV_SW_EUlSV_E_NS1_11comp_targetILNS1_3genE4ELNS1_11target_archE910ELNS1_3gpuE8ELNS1_3repE0EEENS1_30default_config_static_selectorELNS0_4arch9wavefront6targetE0EEEvT1_.has_dyn_sized_stack, 0
	.set _ZN7rocprim17ROCPRIM_400000_NS6detail17trampoline_kernelINS0_14default_configENS1_27scan_by_key_config_selectorIllEEZZNS1_16scan_by_key_implILNS1_25lookback_scan_determinismE0ELb0ES3_N6thrust23THRUST_200600_302600_NS16reverse_iteratorIPKlEESD_NSA_IPlEElN6hipcub16HIPCUB_304000_NS3MaxENSH_8EqualityElEE10hipError_tPvRmT2_T3_T4_T5_mT6_T7_P12ihipStream_tbENKUlT_T0_E_clISt17integral_constantIbLb0EESZ_IbLb1EEEEDaSV_SW_EUlSV_E_NS1_11comp_targetILNS1_3genE4ELNS1_11target_archE910ELNS1_3gpuE8ELNS1_3repE0EEENS1_30default_config_static_selectorELNS0_4arch9wavefront6targetE0EEEvT1_.has_recursion, 0
	.set _ZN7rocprim17ROCPRIM_400000_NS6detail17trampoline_kernelINS0_14default_configENS1_27scan_by_key_config_selectorIllEEZZNS1_16scan_by_key_implILNS1_25lookback_scan_determinismE0ELb0ES3_N6thrust23THRUST_200600_302600_NS16reverse_iteratorIPKlEESD_NSA_IPlEElN6hipcub16HIPCUB_304000_NS3MaxENSH_8EqualityElEE10hipError_tPvRmT2_T3_T4_T5_mT6_T7_P12ihipStream_tbENKUlT_T0_E_clISt17integral_constantIbLb0EESZ_IbLb1EEEEDaSV_SW_EUlSV_E_NS1_11comp_targetILNS1_3genE4ELNS1_11target_archE910ELNS1_3gpuE8ELNS1_3repE0EEENS1_30default_config_static_selectorELNS0_4arch9wavefront6targetE0EEEvT1_.has_indirect_call, 0
	.section	.AMDGPU.csdata,"",@progbits
; Kernel info:
; codeLenInByte = 0
; TotalNumSgprs: 0
; NumVgprs: 0
; ScratchSize: 0
; MemoryBound: 0
; FloatMode: 240
; IeeeMode: 1
; LDSByteSize: 0 bytes/workgroup (compile time only)
; SGPRBlocks: 0
; VGPRBlocks: 0
; NumSGPRsForWavesPerEU: 1
; NumVGPRsForWavesPerEU: 1
; NamedBarCnt: 0
; Occupancy: 16
; WaveLimiterHint : 0
; COMPUTE_PGM_RSRC2:SCRATCH_EN: 0
; COMPUTE_PGM_RSRC2:USER_SGPR: 2
; COMPUTE_PGM_RSRC2:TRAP_HANDLER: 0
; COMPUTE_PGM_RSRC2:TGID_X_EN: 1
; COMPUTE_PGM_RSRC2:TGID_Y_EN: 0
; COMPUTE_PGM_RSRC2:TGID_Z_EN: 0
; COMPUTE_PGM_RSRC2:TIDIG_COMP_CNT: 0
	.section	.text._ZN7rocprim17ROCPRIM_400000_NS6detail17trampoline_kernelINS0_14default_configENS1_27scan_by_key_config_selectorIllEEZZNS1_16scan_by_key_implILNS1_25lookback_scan_determinismE0ELb0ES3_N6thrust23THRUST_200600_302600_NS16reverse_iteratorIPKlEESD_NSA_IPlEElN6hipcub16HIPCUB_304000_NS3MaxENSH_8EqualityElEE10hipError_tPvRmT2_T3_T4_T5_mT6_T7_P12ihipStream_tbENKUlT_T0_E_clISt17integral_constantIbLb0EESZ_IbLb1EEEEDaSV_SW_EUlSV_E_NS1_11comp_targetILNS1_3genE3ELNS1_11target_archE908ELNS1_3gpuE7ELNS1_3repE0EEENS1_30default_config_static_selectorELNS0_4arch9wavefront6targetE0EEEvT1_,"axG",@progbits,_ZN7rocprim17ROCPRIM_400000_NS6detail17trampoline_kernelINS0_14default_configENS1_27scan_by_key_config_selectorIllEEZZNS1_16scan_by_key_implILNS1_25lookback_scan_determinismE0ELb0ES3_N6thrust23THRUST_200600_302600_NS16reverse_iteratorIPKlEESD_NSA_IPlEElN6hipcub16HIPCUB_304000_NS3MaxENSH_8EqualityElEE10hipError_tPvRmT2_T3_T4_T5_mT6_T7_P12ihipStream_tbENKUlT_T0_E_clISt17integral_constantIbLb0EESZ_IbLb1EEEEDaSV_SW_EUlSV_E_NS1_11comp_targetILNS1_3genE3ELNS1_11target_archE908ELNS1_3gpuE7ELNS1_3repE0EEENS1_30default_config_static_selectorELNS0_4arch9wavefront6targetE0EEEvT1_,comdat
	.protected	_ZN7rocprim17ROCPRIM_400000_NS6detail17trampoline_kernelINS0_14default_configENS1_27scan_by_key_config_selectorIllEEZZNS1_16scan_by_key_implILNS1_25lookback_scan_determinismE0ELb0ES3_N6thrust23THRUST_200600_302600_NS16reverse_iteratorIPKlEESD_NSA_IPlEElN6hipcub16HIPCUB_304000_NS3MaxENSH_8EqualityElEE10hipError_tPvRmT2_T3_T4_T5_mT6_T7_P12ihipStream_tbENKUlT_T0_E_clISt17integral_constantIbLb0EESZ_IbLb1EEEEDaSV_SW_EUlSV_E_NS1_11comp_targetILNS1_3genE3ELNS1_11target_archE908ELNS1_3gpuE7ELNS1_3repE0EEENS1_30default_config_static_selectorELNS0_4arch9wavefront6targetE0EEEvT1_ ; -- Begin function _ZN7rocprim17ROCPRIM_400000_NS6detail17trampoline_kernelINS0_14default_configENS1_27scan_by_key_config_selectorIllEEZZNS1_16scan_by_key_implILNS1_25lookback_scan_determinismE0ELb0ES3_N6thrust23THRUST_200600_302600_NS16reverse_iteratorIPKlEESD_NSA_IPlEElN6hipcub16HIPCUB_304000_NS3MaxENSH_8EqualityElEE10hipError_tPvRmT2_T3_T4_T5_mT6_T7_P12ihipStream_tbENKUlT_T0_E_clISt17integral_constantIbLb0EESZ_IbLb1EEEEDaSV_SW_EUlSV_E_NS1_11comp_targetILNS1_3genE3ELNS1_11target_archE908ELNS1_3gpuE7ELNS1_3repE0EEENS1_30default_config_static_selectorELNS0_4arch9wavefront6targetE0EEEvT1_
	.globl	_ZN7rocprim17ROCPRIM_400000_NS6detail17trampoline_kernelINS0_14default_configENS1_27scan_by_key_config_selectorIllEEZZNS1_16scan_by_key_implILNS1_25lookback_scan_determinismE0ELb0ES3_N6thrust23THRUST_200600_302600_NS16reverse_iteratorIPKlEESD_NSA_IPlEElN6hipcub16HIPCUB_304000_NS3MaxENSH_8EqualityElEE10hipError_tPvRmT2_T3_T4_T5_mT6_T7_P12ihipStream_tbENKUlT_T0_E_clISt17integral_constantIbLb0EESZ_IbLb1EEEEDaSV_SW_EUlSV_E_NS1_11comp_targetILNS1_3genE3ELNS1_11target_archE908ELNS1_3gpuE7ELNS1_3repE0EEENS1_30default_config_static_selectorELNS0_4arch9wavefront6targetE0EEEvT1_
	.p2align	8
	.type	_ZN7rocprim17ROCPRIM_400000_NS6detail17trampoline_kernelINS0_14default_configENS1_27scan_by_key_config_selectorIllEEZZNS1_16scan_by_key_implILNS1_25lookback_scan_determinismE0ELb0ES3_N6thrust23THRUST_200600_302600_NS16reverse_iteratorIPKlEESD_NSA_IPlEElN6hipcub16HIPCUB_304000_NS3MaxENSH_8EqualityElEE10hipError_tPvRmT2_T3_T4_T5_mT6_T7_P12ihipStream_tbENKUlT_T0_E_clISt17integral_constantIbLb0EESZ_IbLb1EEEEDaSV_SW_EUlSV_E_NS1_11comp_targetILNS1_3genE3ELNS1_11target_archE908ELNS1_3gpuE7ELNS1_3repE0EEENS1_30default_config_static_selectorELNS0_4arch9wavefront6targetE0EEEvT1_,@function
_ZN7rocprim17ROCPRIM_400000_NS6detail17trampoline_kernelINS0_14default_configENS1_27scan_by_key_config_selectorIllEEZZNS1_16scan_by_key_implILNS1_25lookback_scan_determinismE0ELb0ES3_N6thrust23THRUST_200600_302600_NS16reverse_iteratorIPKlEESD_NSA_IPlEElN6hipcub16HIPCUB_304000_NS3MaxENSH_8EqualityElEE10hipError_tPvRmT2_T3_T4_T5_mT6_T7_P12ihipStream_tbENKUlT_T0_E_clISt17integral_constantIbLb0EESZ_IbLb1EEEEDaSV_SW_EUlSV_E_NS1_11comp_targetILNS1_3genE3ELNS1_11target_archE908ELNS1_3gpuE7ELNS1_3repE0EEENS1_30default_config_static_selectorELNS0_4arch9wavefront6targetE0EEEvT1_: ; @_ZN7rocprim17ROCPRIM_400000_NS6detail17trampoline_kernelINS0_14default_configENS1_27scan_by_key_config_selectorIllEEZZNS1_16scan_by_key_implILNS1_25lookback_scan_determinismE0ELb0ES3_N6thrust23THRUST_200600_302600_NS16reverse_iteratorIPKlEESD_NSA_IPlEElN6hipcub16HIPCUB_304000_NS3MaxENSH_8EqualityElEE10hipError_tPvRmT2_T3_T4_T5_mT6_T7_P12ihipStream_tbENKUlT_T0_E_clISt17integral_constantIbLb0EESZ_IbLb1EEEEDaSV_SW_EUlSV_E_NS1_11comp_targetILNS1_3genE3ELNS1_11target_archE908ELNS1_3gpuE7ELNS1_3repE0EEENS1_30default_config_static_selectorELNS0_4arch9wavefront6targetE0EEEvT1_
; %bb.0:
	.section	.rodata,"a",@progbits
	.p2align	6, 0x0
	.amdhsa_kernel _ZN7rocprim17ROCPRIM_400000_NS6detail17trampoline_kernelINS0_14default_configENS1_27scan_by_key_config_selectorIllEEZZNS1_16scan_by_key_implILNS1_25lookback_scan_determinismE0ELb0ES3_N6thrust23THRUST_200600_302600_NS16reverse_iteratorIPKlEESD_NSA_IPlEElN6hipcub16HIPCUB_304000_NS3MaxENSH_8EqualityElEE10hipError_tPvRmT2_T3_T4_T5_mT6_T7_P12ihipStream_tbENKUlT_T0_E_clISt17integral_constantIbLb0EESZ_IbLb1EEEEDaSV_SW_EUlSV_E_NS1_11comp_targetILNS1_3genE3ELNS1_11target_archE908ELNS1_3gpuE7ELNS1_3repE0EEENS1_30default_config_static_selectorELNS0_4arch9wavefront6targetE0EEEvT1_
		.amdhsa_group_segment_fixed_size 0
		.amdhsa_private_segment_fixed_size 0
		.amdhsa_kernarg_size 136
		.amdhsa_user_sgpr_count 2
		.amdhsa_user_sgpr_dispatch_ptr 0
		.amdhsa_user_sgpr_queue_ptr 0
		.amdhsa_user_sgpr_kernarg_segment_ptr 1
		.amdhsa_user_sgpr_dispatch_id 0
		.amdhsa_user_sgpr_kernarg_preload_length 0
		.amdhsa_user_sgpr_kernarg_preload_offset 0
		.amdhsa_user_sgpr_private_segment_size 0
		.amdhsa_wavefront_size32 1
		.amdhsa_uses_dynamic_stack 0
		.amdhsa_enable_private_segment 0
		.amdhsa_system_sgpr_workgroup_id_x 1
		.amdhsa_system_sgpr_workgroup_id_y 0
		.amdhsa_system_sgpr_workgroup_id_z 0
		.amdhsa_system_sgpr_workgroup_info 0
		.amdhsa_system_vgpr_workitem_id 0
		.amdhsa_next_free_vgpr 1
		.amdhsa_next_free_sgpr 1
		.amdhsa_named_barrier_count 0
		.amdhsa_reserve_vcc 0
		.amdhsa_float_round_mode_32 0
		.amdhsa_float_round_mode_16_64 0
		.amdhsa_float_denorm_mode_32 3
		.amdhsa_float_denorm_mode_16_64 3
		.amdhsa_fp16_overflow 0
		.amdhsa_memory_ordered 1
		.amdhsa_forward_progress 1
		.amdhsa_inst_pref_size 0
		.amdhsa_round_robin_scheduling 0
		.amdhsa_exception_fp_ieee_invalid_op 0
		.amdhsa_exception_fp_denorm_src 0
		.amdhsa_exception_fp_ieee_div_zero 0
		.amdhsa_exception_fp_ieee_overflow 0
		.amdhsa_exception_fp_ieee_underflow 0
		.amdhsa_exception_fp_ieee_inexact 0
		.amdhsa_exception_int_div_zero 0
	.end_amdhsa_kernel
	.section	.text._ZN7rocprim17ROCPRIM_400000_NS6detail17trampoline_kernelINS0_14default_configENS1_27scan_by_key_config_selectorIllEEZZNS1_16scan_by_key_implILNS1_25lookback_scan_determinismE0ELb0ES3_N6thrust23THRUST_200600_302600_NS16reverse_iteratorIPKlEESD_NSA_IPlEElN6hipcub16HIPCUB_304000_NS3MaxENSH_8EqualityElEE10hipError_tPvRmT2_T3_T4_T5_mT6_T7_P12ihipStream_tbENKUlT_T0_E_clISt17integral_constantIbLb0EESZ_IbLb1EEEEDaSV_SW_EUlSV_E_NS1_11comp_targetILNS1_3genE3ELNS1_11target_archE908ELNS1_3gpuE7ELNS1_3repE0EEENS1_30default_config_static_selectorELNS0_4arch9wavefront6targetE0EEEvT1_,"axG",@progbits,_ZN7rocprim17ROCPRIM_400000_NS6detail17trampoline_kernelINS0_14default_configENS1_27scan_by_key_config_selectorIllEEZZNS1_16scan_by_key_implILNS1_25lookback_scan_determinismE0ELb0ES3_N6thrust23THRUST_200600_302600_NS16reverse_iteratorIPKlEESD_NSA_IPlEElN6hipcub16HIPCUB_304000_NS3MaxENSH_8EqualityElEE10hipError_tPvRmT2_T3_T4_T5_mT6_T7_P12ihipStream_tbENKUlT_T0_E_clISt17integral_constantIbLb0EESZ_IbLb1EEEEDaSV_SW_EUlSV_E_NS1_11comp_targetILNS1_3genE3ELNS1_11target_archE908ELNS1_3gpuE7ELNS1_3repE0EEENS1_30default_config_static_selectorELNS0_4arch9wavefront6targetE0EEEvT1_,comdat
.Lfunc_end171:
	.size	_ZN7rocprim17ROCPRIM_400000_NS6detail17trampoline_kernelINS0_14default_configENS1_27scan_by_key_config_selectorIllEEZZNS1_16scan_by_key_implILNS1_25lookback_scan_determinismE0ELb0ES3_N6thrust23THRUST_200600_302600_NS16reverse_iteratorIPKlEESD_NSA_IPlEElN6hipcub16HIPCUB_304000_NS3MaxENSH_8EqualityElEE10hipError_tPvRmT2_T3_T4_T5_mT6_T7_P12ihipStream_tbENKUlT_T0_E_clISt17integral_constantIbLb0EESZ_IbLb1EEEEDaSV_SW_EUlSV_E_NS1_11comp_targetILNS1_3genE3ELNS1_11target_archE908ELNS1_3gpuE7ELNS1_3repE0EEENS1_30default_config_static_selectorELNS0_4arch9wavefront6targetE0EEEvT1_, .Lfunc_end171-_ZN7rocprim17ROCPRIM_400000_NS6detail17trampoline_kernelINS0_14default_configENS1_27scan_by_key_config_selectorIllEEZZNS1_16scan_by_key_implILNS1_25lookback_scan_determinismE0ELb0ES3_N6thrust23THRUST_200600_302600_NS16reverse_iteratorIPKlEESD_NSA_IPlEElN6hipcub16HIPCUB_304000_NS3MaxENSH_8EqualityElEE10hipError_tPvRmT2_T3_T4_T5_mT6_T7_P12ihipStream_tbENKUlT_T0_E_clISt17integral_constantIbLb0EESZ_IbLb1EEEEDaSV_SW_EUlSV_E_NS1_11comp_targetILNS1_3genE3ELNS1_11target_archE908ELNS1_3gpuE7ELNS1_3repE0EEENS1_30default_config_static_selectorELNS0_4arch9wavefront6targetE0EEEvT1_
                                        ; -- End function
	.set _ZN7rocprim17ROCPRIM_400000_NS6detail17trampoline_kernelINS0_14default_configENS1_27scan_by_key_config_selectorIllEEZZNS1_16scan_by_key_implILNS1_25lookback_scan_determinismE0ELb0ES3_N6thrust23THRUST_200600_302600_NS16reverse_iteratorIPKlEESD_NSA_IPlEElN6hipcub16HIPCUB_304000_NS3MaxENSH_8EqualityElEE10hipError_tPvRmT2_T3_T4_T5_mT6_T7_P12ihipStream_tbENKUlT_T0_E_clISt17integral_constantIbLb0EESZ_IbLb1EEEEDaSV_SW_EUlSV_E_NS1_11comp_targetILNS1_3genE3ELNS1_11target_archE908ELNS1_3gpuE7ELNS1_3repE0EEENS1_30default_config_static_selectorELNS0_4arch9wavefront6targetE0EEEvT1_.num_vgpr, 0
	.set _ZN7rocprim17ROCPRIM_400000_NS6detail17trampoline_kernelINS0_14default_configENS1_27scan_by_key_config_selectorIllEEZZNS1_16scan_by_key_implILNS1_25lookback_scan_determinismE0ELb0ES3_N6thrust23THRUST_200600_302600_NS16reverse_iteratorIPKlEESD_NSA_IPlEElN6hipcub16HIPCUB_304000_NS3MaxENSH_8EqualityElEE10hipError_tPvRmT2_T3_T4_T5_mT6_T7_P12ihipStream_tbENKUlT_T0_E_clISt17integral_constantIbLb0EESZ_IbLb1EEEEDaSV_SW_EUlSV_E_NS1_11comp_targetILNS1_3genE3ELNS1_11target_archE908ELNS1_3gpuE7ELNS1_3repE0EEENS1_30default_config_static_selectorELNS0_4arch9wavefront6targetE0EEEvT1_.num_agpr, 0
	.set _ZN7rocprim17ROCPRIM_400000_NS6detail17trampoline_kernelINS0_14default_configENS1_27scan_by_key_config_selectorIllEEZZNS1_16scan_by_key_implILNS1_25lookback_scan_determinismE0ELb0ES3_N6thrust23THRUST_200600_302600_NS16reverse_iteratorIPKlEESD_NSA_IPlEElN6hipcub16HIPCUB_304000_NS3MaxENSH_8EqualityElEE10hipError_tPvRmT2_T3_T4_T5_mT6_T7_P12ihipStream_tbENKUlT_T0_E_clISt17integral_constantIbLb0EESZ_IbLb1EEEEDaSV_SW_EUlSV_E_NS1_11comp_targetILNS1_3genE3ELNS1_11target_archE908ELNS1_3gpuE7ELNS1_3repE0EEENS1_30default_config_static_selectorELNS0_4arch9wavefront6targetE0EEEvT1_.numbered_sgpr, 0
	.set _ZN7rocprim17ROCPRIM_400000_NS6detail17trampoline_kernelINS0_14default_configENS1_27scan_by_key_config_selectorIllEEZZNS1_16scan_by_key_implILNS1_25lookback_scan_determinismE0ELb0ES3_N6thrust23THRUST_200600_302600_NS16reverse_iteratorIPKlEESD_NSA_IPlEElN6hipcub16HIPCUB_304000_NS3MaxENSH_8EqualityElEE10hipError_tPvRmT2_T3_T4_T5_mT6_T7_P12ihipStream_tbENKUlT_T0_E_clISt17integral_constantIbLb0EESZ_IbLb1EEEEDaSV_SW_EUlSV_E_NS1_11comp_targetILNS1_3genE3ELNS1_11target_archE908ELNS1_3gpuE7ELNS1_3repE0EEENS1_30default_config_static_selectorELNS0_4arch9wavefront6targetE0EEEvT1_.num_named_barrier, 0
	.set _ZN7rocprim17ROCPRIM_400000_NS6detail17trampoline_kernelINS0_14default_configENS1_27scan_by_key_config_selectorIllEEZZNS1_16scan_by_key_implILNS1_25lookback_scan_determinismE0ELb0ES3_N6thrust23THRUST_200600_302600_NS16reverse_iteratorIPKlEESD_NSA_IPlEElN6hipcub16HIPCUB_304000_NS3MaxENSH_8EqualityElEE10hipError_tPvRmT2_T3_T4_T5_mT6_T7_P12ihipStream_tbENKUlT_T0_E_clISt17integral_constantIbLb0EESZ_IbLb1EEEEDaSV_SW_EUlSV_E_NS1_11comp_targetILNS1_3genE3ELNS1_11target_archE908ELNS1_3gpuE7ELNS1_3repE0EEENS1_30default_config_static_selectorELNS0_4arch9wavefront6targetE0EEEvT1_.private_seg_size, 0
	.set _ZN7rocprim17ROCPRIM_400000_NS6detail17trampoline_kernelINS0_14default_configENS1_27scan_by_key_config_selectorIllEEZZNS1_16scan_by_key_implILNS1_25lookback_scan_determinismE0ELb0ES3_N6thrust23THRUST_200600_302600_NS16reverse_iteratorIPKlEESD_NSA_IPlEElN6hipcub16HIPCUB_304000_NS3MaxENSH_8EqualityElEE10hipError_tPvRmT2_T3_T4_T5_mT6_T7_P12ihipStream_tbENKUlT_T0_E_clISt17integral_constantIbLb0EESZ_IbLb1EEEEDaSV_SW_EUlSV_E_NS1_11comp_targetILNS1_3genE3ELNS1_11target_archE908ELNS1_3gpuE7ELNS1_3repE0EEENS1_30default_config_static_selectorELNS0_4arch9wavefront6targetE0EEEvT1_.uses_vcc, 0
	.set _ZN7rocprim17ROCPRIM_400000_NS6detail17trampoline_kernelINS0_14default_configENS1_27scan_by_key_config_selectorIllEEZZNS1_16scan_by_key_implILNS1_25lookback_scan_determinismE0ELb0ES3_N6thrust23THRUST_200600_302600_NS16reverse_iteratorIPKlEESD_NSA_IPlEElN6hipcub16HIPCUB_304000_NS3MaxENSH_8EqualityElEE10hipError_tPvRmT2_T3_T4_T5_mT6_T7_P12ihipStream_tbENKUlT_T0_E_clISt17integral_constantIbLb0EESZ_IbLb1EEEEDaSV_SW_EUlSV_E_NS1_11comp_targetILNS1_3genE3ELNS1_11target_archE908ELNS1_3gpuE7ELNS1_3repE0EEENS1_30default_config_static_selectorELNS0_4arch9wavefront6targetE0EEEvT1_.uses_flat_scratch, 0
	.set _ZN7rocprim17ROCPRIM_400000_NS6detail17trampoline_kernelINS0_14default_configENS1_27scan_by_key_config_selectorIllEEZZNS1_16scan_by_key_implILNS1_25lookback_scan_determinismE0ELb0ES3_N6thrust23THRUST_200600_302600_NS16reverse_iteratorIPKlEESD_NSA_IPlEElN6hipcub16HIPCUB_304000_NS3MaxENSH_8EqualityElEE10hipError_tPvRmT2_T3_T4_T5_mT6_T7_P12ihipStream_tbENKUlT_T0_E_clISt17integral_constantIbLb0EESZ_IbLb1EEEEDaSV_SW_EUlSV_E_NS1_11comp_targetILNS1_3genE3ELNS1_11target_archE908ELNS1_3gpuE7ELNS1_3repE0EEENS1_30default_config_static_selectorELNS0_4arch9wavefront6targetE0EEEvT1_.has_dyn_sized_stack, 0
	.set _ZN7rocprim17ROCPRIM_400000_NS6detail17trampoline_kernelINS0_14default_configENS1_27scan_by_key_config_selectorIllEEZZNS1_16scan_by_key_implILNS1_25lookback_scan_determinismE0ELb0ES3_N6thrust23THRUST_200600_302600_NS16reverse_iteratorIPKlEESD_NSA_IPlEElN6hipcub16HIPCUB_304000_NS3MaxENSH_8EqualityElEE10hipError_tPvRmT2_T3_T4_T5_mT6_T7_P12ihipStream_tbENKUlT_T0_E_clISt17integral_constantIbLb0EESZ_IbLb1EEEEDaSV_SW_EUlSV_E_NS1_11comp_targetILNS1_3genE3ELNS1_11target_archE908ELNS1_3gpuE7ELNS1_3repE0EEENS1_30default_config_static_selectorELNS0_4arch9wavefront6targetE0EEEvT1_.has_recursion, 0
	.set _ZN7rocprim17ROCPRIM_400000_NS6detail17trampoline_kernelINS0_14default_configENS1_27scan_by_key_config_selectorIllEEZZNS1_16scan_by_key_implILNS1_25lookback_scan_determinismE0ELb0ES3_N6thrust23THRUST_200600_302600_NS16reverse_iteratorIPKlEESD_NSA_IPlEElN6hipcub16HIPCUB_304000_NS3MaxENSH_8EqualityElEE10hipError_tPvRmT2_T3_T4_T5_mT6_T7_P12ihipStream_tbENKUlT_T0_E_clISt17integral_constantIbLb0EESZ_IbLb1EEEEDaSV_SW_EUlSV_E_NS1_11comp_targetILNS1_3genE3ELNS1_11target_archE908ELNS1_3gpuE7ELNS1_3repE0EEENS1_30default_config_static_selectorELNS0_4arch9wavefront6targetE0EEEvT1_.has_indirect_call, 0
	.section	.AMDGPU.csdata,"",@progbits
; Kernel info:
; codeLenInByte = 0
; TotalNumSgprs: 0
; NumVgprs: 0
; ScratchSize: 0
; MemoryBound: 0
; FloatMode: 240
; IeeeMode: 1
; LDSByteSize: 0 bytes/workgroup (compile time only)
; SGPRBlocks: 0
; VGPRBlocks: 0
; NumSGPRsForWavesPerEU: 1
; NumVGPRsForWavesPerEU: 1
; NamedBarCnt: 0
; Occupancy: 16
; WaveLimiterHint : 0
; COMPUTE_PGM_RSRC2:SCRATCH_EN: 0
; COMPUTE_PGM_RSRC2:USER_SGPR: 2
; COMPUTE_PGM_RSRC2:TRAP_HANDLER: 0
; COMPUTE_PGM_RSRC2:TGID_X_EN: 1
; COMPUTE_PGM_RSRC2:TGID_Y_EN: 0
; COMPUTE_PGM_RSRC2:TGID_Z_EN: 0
; COMPUTE_PGM_RSRC2:TIDIG_COMP_CNT: 0
	.section	.text._ZN7rocprim17ROCPRIM_400000_NS6detail17trampoline_kernelINS0_14default_configENS1_27scan_by_key_config_selectorIllEEZZNS1_16scan_by_key_implILNS1_25lookback_scan_determinismE0ELb0ES3_N6thrust23THRUST_200600_302600_NS16reverse_iteratorIPKlEESD_NSA_IPlEElN6hipcub16HIPCUB_304000_NS3MaxENSH_8EqualityElEE10hipError_tPvRmT2_T3_T4_T5_mT6_T7_P12ihipStream_tbENKUlT_T0_E_clISt17integral_constantIbLb0EESZ_IbLb1EEEEDaSV_SW_EUlSV_E_NS1_11comp_targetILNS1_3genE2ELNS1_11target_archE906ELNS1_3gpuE6ELNS1_3repE0EEENS1_30default_config_static_selectorELNS0_4arch9wavefront6targetE0EEEvT1_,"axG",@progbits,_ZN7rocprim17ROCPRIM_400000_NS6detail17trampoline_kernelINS0_14default_configENS1_27scan_by_key_config_selectorIllEEZZNS1_16scan_by_key_implILNS1_25lookback_scan_determinismE0ELb0ES3_N6thrust23THRUST_200600_302600_NS16reverse_iteratorIPKlEESD_NSA_IPlEElN6hipcub16HIPCUB_304000_NS3MaxENSH_8EqualityElEE10hipError_tPvRmT2_T3_T4_T5_mT6_T7_P12ihipStream_tbENKUlT_T0_E_clISt17integral_constantIbLb0EESZ_IbLb1EEEEDaSV_SW_EUlSV_E_NS1_11comp_targetILNS1_3genE2ELNS1_11target_archE906ELNS1_3gpuE6ELNS1_3repE0EEENS1_30default_config_static_selectorELNS0_4arch9wavefront6targetE0EEEvT1_,comdat
	.protected	_ZN7rocprim17ROCPRIM_400000_NS6detail17trampoline_kernelINS0_14default_configENS1_27scan_by_key_config_selectorIllEEZZNS1_16scan_by_key_implILNS1_25lookback_scan_determinismE0ELb0ES3_N6thrust23THRUST_200600_302600_NS16reverse_iteratorIPKlEESD_NSA_IPlEElN6hipcub16HIPCUB_304000_NS3MaxENSH_8EqualityElEE10hipError_tPvRmT2_T3_T4_T5_mT6_T7_P12ihipStream_tbENKUlT_T0_E_clISt17integral_constantIbLb0EESZ_IbLb1EEEEDaSV_SW_EUlSV_E_NS1_11comp_targetILNS1_3genE2ELNS1_11target_archE906ELNS1_3gpuE6ELNS1_3repE0EEENS1_30default_config_static_selectorELNS0_4arch9wavefront6targetE0EEEvT1_ ; -- Begin function _ZN7rocprim17ROCPRIM_400000_NS6detail17trampoline_kernelINS0_14default_configENS1_27scan_by_key_config_selectorIllEEZZNS1_16scan_by_key_implILNS1_25lookback_scan_determinismE0ELb0ES3_N6thrust23THRUST_200600_302600_NS16reverse_iteratorIPKlEESD_NSA_IPlEElN6hipcub16HIPCUB_304000_NS3MaxENSH_8EqualityElEE10hipError_tPvRmT2_T3_T4_T5_mT6_T7_P12ihipStream_tbENKUlT_T0_E_clISt17integral_constantIbLb0EESZ_IbLb1EEEEDaSV_SW_EUlSV_E_NS1_11comp_targetILNS1_3genE2ELNS1_11target_archE906ELNS1_3gpuE6ELNS1_3repE0EEENS1_30default_config_static_selectorELNS0_4arch9wavefront6targetE0EEEvT1_
	.globl	_ZN7rocprim17ROCPRIM_400000_NS6detail17trampoline_kernelINS0_14default_configENS1_27scan_by_key_config_selectorIllEEZZNS1_16scan_by_key_implILNS1_25lookback_scan_determinismE0ELb0ES3_N6thrust23THRUST_200600_302600_NS16reverse_iteratorIPKlEESD_NSA_IPlEElN6hipcub16HIPCUB_304000_NS3MaxENSH_8EqualityElEE10hipError_tPvRmT2_T3_T4_T5_mT6_T7_P12ihipStream_tbENKUlT_T0_E_clISt17integral_constantIbLb0EESZ_IbLb1EEEEDaSV_SW_EUlSV_E_NS1_11comp_targetILNS1_3genE2ELNS1_11target_archE906ELNS1_3gpuE6ELNS1_3repE0EEENS1_30default_config_static_selectorELNS0_4arch9wavefront6targetE0EEEvT1_
	.p2align	8
	.type	_ZN7rocprim17ROCPRIM_400000_NS6detail17trampoline_kernelINS0_14default_configENS1_27scan_by_key_config_selectorIllEEZZNS1_16scan_by_key_implILNS1_25lookback_scan_determinismE0ELb0ES3_N6thrust23THRUST_200600_302600_NS16reverse_iteratorIPKlEESD_NSA_IPlEElN6hipcub16HIPCUB_304000_NS3MaxENSH_8EqualityElEE10hipError_tPvRmT2_T3_T4_T5_mT6_T7_P12ihipStream_tbENKUlT_T0_E_clISt17integral_constantIbLb0EESZ_IbLb1EEEEDaSV_SW_EUlSV_E_NS1_11comp_targetILNS1_3genE2ELNS1_11target_archE906ELNS1_3gpuE6ELNS1_3repE0EEENS1_30default_config_static_selectorELNS0_4arch9wavefront6targetE0EEEvT1_,@function
_ZN7rocprim17ROCPRIM_400000_NS6detail17trampoline_kernelINS0_14default_configENS1_27scan_by_key_config_selectorIllEEZZNS1_16scan_by_key_implILNS1_25lookback_scan_determinismE0ELb0ES3_N6thrust23THRUST_200600_302600_NS16reverse_iteratorIPKlEESD_NSA_IPlEElN6hipcub16HIPCUB_304000_NS3MaxENSH_8EqualityElEE10hipError_tPvRmT2_T3_T4_T5_mT6_T7_P12ihipStream_tbENKUlT_T0_E_clISt17integral_constantIbLb0EESZ_IbLb1EEEEDaSV_SW_EUlSV_E_NS1_11comp_targetILNS1_3genE2ELNS1_11target_archE906ELNS1_3gpuE6ELNS1_3repE0EEENS1_30default_config_static_selectorELNS0_4arch9wavefront6targetE0EEEvT1_: ; @_ZN7rocprim17ROCPRIM_400000_NS6detail17trampoline_kernelINS0_14default_configENS1_27scan_by_key_config_selectorIllEEZZNS1_16scan_by_key_implILNS1_25lookback_scan_determinismE0ELb0ES3_N6thrust23THRUST_200600_302600_NS16reverse_iteratorIPKlEESD_NSA_IPlEElN6hipcub16HIPCUB_304000_NS3MaxENSH_8EqualityElEE10hipError_tPvRmT2_T3_T4_T5_mT6_T7_P12ihipStream_tbENKUlT_T0_E_clISt17integral_constantIbLb0EESZ_IbLb1EEEEDaSV_SW_EUlSV_E_NS1_11comp_targetILNS1_3genE2ELNS1_11target_archE906ELNS1_3gpuE6ELNS1_3repE0EEENS1_30default_config_static_selectorELNS0_4arch9wavefront6targetE0EEEvT1_
; %bb.0:
	.section	.rodata,"a",@progbits
	.p2align	6, 0x0
	.amdhsa_kernel _ZN7rocprim17ROCPRIM_400000_NS6detail17trampoline_kernelINS0_14default_configENS1_27scan_by_key_config_selectorIllEEZZNS1_16scan_by_key_implILNS1_25lookback_scan_determinismE0ELb0ES3_N6thrust23THRUST_200600_302600_NS16reverse_iteratorIPKlEESD_NSA_IPlEElN6hipcub16HIPCUB_304000_NS3MaxENSH_8EqualityElEE10hipError_tPvRmT2_T3_T4_T5_mT6_T7_P12ihipStream_tbENKUlT_T0_E_clISt17integral_constantIbLb0EESZ_IbLb1EEEEDaSV_SW_EUlSV_E_NS1_11comp_targetILNS1_3genE2ELNS1_11target_archE906ELNS1_3gpuE6ELNS1_3repE0EEENS1_30default_config_static_selectorELNS0_4arch9wavefront6targetE0EEEvT1_
		.amdhsa_group_segment_fixed_size 0
		.amdhsa_private_segment_fixed_size 0
		.amdhsa_kernarg_size 136
		.amdhsa_user_sgpr_count 2
		.amdhsa_user_sgpr_dispatch_ptr 0
		.amdhsa_user_sgpr_queue_ptr 0
		.amdhsa_user_sgpr_kernarg_segment_ptr 1
		.amdhsa_user_sgpr_dispatch_id 0
		.amdhsa_user_sgpr_kernarg_preload_length 0
		.amdhsa_user_sgpr_kernarg_preload_offset 0
		.amdhsa_user_sgpr_private_segment_size 0
		.amdhsa_wavefront_size32 1
		.amdhsa_uses_dynamic_stack 0
		.amdhsa_enable_private_segment 0
		.amdhsa_system_sgpr_workgroup_id_x 1
		.amdhsa_system_sgpr_workgroup_id_y 0
		.amdhsa_system_sgpr_workgroup_id_z 0
		.amdhsa_system_sgpr_workgroup_info 0
		.amdhsa_system_vgpr_workitem_id 0
		.amdhsa_next_free_vgpr 1
		.amdhsa_next_free_sgpr 1
		.amdhsa_named_barrier_count 0
		.amdhsa_reserve_vcc 0
		.amdhsa_float_round_mode_32 0
		.amdhsa_float_round_mode_16_64 0
		.amdhsa_float_denorm_mode_32 3
		.amdhsa_float_denorm_mode_16_64 3
		.amdhsa_fp16_overflow 0
		.amdhsa_memory_ordered 1
		.amdhsa_forward_progress 1
		.amdhsa_inst_pref_size 0
		.amdhsa_round_robin_scheduling 0
		.amdhsa_exception_fp_ieee_invalid_op 0
		.amdhsa_exception_fp_denorm_src 0
		.amdhsa_exception_fp_ieee_div_zero 0
		.amdhsa_exception_fp_ieee_overflow 0
		.amdhsa_exception_fp_ieee_underflow 0
		.amdhsa_exception_fp_ieee_inexact 0
		.amdhsa_exception_int_div_zero 0
	.end_amdhsa_kernel
	.section	.text._ZN7rocprim17ROCPRIM_400000_NS6detail17trampoline_kernelINS0_14default_configENS1_27scan_by_key_config_selectorIllEEZZNS1_16scan_by_key_implILNS1_25lookback_scan_determinismE0ELb0ES3_N6thrust23THRUST_200600_302600_NS16reverse_iteratorIPKlEESD_NSA_IPlEElN6hipcub16HIPCUB_304000_NS3MaxENSH_8EqualityElEE10hipError_tPvRmT2_T3_T4_T5_mT6_T7_P12ihipStream_tbENKUlT_T0_E_clISt17integral_constantIbLb0EESZ_IbLb1EEEEDaSV_SW_EUlSV_E_NS1_11comp_targetILNS1_3genE2ELNS1_11target_archE906ELNS1_3gpuE6ELNS1_3repE0EEENS1_30default_config_static_selectorELNS0_4arch9wavefront6targetE0EEEvT1_,"axG",@progbits,_ZN7rocprim17ROCPRIM_400000_NS6detail17trampoline_kernelINS0_14default_configENS1_27scan_by_key_config_selectorIllEEZZNS1_16scan_by_key_implILNS1_25lookback_scan_determinismE0ELb0ES3_N6thrust23THRUST_200600_302600_NS16reverse_iteratorIPKlEESD_NSA_IPlEElN6hipcub16HIPCUB_304000_NS3MaxENSH_8EqualityElEE10hipError_tPvRmT2_T3_T4_T5_mT6_T7_P12ihipStream_tbENKUlT_T0_E_clISt17integral_constantIbLb0EESZ_IbLb1EEEEDaSV_SW_EUlSV_E_NS1_11comp_targetILNS1_3genE2ELNS1_11target_archE906ELNS1_3gpuE6ELNS1_3repE0EEENS1_30default_config_static_selectorELNS0_4arch9wavefront6targetE0EEEvT1_,comdat
.Lfunc_end172:
	.size	_ZN7rocprim17ROCPRIM_400000_NS6detail17trampoline_kernelINS0_14default_configENS1_27scan_by_key_config_selectorIllEEZZNS1_16scan_by_key_implILNS1_25lookback_scan_determinismE0ELb0ES3_N6thrust23THRUST_200600_302600_NS16reverse_iteratorIPKlEESD_NSA_IPlEElN6hipcub16HIPCUB_304000_NS3MaxENSH_8EqualityElEE10hipError_tPvRmT2_T3_T4_T5_mT6_T7_P12ihipStream_tbENKUlT_T0_E_clISt17integral_constantIbLb0EESZ_IbLb1EEEEDaSV_SW_EUlSV_E_NS1_11comp_targetILNS1_3genE2ELNS1_11target_archE906ELNS1_3gpuE6ELNS1_3repE0EEENS1_30default_config_static_selectorELNS0_4arch9wavefront6targetE0EEEvT1_, .Lfunc_end172-_ZN7rocprim17ROCPRIM_400000_NS6detail17trampoline_kernelINS0_14default_configENS1_27scan_by_key_config_selectorIllEEZZNS1_16scan_by_key_implILNS1_25lookback_scan_determinismE0ELb0ES3_N6thrust23THRUST_200600_302600_NS16reverse_iteratorIPKlEESD_NSA_IPlEElN6hipcub16HIPCUB_304000_NS3MaxENSH_8EqualityElEE10hipError_tPvRmT2_T3_T4_T5_mT6_T7_P12ihipStream_tbENKUlT_T0_E_clISt17integral_constantIbLb0EESZ_IbLb1EEEEDaSV_SW_EUlSV_E_NS1_11comp_targetILNS1_3genE2ELNS1_11target_archE906ELNS1_3gpuE6ELNS1_3repE0EEENS1_30default_config_static_selectorELNS0_4arch9wavefront6targetE0EEEvT1_
                                        ; -- End function
	.set _ZN7rocprim17ROCPRIM_400000_NS6detail17trampoline_kernelINS0_14default_configENS1_27scan_by_key_config_selectorIllEEZZNS1_16scan_by_key_implILNS1_25lookback_scan_determinismE0ELb0ES3_N6thrust23THRUST_200600_302600_NS16reverse_iteratorIPKlEESD_NSA_IPlEElN6hipcub16HIPCUB_304000_NS3MaxENSH_8EqualityElEE10hipError_tPvRmT2_T3_T4_T5_mT6_T7_P12ihipStream_tbENKUlT_T0_E_clISt17integral_constantIbLb0EESZ_IbLb1EEEEDaSV_SW_EUlSV_E_NS1_11comp_targetILNS1_3genE2ELNS1_11target_archE906ELNS1_3gpuE6ELNS1_3repE0EEENS1_30default_config_static_selectorELNS0_4arch9wavefront6targetE0EEEvT1_.num_vgpr, 0
	.set _ZN7rocprim17ROCPRIM_400000_NS6detail17trampoline_kernelINS0_14default_configENS1_27scan_by_key_config_selectorIllEEZZNS1_16scan_by_key_implILNS1_25lookback_scan_determinismE0ELb0ES3_N6thrust23THRUST_200600_302600_NS16reverse_iteratorIPKlEESD_NSA_IPlEElN6hipcub16HIPCUB_304000_NS3MaxENSH_8EqualityElEE10hipError_tPvRmT2_T3_T4_T5_mT6_T7_P12ihipStream_tbENKUlT_T0_E_clISt17integral_constantIbLb0EESZ_IbLb1EEEEDaSV_SW_EUlSV_E_NS1_11comp_targetILNS1_3genE2ELNS1_11target_archE906ELNS1_3gpuE6ELNS1_3repE0EEENS1_30default_config_static_selectorELNS0_4arch9wavefront6targetE0EEEvT1_.num_agpr, 0
	.set _ZN7rocprim17ROCPRIM_400000_NS6detail17trampoline_kernelINS0_14default_configENS1_27scan_by_key_config_selectorIllEEZZNS1_16scan_by_key_implILNS1_25lookback_scan_determinismE0ELb0ES3_N6thrust23THRUST_200600_302600_NS16reverse_iteratorIPKlEESD_NSA_IPlEElN6hipcub16HIPCUB_304000_NS3MaxENSH_8EqualityElEE10hipError_tPvRmT2_T3_T4_T5_mT6_T7_P12ihipStream_tbENKUlT_T0_E_clISt17integral_constantIbLb0EESZ_IbLb1EEEEDaSV_SW_EUlSV_E_NS1_11comp_targetILNS1_3genE2ELNS1_11target_archE906ELNS1_3gpuE6ELNS1_3repE0EEENS1_30default_config_static_selectorELNS0_4arch9wavefront6targetE0EEEvT1_.numbered_sgpr, 0
	.set _ZN7rocprim17ROCPRIM_400000_NS6detail17trampoline_kernelINS0_14default_configENS1_27scan_by_key_config_selectorIllEEZZNS1_16scan_by_key_implILNS1_25lookback_scan_determinismE0ELb0ES3_N6thrust23THRUST_200600_302600_NS16reverse_iteratorIPKlEESD_NSA_IPlEElN6hipcub16HIPCUB_304000_NS3MaxENSH_8EqualityElEE10hipError_tPvRmT2_T3_T4_T5_mT6_T7_P12ihipStream_tbENKUlT_T0_E_clISt17integral_constantIbLb0EESZ_IbLb1EEEEDaSV_SW_EUlSV_E_NS1_11comp_targetILNS1_3genE2ELNS1_11target_archE906ELNS1_3gpuE6ELNS1_3repE0EEENS1_30default_config_static_selectorELNS0_4arch9wavefront6targetE0EEEvT1_.num_named_barrier, 0
	.set _ZN7rocprim17ROCPRIM_400000_NS6detail17trampoline_kernelINS0_14default_configENS1_27scan_by_key_config_selectorIllEEZZNS1_16scan_by_key_implILNS1_25lookback_scan_determinismE0ELb0ES3_N6thrust23THRUST_200600_302600_NS16reverse_iteratorIPKlEESD_NSA_IPlEElN6hipcub16HIPCUB_304000_NS3MaxENSH_8EqualityElEE10hipError_tPvRmT2_T3_T4_T5_mT6_T7_P12ihipStream_tbENKUlT_T0_E_clISt17integral_constantIbLb0EESZ_IbLb1EEEEDaSV_SW_EUlSV_E_NS1_11comp_targetILNS1_3genE2ELNS1_11target_archE906ELNS1_3gpuE6ELNS1_3repE0EEENS1_30default_config_static_selectorELNS0_4arch9wavefront6targetE0EEEvT1_.private_seg_size, 0
	.set _ZN7rocprim17ROCPRIM_400000_NS6detail17trampoline_kernelINS0_14default_configENS1_27scan_by_key_config_selectorIllEEZZNS1_16scan_by_key_implILNS1_25lookback_scan_determinismE0ELb0ES3_N6thrust23THRUST_200600_302600_NS16reverse_iteratorIPKlEESD_NSA_IPlEElN6hipcub16HIPCUB_304000_NS3MaxENSH_8EqualityElEE10hipError_tPvRmT2_T3_T4_T5_mT6_T7_P12ihipStream_tbENKUlT_T0_E_clISt17integral_constantIbLb0EESZ_IbLb1EEEEDaSV_SW_EUlSV_E_NS1_11comp_targetILNS1_3genE2ELNS1_11target_archE906ELNS1_3gpuE6ELNS1_3repE0EEENS1_30default_config_static_selectorELNS0_4arch9wavefront6targetE0EEEvT1_.uses_vcc, 0
	.set _ZN7rocprim17ROCPRIM_400000_NS6detail17trampoline_kernelINS0_14default_configENS1_27scan_by_key_config_selectorIllEEZZNS1_16scan_by_key_implILNS1_25lookback_scan_determinismE0ELb0ES3_N6thrust23THRUST_200600_302600_NS16reverse_iteratorIPKlEESD_NSA_IPlEElN6hipcub16HIPCUB_304000_NS3MaxENSH_8EqualityElEE10hipError_tPvRmT2_T3_T4_T5_mT6_T7_P12ihipStream_tbENKUlT_T0_E_clISt17integral_constantIbLb0EESZ_IbLb1EEEEDaSV_SW_EUlSV_E_NS1_11comp_targetILNS1_3genE2ELNS1_11target_archE906ELNS1_3gpuE6ELNS1_3repE0EEENS1_30default_config_static_selectorELNS0_4arch9wavefront6targetE0EEEvT1_.uses_flat_scratch, 0
	.set _ZN7rocprim17ROCPRIM_400000_NS6detail17trampoline_kernelINS0_14default_configENS1_27scan_by_key_config_selectorIllEEZZNS1_16scan_by_key_implILNS1_25lookback_scan_determinismE0ELb0ES3_N6thrust23THRUST_200600_302600_NS16reverse_iteratorIPKlEESD_NSA_IPlEElN6hipcub16HIPCUB_304000_NS3MaxENSH_8EqualityElEE10hipError_tPvRmT2_T3_T4_T5_mT6_T7_P12ihipStream_tbENKUlT_T0_E_clISt17integral_constantIbLb0EESZ_IbLb1EEEEDaSV_SW_EUlSV_E_NS1_11comp_targetILNS1_3genE2ELNS1_11target_archE906ELNS1_3gpuE6ELNS1_3repE0EEENS1_30default_config_static_selectorELNS0_4arch9wavefront6targetE0EEEvT1_.has_dyn_sized_stack, 0
	.set _ZN7rocprim17ROCPRIM_400000_NS6detail17trampoline_kernelINS0_14default_configENS1_27scan_by_key_config_selectorIllEEZZNS1_16scan_by_key_implILNS1_25lookback_scan_determinismE0ELb0ES3_N6thrust23THRUST_200600_302600_NS16reverse_iteratorIPKlEESD_NSA_IPlEElN6hipcub16HIPCUB_304000_NS3MaxENSH_8EqualityElEE10hipError_tPvRmT2_T3_T4_T5_mT6_T7_P12ihipStream_tbENKUlT_T0_E_clISt17integral_constantIbLb0EESZ_IbLb1EEEEDaSV_SW_EUlSV_E_NS1_11comp_targetILNS1_3genE2ELNS1_11target_archE906ELNS1_3gpuE6ELNS1_3repE0EEENS1_30default_config_static_selectorELNS0_4arch9wavefront6targetE0EEEvT1_.has_recursion, 0
	.set _ZN7rocprim17ROCPRIM_400000_NS6detail17trampoline_kernelINS0_14default_configENS1_27scan_by_key_config_selectorIllEEZZNS1_16scan_by_key_implILNS1_25lookback_scan_determinismE0ELb0ES3_N6thrust23THRUST_200600_302600_NS16reverse_iteratorIPKlEESD_NSA_IPlEElN6hipcub16HIPCUB_304000_NS3MaxENSH_8EqualityElEE10hipError_tPvRmT2_T3_T4_T5_mT6_T7_P12ihipStream_tbENKUlT_T0_E_clISt17integral_constantIbLb0EESZ_IbLb1EEEEDaSV_SW_EUlSV_E_NS1_11comp_targetILNS1_3genE2ELNS1_11target_archE906ELNS1_3gpuE6ELNS1_3repE0EEENS1_30default_config_static_selectorELNS0_4arch9wavefront6targetE0EEEvT1_.has_indirect_call, 0
	.section	.AMDGPU.csdata,"",@progbits
; Kernel info:
; codeLenInByte = 0
; TotalNumSgprs: 0
; NumVgprs: 0
; ScratchSize: 0
; MemoryBound: 0
; FloatMode: 240
; IeeeMode: 1
; LDSByteSize: 0 bytes/workgroup (compile time only)
; SGPRBlocks: 0
; VGPRBlocks: 0
; NumSGPRsForWavesPerEU: 1
; NumVGPRsForWavesPerEU: 1
; NamedBarCnt: 0
; Occupancy: 16
; WaveLimiterHint : 0
; COMPUTE_PGM_RSRC2:SCRATCH_EN: 0
; COMPUTE_PGM_RSRC2:USER_SGPR: 2
; COMPUTE_PGM_RSRC2:TRAP_HANDLER: 0
; COMPUTE_PGM_RSRC2:TGID_X_EN: 1
; COMPUTE_PGM_RSRC2:TGID_Y_EN: 0
; COMPUTE_PGM_RSRC2:TGID_Z_EN: 0
; COMPUTE_PGM_RSRC2:TIDIG_COMP_CNT: 0
	.section	.text._ZN7rocprim17ROCPRIM_400000_NS6detail17trampoline_kernelINS0_14default_configENS1_27scan_by_key_config_selectorIllEEZZNS1_16scan_by_key_implILNS1_25lookback_scan_determinismE0ELb0ES3_N6thrust23THRUST_200600_302600_NS16reverse_iteratorIPKlEESD_NSA_IPlEElN6hipcub16HIPCUB_304000_NS3MaxENSH_8EqualityElEE10hipError_tPvRmT2_T3_T4_T5_mT6_T7_P12ihipStream_tbENKUlT_T0_E_clISt17integral_constantIbLb0EESZ_IbLb1EEEEDaSV_SW_EUlSV_E_NS1_11comp_targetILNS1_3genE10ELNS1_11target_archE1200ELNS1_3gpuE4ELNS1_3repE0EEENS1_30default_config_static_selectorELNS0_4arch9wavefront6targetE0EEEvT1_,"axG",@progbits,_ZN7rocprim17ROCPRIM_400000_NS6detail17trampoline_kernelINS0_14default_configENS1_27scan_by_key_config_selectorIllEEZZNS1_16scan_by_key_implILNS1_25lookback_scan_determinismE0ELb0ES3_N6thrust23THRUST_200600_302600_NS16reverse_iteratorIPKlEESD_NSA_IPlEElN6hipcub16HIPCUB_304000_NS3MaxENSH_8EqualityElEE10hipError_tPvRmT2_T3_T4_T5_mT6_T7_P12ihipStream_tbENKUlT_T0_E_clISt17integral_constantIbLb0EESZ_IbLb1EEEEDaSV_SW_EUlSV_E_NS1_11comp_targetILNS1_3genE10ELNS1_11target_archE1200ELNS1_3gpuE4ELNS1_3repE0EEENS1_30default_config_static_selectorELNS0_4arch9wavefront6targetE0EEEvT1_,comdat
	.protected	_ZN7rocprim17ROCPRIM_400000_NS6detail17trampoline_kernelINS0_14default_configENS1_27scan_by_key_config_selectorIllEEZZNS1_16scan_by_key_implILNS1_25lookback_scan_determinismE0ELb0ES3_N6thrust23THRUST_200600_302600_NS16reverse_iteratorIPKlEESD_NSA_IPlEElN6hipcub16HIPCUB_304000_NS3MaxENSH_8EqualityElEE10hipError_tPvRmT2_T3_T4_T5_mT6_T7_P12ihipStream_tbENKUlT_T0_E_clISt17integral_constantIbLb0EESZ_IbLb1EEEEDaSV_SW_EUlSV_E_NS1_11comp_targetILNS1_3genE10ELNS1_11target_archE1200ELNS1_3gpuE4ELNS1_3repE0EEENS1_30default_config_static_selectorELNS0_4arch9wavefront6targetE0EEEvT1_ ; -- Begin function _ZN7rocprim17ROCPRIM_400000_NS6detail17trampoline_kernelINS0_14default_configENS1_27scan_by_key_config_selectorIllEEZZNS1_16scan_by_key_implILNS1_25lookback_scan_determinismE0ELb0ES3_N6thrust23THRUST_200600_302600_NS16reverse_iteratorIPKlEESD_NSA_IPlEElN6hipcub16HIPCUB_304000_NS3MaxENSH_8EqualityElEE10hipError_tPvRmT2_T3_T4_T5_mT6_T7_P12ihipStream_tbENKUlT_T0_E_clISt17integral_constantIbLb0EESZ_IbLb1EEEEDaSV_SW_EUlSV_E_NS1_11comp_targetILNS1_3genE10ELNS1_11target_archE1200ELNS1_3gpuE4ELNS1_3repE0EEENS1_30default_config_static_selectorELNS0_4arch9wavefront6targetE0EEEvT1_
	.globl	_ZN7rocprim17ROCPRIM_400000_NS6detail17trampoline_kernelINS0_14default_configENS1_27scan_by_key_config_selectorIllEEZZNS1_16scan_by_key_implILNS1_25lookback_scan_determinismE0ELb0ES3_N6thrust23THRUST_200600_302600_NS16reverse_iteratorIPKlEESD_NSA_IPlEElN6hipcub16HIPCUB_304000_NS3MaxENSH_8EqualityElEE10hipError_tPvRmT2_T3_T4_T5_mT6_T7_P12ihipStream_tbENKUlT_T0_E_clISt17integral_constantIbLb0EESZ_IbLb1EEEEDaSV_SW_EUlSV_E_NS1_11comp_targetILNS1_3genE10ELNS1_11target_archE1200ELNS1_3gpuE4ELNS1_3repE0EEENS1_30default_config_static_selectorELNS0_4arch9wavefront6targetE0EEEvT1_
	.p2align	8
	.type	_ZN7rocprim17ROCPRIM_400000_NS6detail17trampoline_kernelINS0_14default_configENS1_27scan_by_key_config_selectorIllEEZZNS1_16scan_by_key_implILNS1_25lookback_scan_determinismE0ELb0ES3_N6thrust23THRUST_200600_302600_NS16reverse_iteratorIPKlEESD_NSA_IPlEElN6hipcub16HIPCUB_304000_NS3MaxENSH_8EqualityElEE10hipError_tPvRmT2_T3_T4_T5_mT6_T7_P12ihipStream_tbENKUlT_T0_E_clISt17integral_constantIbLb0EESZ_IbLb1EEEEDaSV_SW_EUlSV_E_NS1_11comp_targetILNS1_3genE10ELNS1_11target_archE1200ELNS1_3gpuE4ELNS1_3repE0EEENS1_30default_config_static_selectorELNS0_4arch9wavefront6targetE0EEEvT1_,@function
_ZN7rocprim17ROCPRIM_400000_NS6detail17trampoline_kernelINS0_14default_configENS1_27scan_by_key_config_selectorIllEEZZNS1_16scan_by_key_implILNS1_25lookback_scan_determinismE0ELb0ES3_N6thrust23THRUST_200600_302600_NS16reverse_iteratorIPKlEESD_NSA_IPlEElN6hipcub16HIPCUB_304000_NS3MaxENSH_8EqualityElEE10hipError_tPvRmT2_T3_T4_T5_mT6_T7_P12ihipStream_tbENKUlT_T0_E_clISt17integral_constantIbLb0EESZ_IbLb1EEEEDaSV_SW_EUlSV_E_NS1_11comp_targetILNS1_3genE10ELNS1_11target_archE1200ELNS1_3gpuE4ELNS1_3repE0EEENS1_30default_config_static_selectorELNS0_4arch9wavefront6targetE0EEEvT1_: ; @_ZN7rocprim17ROCPRIM_400000_NS6detail17trampoline_kernelINS0_14default_configENS1_27scan_by_key_config_selectorIllEEZZNS1_16scan_by_key_implILNS1_25lookback_scan_determinismE0ELb0ES3_N6thrust23THRUST_200600_302600_NS16reverse_iteratorIPKlEESD_NSA_IPlEElN6hipcub16HIPCUB_304000_NS3MaxENSH_8EqualityElEE10hipError_tPvRmT2_T3_T4_T5_mT6_T7_P12ihipStream_tbENKUlT_T0_E_clISt17integral_constantIbLb0EESZ_IbLb1EEEEDaSV_SW_EUlSV_E_NS1_11comp_targetILNS1_3genE10ELNS1_11target_archE1200ELNS1_3gpuE4ELNS1_3repE0EEENS1_30default_config_static_selectorELNS0_4arch9wavefront6targetE0EEEvT1_
; %bb.0:
	.section	.rodata,"a",@progbits
	.p2align	6, 0x0
	.amdhsa_kernel _ZN7rocprim17ROCPRIM_400000_NS6detail17trampoline_kernelINS0_14default_configENS1_27scan_by_key_config_selectorIllEEZZNS1_16scan_by_key_implILNS1_25lookback_scan_determinismE0ELb0ES3_N6thrust23THRUST_200600_302600_NS16reverse_iteratorIPKlEESD_NSA_IPlEElN6hipcub16HIPCUB_304000_NS3MaxENSH_8EqualityElEE10hipError_tPvRmT2_T3_T4_T5_mT6_T7_P12ihipStream_tbENKUlT_T0_E_clISt17integral_constantIbLb0EESZ_IbLb1EEEEDaSV_SW_EUlSV_E_NS1_11comp_targetILNS1_3genE10ELNS1_11target_archE1200ELNS1_3gpuE4ELNS1_3repE0EEENS1_30default_config_static_selectorELNS0_4arch9wavefront6targetE0EEEvT1_
		.amdhsa_group_segment_fixed_size 0
		.amdhsa_private_segment_fixed_size 0
		.amdhsa_kernarg_size 136
		.amdhsa_user_sgpr_count 2
		.amdhsa_user_sgpr_dispatch_ptr 0
		.amdhsa_user_sgpr_queue_ptr 0
		.amdhsa_user_sgpr_kernarg_segment_ptr 1
		.amdhsa_user_sgpr_dispatch_id 0
		.amdhsa_user_sgpr_kernarg_preload_length 0
		.amdhsa_user_sgpr_kernarg_preload_offset 0
		.amdhsa_user_sgpr_private_segment_size 0
		.amdhsa_wavefront_size32 1
		.amdhsa_uses_dynamic_stack 0
		.amdhsa_enable_private_segment 0
		.amdhsa_system_sgpr_workgroup_id_x 1
		.amdhsa_system_sgpr_workgroup_id_y 0
		.amdhsa_system_sgpr_workgroup_id_z 0
		.amdhsa_system_sgpr_workgroup_info 0
		.amdhsa_system_vgpr_workitem_id 0
		.amdhsa_next_free_vgpr 1
		.amdhsa_next_free_sgpr 1
		.amdhsa_named_barrier_count 0
		.amdhsa_reserve_vcc 0
		.amdhsa_float_round_mode_32 0
		.amdhsa_float_round_mode_16_64 0
		.amdhsa_float_denorm_mode_32 3
		.amdhsa_float_denorm_mode_16_64 3
		.amdhsa_fp16_overflow 0
		.amdhsa_memory_ordered 1
		.amdhsa_forward_progress 1
		.amdhsa_inst_pref_size 0
		.amdhsa_round_robin_scheduling 0
		.amdhsa_exception_fp_ieee_invalid_op 0
		.amdhsa_exception_fp_denorm_src 0
		.amdhsa_exception_fp_ieee_div_zero 0
		.amdhsa_exception_fp_ieee_overflow 0
		.amdhsa_exception_fp_ieee_underflow 0
		.amdhsa_exception_fp_ieee_inexact 0
		.amdhsa_exception_int_div_zero 0
	.end_amdhsa_kernel
	.section	.text._ZN7rocprim17ROCPRIM_400000_NS6detail17trampoline_kernelINS0_14default_configENS1_27scan_by_key_config_selectorIllEEZZNS1_16scan_by_key_implILNS1_25lookback_scan_determinismE0ELb0ES3_N6thrust23THRUST_200600_302600_NS16reverse_iteratorIPKlEESD_NSA_IPlEElN6hipcub16HIPCUB_304000_NS3MaxENSH_8EqualityElEE10hipError_tPvRmT2_T3_T4_T5_mT6_T7_P12ihipStream_tbENKUlT_T0_E_clISt17integral_constantIbLb0EESZ_IbLb1EEEEDaSV_SW_EUlSV_E_NS1_11comp_targetILNS1_3genE10ELNS1_11target_archE1200ELNS1_3gpuE4ELNS1_3repE0EEENS1_30default_config_static_selectorELNS0_4arch9wavefront6targetE0EEEvT1_,"axG",@progbits,_ZN7rocprim17ROCPRIM_400000_NS6detail17trampoline_kernelINS0_14default_configENS1_27scan_by_key_config_selectorIllEEZZNS1_16scan_by_key_implILNS1_25lookback_scan_determinismE0ELb0ES3_N6thrust23THRUST_200600_302600_NS16reverse_iteratorIPKlEESD_NSA_IPlEElN6hipcub16HIPCUB_304000_NS3MaxENSH_8EqualityElEE10hipError_tPvRmT2_T3_T4_T5_mT6_T7_P12ihipStream_tbENKUlT_T0_E_clISt17integral_constantIbLb0EESZ_IbLb1EEEEDaSV_SW_EUlSV_E_NS1_11comp_targetILNS1_3genE10ELNS1_11target_archE1200ELNS1_3gpuE4ELNS1_3repE0EEENS1_30default_config_static_selectorELNS0_4arch9wavefront6targetE0EEEvT1_,comdat
.Lfunc_end173:
	.size	_ZN7rocprim17ROCPRIM_400000_NS6detail17trampoline_kernelINS0_14default_configENS1_27scan_by_key_config_selectorIllEEZZNS1_16scan_by_key_implILNS1_25lookback_scan_determinismE0ELb0ES3_N6thrust23THRUST_200600_302600_NS16reverse_iteratorIPKlEESD_NSA_IPlEElN6hipcub16HIPCUB_304000_NS3MaxENSH_8EqualityElEE10hipError_tPvRmT2_T3_T4_T5_mT6_T7_P12ihipStream_tbENKUlT_T0_E_clISt17integral_constantIbLb0EESZ_IbLb1EEEEDaSV_SW_EUlSV_E_NS1_11comp_targetILNS1_3genE10ELNS1_11target_archE1200ELNS1_3gpuE4ELNS1_3repE0EEENS1_30default_config_static_selectorELNS0_4arch9wavefront6targetE0EEEvT1_, .Lfunc_end173-_ZN7rocprim17ROCPRIM_400000_NS6detail17trampoline_kernelINS0_14default_configENS1_27scan_by_key_config_selectorIllEEZZNS1_16scan_by_key_implILNS1_25lookback_scan_determinismE0ELb0ES3_N6thrust23THRUST_200600_302600_NS16reverse_iteratorIPKlEESD_NSA_IPlEElN6hipcub16HIPCUB_304000_NS3MaxENSH_8EqualityElEE10hipError_tPvRmT2_T3_T4_T5_mT6_T7_P12ihipStream_tbENKUlT_T0_E_clISt17integral_constantIbLb0EESZ_IbLb1EEEEDaSV_SW_EUlSV_E_NS1_11comp_targetILNS1_3genE10ELNS1_11target_archE1200ELNS1_3gpuE4ELNS1_3repE0EEENS1_30default_config_static_selectorELNS0_4arch9wavefront6targetE0EEEvT1_
                                        ; -- End function
	.set _ZN7rocprim17ROCPRIM_400000_NS6detail17trampoline_kernelINS0_14default_configENS1_27scan_by_key_config_selectorIllEEZZNS1_16scan_by_key_implILNS1_25lookback_scan_determinismE0ELb0ES3_N6thrust23THRUST_200600_302600_NS16reverse_iteratorIPKlEESD_NSA_IPlEElN6hipcub16HIPCUB_304000_NS3MaxENSH_8EqualityElEE10hipError_tPvRmT2_T3_T4_T5_mT6_T7_P12ihipStream_tbENKUlT_T0_E_clISt17integral_constantIbLb0EESZ_IbLb1EEEEDaSV_SW_EUlSV_E_NS1_11comp_targetILNS1_3genE10ELNS1_11target_archE1200ELNS1_3gpuE4ELNS1_3repE0EEENS1_30default_config_static_selectorELNS0_4arch9wavefront6targetE0EEEvT1_.num_vgpr, 0
	.set _ZN7rocprim17ROCPRIM_400000_NS6detail17trampoline_kernelINS0_14default_configENS1_27scan_by_key_config_selectorIllEEZZNS1_16scan_by_key_implILNS1_25lookback_scan_determinismE0ELb0ES3_N6thrust23THRUST_200600_302600_NS16reverse_iteratorIPKlEESD_NSA_IPlEElN6hipcub16HIPCUB_304000_NS3MaxENSH_8EqualityElEE10hipError_tPvRmT2_T3_T4_T5_mT6_T7_P12ihipStream_tbENKUlT_T0_E_clISt17integral_constantIbLb0EESZ_IbLb1EEEEDaSV_SW_EUlSV_E_NS1_11comp_targetILNS1_3genE10ELNS1_11target_archE1200ELNS1_3gpuE4ELNS1_3repE0EEENS1_30default_config_static_selectorELNS0_4arch9wavefront6targetE0EEEvT1_.num_agpr, 0
	.set _ZN7rocprim17ROCPRIM_400000_NS6detail17trampoline_kernelINS0_14default_configENS1_27scan_by_key_config_selectorIllEEZZNS1_16scan_by_key_implILNS1_25lookback_scan_determinismE0ELb0ES3_N6thrust23THRUST_200600_302600_NS16reverse_iteratorIPKlEESD_NSA_IPlEElN6hipcub16HIPCUB_304000_NS3MaxENSH_8EqualityElEE10hipError_tPvRmT2_T3_T4_T5_mT6_T7_P12ihipStream_tbENKUlT_T0_E_clISt17integral_constantIbLb0EESZ_IbLb1EEEEDaSV_SW_EUlSV_E_NS1_11comp_targetILNS1_3genE10ELNS1_11target_archE1200ELNS1_3gpuE4ELNS1_3repE0EEENS1_30default_config_static_selectorELNS0_4arch9wavefront6targetE0EEEvT1_.numbered_sgpr, 0
	.set _ZN7rocprim17ROCPRIM_400000_NS6detail17trampoline_kernelINS0_14default_configENS1_27scan_by_key_config_selectorIllEEZZNS1_16scan_by_key_implILNS1_25lookback_scan_determinismE0ELb0ES3_N6thrust23THRUST_200600_302600_NS16reverse_iteratorIPKlEESD_NSA_IPlEElN6hipcub16HIPCUB_304000_NS3MaxENSH_8EqualityElEE10hipError_tPvRmT2_T3_T4_T5_mT6_T7_P12ihipStream_tbENKUlT_T0_E_clISt17integral_constantIbLb0EESZ_IbLb1EEEEDaSV_SW_EUlSV_E_NS1_11comp_targetILNS1_3genE10ELNS1_11target_archE1200ELNS1_3gpuE4ELNS1_3repE0EEENS1_30default_config_static_selectorELNS0_4arch9wavefront6targetE0EEEvT1_.num_named_barrier, 0
	.set _ZN7rocprim17ROCPRIM_400000_NS6detail17trampoline_kernelINS0_14default_configENS1_27scan_by_key_config_selectorIllEEZZNS1_16scan_by_key_implILNS1_25lookback_scan_determinismE0ELb0ES3_N6thrust23THRUST_200600_302600_NS16reverse_iteratorIPKlEESD_NSA_IPlEElN6hipcub16HIPCUB_304000_NS3MaxENSH_8EqualityElEE10hipError_tPvRmT2_T3_T4_T5_mT6_T7_P12ihipStream_tbENKUlT_T0_E_clISt17integral_constantIbLb0EESZ_IbLb1EEEEDaSV_SW_EUlSV_E_NS1_11comp_targetILNS1_3genE10ELNS1_11target_archE1200ELNS1_3gpuE4ELNS1_3repE0EEENS1_30default_config_static_selectorELNS0_4arch9wavefront6targetE0EEEvT1_.private_seg_size, 0
	.set _ZN7rocprim17ROCPRIM_400000_NS6detail17trampoline_kernelINS0_14default_configENS1_27scan_by_key_config_selectorIllEEZZNS1_16scan_by_key_implILNS1_25lookback_scan_determinismE0ELb0ES3_N6thrust23THRUST_200600_302600_NS16reverse_iteratorIPKlEESD_NSA_IPlEElN6hipcub16HIPCUB_304000_NS3MaxENSH_8EqualityElEE10hipError_tPvRmT2_T3_T4_T5_mT6_T7_P12ihipStream_tbENKUlT_T0_E_clISt17integral_constantIbLb0EESZ_IbLb1EEEEDaSV_SW_EUlSV_E_NS1_11comp_targetILNS1_3genE10ELNS1_11target_archE1200ELNS1_3gpuE4ELNS1_3repE0EEENS1_30default_config_static_selectorELNS0_4arch9wavefront6targetE0EEEvT1_.uses_vcc, 0
	.set _ZN7rocprim17ROCPRIM_400000_NS6detail17trampoline_kernelINS0_14default_configENS1_27scan_by_key_config_selectorIllEEZZNS1_16scan_by_key_implILNS1_25lookback_scan_determinismE0ELb0ES3_N6thrust23THRUST_200600_302600_NS16reverse_iteratorIPKlEESD_NSA_IPlEElN6hipcub16HIPCUB_304000_NS3MaxENSH_8EqualityElEE10hipError_tPvRmT2_T3_T4_T5_mT6_T7_P12ihipStream_tbENKUlT_T0_E_clISt17integral_constantIbLb0EESZ_IbLb1EEEEDaSV_SW_EUlSV_E_NS1_11comp_targetILNS1_3genE10ELNS1_11target_archE1200ELNS1_3gpuE4ELNS1_3repE0EEENS1_30default_config_static_selectorELNS0_4arch9wavefront6targetE0EEEvT1_.uses_flat_scratch, 0
	.set _ZN7rocprim17ROCPRIM_400000_NS6detail17trampoline_kernelINS0_14default_configENS1_27scan_by_key_config_selectorIllEEZZNS1_16scan_by_key_implILNS1_25lookback_scan_determinismE0ELb0ES3_N6thrust23THRUST_200600_302600_NS16reverse_iteratorIPKlEESD_NSA_IPlEElN6hipcub16HIPCUB_304000_NS3MaxENSH_8EqualityElEE10hipError_tPvRmT2_T3_T4_T5_mT6_T7_P12ihipStream_tbENKUlT_T0_E_clISt17integral_constantIbLb0EESZ_IbLb1EEEEDaSV_SW_EUlSV_E_NS1_11comp_targetILNS1_3genE10ELNS1_11target_archE1200ELNS1_3gpuE4ELNS1_3repE0EEENS1_30default_config_static_selectorELNS0_4arch9wavefront6targetE0EEEvT1_.has_dyn_sized_stack, 0
	.set _ZN7rocprim17ROCPRIM_400000_NS6detail17trampoline_kernelINS0_14default_configENS1_27scan_by_key_config_selectorIllEEZZNS1_16scan_by_key_implILNS1_25lookback_scan_determinismE0ELb0ES3_N6thrust23THRUST_200600_302600_NS16reverse_iteratorIPKlEESD_NSA_IPlEElN6hipcub16HIPCUB_304000_NS3MaxENSH_8EqualityElEE10hipError_tPvRmT2_T3_T4_T5_mT6_T7_P12ihipStream_tbENKUlT_T0_E_clISt17integral_constantIbLb0EESZ_IbLb1EEEEDaSV_SW_EUlSV_E_NS1_11comp_targetILNS1_3genE10ELNS1_11target_archE1200ELNS1_3gpuE4ELNS1_3repE0EEENS1_30default_config_static_selectorELNS0_4arch9wavefront6targetE0EEEvT1_.has_recursion, 0
	.set _ZN7rocprim17ROCPRIM_400000_NS6detail17trampoline_kernelINS0_14default_configENS1_27scan_by_key_config_selectorIllEEZZNS1_16scan_by_key_implILNS1_25lookback_scan_determinismE0ELb0ES3_N6thrust23THRUST_200600_302600_NS16reverse_iteratorIPKlEESD_NSA_IPlEElN6hipcub16HIPCUB_304000_NS3MaxENSH_8EqualityElEE10hipError_tPvRmT2_T3_T4_T5_mT6_T7_P12ihipStream_tbENKUlT_T0_E_clISt17integral_constantIbLb0EESZ_IbLb1EEEEDaSV_SW_EUlSV_E_NS1_11comp_targetILNS1_3genE10ELNS1_11target_archE1200ELNS1_3gpuE4ELNS1_3repE0EEENS1_30default_config_static_selectorELNS0_4arch9wavefront6targetE0EEEvT1_.has_indirect_call, 0
	.section	.AMDGPU.csdata,"",@progbits
; Kernel info:
; codeLenInByte = 0
; TotalNumSgprs: 0
; NumVgprs: 0
; ScratchSize: 0
; MemoryBound: 0
; FloatMode: 240
; IeeeMode: 1
; LDSByteSize: 0 bytes/workgroup (compile time only)
; SGPRBlocks: 0
; VGPRBlocks: 0
; NumSGPRsForWavesPerEU: 1
; NumVGPRsForWavesPerEU: 1
; NamedBarCnt: 0
; Occupancy: 16
; WaveLimiterHint : 0
; COMPUTE_PGM_RSRC2:SCRATCH_EN: 0
; COMPUTE_PGM_RSRC2:USER_SGPR: 2
; COMPUTE_PGM_RSRC2:TRAP_HANDLER: 0
; COMPUTE_PGM_RSRC2:TGID_X_EN: 1
; COMPUTE_PGM_RSRC2:TGID_Y_EN: 0
; COMPUTE_PGM_RSRC2:TGID_Z_EN: 0
; COMPUTE_PGM_RSRC2:TIDIG_COMP_CNT: 0
	.section	.text._ZN7rocprim17ROCPRIM_400000_NS6detail17trampoline_kernelINS0_14default_configENS1_27scan_by_key_config_selectorIllEEZZNS1_16scan_by_key_implILNS1_25lookback_scan_determinismE0ELb0ES3_N6thrust23THRUST_200600_302600_NS16reverse_iteratorIPKlEESD_NSA_IPlEElN6hipcub16HIPCUB_304000_NS3MaxENSH_8EqualityElEE10hipError_tPvRmT2_T3_T4_T5_mT6_T7_P12ihipStream_tbENKUlT_T0_E_clISt17integral_constantIbLb0EESZ_IbLb1EEEEDaSV_SW_EUlSV_E_NS1_11comp_targetILNS1_3genE9ELNS1_11target_archE1100ELNS1_3gpuE3ELNS1_3repE0EEENS1_30default_config_static_selectorELNS0_4arch9wavefront6targetE0EEEvT1_,"axG",@progbits,_ZN7rocprim17ROCPRIM_400000_NS6detail17trampoline_kernelINS0_14default_configENS1_27scan_by_key_config_selectorIllEEZZNS1_16scan_by_key_implILNS1_25lookback_scan_determinismE0ELb0ES3_N6thrust23THRUST_200600_302600_NS16reverse_iteratorIPKlEESD_NSA_IPlEElN6hipcub16HIPCUB_304000_NS3MaxENSH_8EqualityElEE10hipError_tPvRmT2_T3_T4_T5_mT6_T7_P12ihipStream_tbENKUlT_T0_E_clISt17integral_constantIbLb0EESZ_IbLb1EEEEDaSV_SW_EUlSV_E_NS1_11comp_targetILNS1_3genE9ELNS1_11target_archE1100ELNS1_3gpuE3ELNS1_3repE0EEENS1_30default_config_static_selectorELNS0_4arch9wavefront6targetE0EEEvT1_,comdat
	.protected	_ZN7rocprim17ROCPRIM_400000_NS6detail17trampoline_kernelINS0_14default_configENS1_27scan_by_key_config_selectorIllEEZZNS1_16scan_by_key_implILNS1_25lookback_scan_determinismE0ELb0ES3_N6thrust23THRUST_200600_302600_NS16reverse_iteratorIPKlEESD_NSA_IPlEElN6hipcub16HIPCUB_304000_NS3MaxENSH_8EqualityElEE10hipError_tPvRmT2_T3_T4_T5_mT6_T7_P12ihipStream_tbENKUlT_T0_E_clISt17integral_constantIbLb0EESZ_IbLb1EEEEDaSV_SW_EUlSV_E_NS1_11comp_targetILNS1_3genE9ELNS1_11target_archE1100ELNS1_3gpuE3ELNS1_3repE0EEENS1_30default_config_static_selectorELNS0_4arch9wavefront6targetE0EEEvT1_ ; -- Begin function _ZN7rocprim17ROCPRIM_400000_NS6detail17trampoline_kernelINS0_14default_configENS1_27scan_by_key_config_selectorIllEEZZNS1_16scan_by_key_implILNS1_25lookback_scan_determinismE0ELb0ES3_N6thrust23THRUST_200600_302600_NS16reverse_iteratorIPKlEESD_NSA_IPlEElN6hipcub16HIPCUB_304000_NS3MaxENSH_8EqualityElEE10hipError_tPvRmT2_T3_T4_T5_mT6_T7_P12ihipStream_tbENKUlT_T0_E_clISt17integral_constantIbLb0EESZ_IbLb1EEEEDaSV_SW_EUlSV_E_NS1_11comp_targetILNS1_3genE9ELNS1_11target_archE1100ELNS1_3gpuE3ELNS1_3repE0EEENS1_30default_config_static_selectorELNS0_4arch9wavefront6targetE0EEEvT1_
	.globl	_ZN7rocprim17ROCPRIM_400000_NS6detail17trampoline_kernelINS0_14default_configENS1_27scan_by_key_config_selectorIllEEZZNS1_16scan_by_key_implILNS1_25lookback_scan_determinismE0ELb0ES3_N6thrust23THRUST_200600_302600_NS16reverse_iteratorIPKlEESD_NSA_IPlEElN6hipcub16HIPCUB_304000_NS3MaxENSH_8EqualityElEE10hipError_tPvRmT2_T3_T4_T5_mT6_T7_P12ihipStream_tbENKUlT_T0_E_clISt17integral_constantIbLb0EESZ_IbLb1EEEEDaSV_SW_EUlSV_E_NS1_11comp_targetILNS1_3genE9ELNS1_11target_archE1100ELNS1_3gpuE3ELNS1_3repE0EEENS1_30default_config_static_selectorELNS0_4arch9wavefront6targetE0EEEvT1_
	.p2align	8
	.type	_ZN7rocprim17ROCPRIM_400000_NS6detail17trampoline_kernelINS0_14default_configENS1_27scan_by_key_config_selectorIllEEZZNS1_16scan_by_key_implILNS1_25lookback_scan_determinismE0ELb0ES3_N6thrust23THRUST_200600_302600_NS16reverse_iteratorIPKlEESD_NSA_IPlEElN6hipcub16HIPCUB_304000_NS3MaxENSH_8EqualityElEE10hipError_tPvRmT2_T3_T4_T5_mT6_T7_P12ihipStream_tbENKUlT_T0_E_clISt17integral_constantIbLb0EESZ_IbLb1EEEEDaSV_SW_EUlSV_E_NS1_11comp_targetILNS1_3genE9ELNS1_11target_archE1100ELNS1_3gpuE3ELNS1_3repE0EEENS1_30default_config_static_selectorELNS0_4arch9wavefront6targetE0EEEvT1_,@function
_ZN7rocprim17ROCPRIM_400000_NS6detail17trampoline_kernelINS0_14default_configENS1_27scan_by_key_config_selectorIllEEZZNS1_16scan_by_key_implILNS1_25lookback_scan_determinismE0ELb0ES3_N6thrust23THRUST_200600_302600_NS16reverse_iteratorIPKlEESD_NSA_IPlEElN6hipcub16HIPCUB_304000_NS3MaxENSH_8EqualityElEE10hipError_tPvRmT2_T3_T4_T5_mT6_T7_P12ihipStream_tbENKUlT_T0_E_clISt17integral_constantIbLb0EESZ_IbLb1EEEEDaSV_SW_EUlSV_E_NS1_11comp_targetILNS1_3genE9ELNS1_11target_archE1100ELNS1_3gpuE3ELNS1_3repE0EEENS1_30default_config_static_selectorELNS0_4arch9wavefront6targetE0EEEvT1_: ; @_ZN7rocprim17ROCPRIM_400000_NS6detail17trampoline_kernelINS0_14default_configENS1_27scan_by_key_config_selectorIllEEZZNS1_16scan_by_key_implILNS1_25lookback_scan_determinismE0ELb0ES3_N6thrust23THRUST_200600_302600_NS16reverse_iteratorIPKlEESD_NSA_IPlEElN6hipcub16HIPCUB_304000_NS3MaxENSH_8EqualityElEE10hipError_tPvRmT2_T3_T4_T5_mT6_T7_P12ihipStream_tbENKUlT_T0_E_clISt17integral_constantIbLb0EESZ_IbLb1EEEEDaSV_SW_EUlSV_E_NS1_11comp_targetILNS1_3genE9ELNS1_11target_archE1100ELNS1_3gpuE3ELNS1_3repE0EEENS1_30default_config_static_selectorELNS0_4arch9wavefront6targetE0EEEvT1_
; %bb.0:
	.section	.rodata,"a",@progbits
	.p2align	6, 0x0
	.amdhsa_kernel _ZN7rocprim17ROCPRIM_400000_NS6detail17trampoline_kernelINS0_14default_configENS1_27scan_by_key_config_selectorIllEEZZNS1_16scan_by_key_implILNS1_25lookback_scan_determinismE0ELb0ES3_N6thrust23THRUST_200600_302600_NS16reverse_iteratorIPKlEESD_NSA_IPlEElN6hipcub16HIPCUB_304000_NS3MaxENSH_8EqualityElEE10hipError_tPvRmT2_T3_T4_T5_mT6_T7_P12ihipStream_tbENKUlT_T0_E_clISt17integral_constantIbLb0EESZ_IbLb1EEEEDaSV_SW_EUlSV_E_NS1_11comp_targetILNS1_3genE9ELNS1_11target_archE1100ELNS1_3gpuE3ELNS1_3repE0EEENS1_30default_config_static_selectorELNS0_4arch9wavefront6targetE0EEEvT1_
		.amdhsa_group_segment_fixed_size 0
		.amdhsa_private_segment_fixed_size 0
		.amdhsa_kernarg_size 136
		.amdhsa_user_sgpr_count 2
		.amdhsa_user_sgpr_dispatch_ptr 0
		.amdhsa_user_sgpr_queue_ptr 0
		.amdhsa_user_sgpr_kernarg_segment_ptr 1
		.amdhsa_user_sgpr_dispatch_id 0
		.amdhsa_user_sgpr_kernarg_preload_length 0
		.amdhsa_user_sgpr_kernarg_preload_offset 0
		.amdhsa_user_sgpr_private_segment_size 0
		.amdhsa_wavefront_size32 1
		.amdhsa_uses_dynamic_stack 0
		.amdhsa_enable_private_segment 0
		.amdhsa_system_sgpr_workgroup_id_x 1
		.amdhsa_system_sgpr_workgroup_id_y 0
		.amdhsa_system_sgpr_workgroup_id_z 0
		.amdhsa_system_sgpr_workgroup_info 0
		.amdhsa_system_vgpr_workitem_id 0
		.amdhsa_next_free_vgpr 1
		.amdhsa_next_free_sgpr 1
		.amdhsa_named_barrier_count 0
		.amdhsa_reserve_vcc 0
		.amdhsa_float_round_mode_32 0
		.amdhsa_float_round_mode_16_64 0
		.amdhsa_float_denorm_mode_32 3
		.amdhsa_float_denorm_mode_16_64 3
		.amdhsa_fp16_overflow 0
		.amdhsa_memory_ordered 1
		.amdhsa_forward_progress 1
		.amdhsa_inst_pref_size 0
		.amdhsa_round_robin_scheduling 0
		.amdhsa_exception_fp_ieee_invalid_op 0
		.amdhsa_exception_fp_denorm_src 0
		.amdhsa_exception_fp_ieee_div_zero 0
		.amdhsa_exception_fp_ieee_overflow 0
		.amdhsa_exception_fp_ieee_underflow 0
		.amdhsa_exception_fp_ieee_inexact 0
		.amdhsa_exception_int_div_zero 0
	.end_amdhsa_kernel
	.section	.text._ZN7rocprim17ROCPRIM_400000_NS6detail17trampoline_kernelINS0_14default_configENS1_27scan_by_key_config_selectorIllEEZZNS1_16scan_by_key_implILNS1_25lookback_scan_determinismE0ELb0ES3_N6thrust23THRUST_200600_302600_NS16reverse_iteratorIPKlEESD_NSA_IPlEElN6hipcub16HIPCUB_304000_NS3MaxENSH_8EqualityElEE10hipError_tPvRmT2_T3_T4_T5_mT6_T7_P12ihipStream_tbENKUlT_T0_E_clISt17integral_constantIbLb0EESZ_IbLb1EEEEDaSV_SW_EUlSV_E_NS1_11comp_targetILNS1_3genE9ELNS1_11target_archE1100ELNS1_3gpuE3ELNS1_3repE0EEENS1_30default_config_static_selectorELNS0_4arch9wavefront6targetE0EEEvT1_,"axG",@progbits,_ZN7rocprim17ROCPRIM_400000_NS6detail17trampoline_kernelINS0_14default_configENS1_27scan_by_key_config_selectorIllEEZZNS1_16scan_by_key_implILNS1_25lookback_scan_determinismE0ELb0ES3_N6thrust23THRUST_200600_302600_NS16reverse_iteratorIPKlEESD_NSA_IPlEElN6hipcub16HIPCUB_304000_NS3MaxENSH_8EqualityElEE10hipError_tPvRmT2_T3_T4_T5_mT6_T7_P12ihipStream_tbENKUlT_T0_E_clISt17integral_constantIbLb0EESZ_IbLb1EEEEDaSV_SW_EUlSV_E_NS1_11comp_targetILNS1_3genE9ELNS1_11target_archE1100ELNS1_3gpuE3ELNS1_3repE0EEENS1_30default_config_static_selectorELNS0_4arch9wavefront6targetE0EEEvT1_,comdat
.Lfunc_end174:
	.size	_ZN7rocprim17ROCPRIM_400000_NS6detail17trampoline_kernelINS0_14default_configENS1_27scan_by_key_config_selectorIllEEZZNS1_16scan_by_key_implILNS1_25lookback_scan_determinismE0ELb0ES3_N6thrust23THRUST_200600_302600_NS16reverse_iteratorIPKlEESD_NSA_IPlEElN6hipcub16HIPCUB_304000_NS3MaxENSH_8EqualityElEE10hipError_tPvRmT2_T3_T4_T5_mT6_T7_P12ihipStream_tbENKUlT_T0_E_clISt17integral_constantIbLb0EESZ_IbLb1EEEEDaSV_SW_EUlSV_E_NS1_11comp_targetILNS1_3genE9ELNS1_11target_archE1100ELNS1_3gpuE3ELNS1_3repE0EEENS1_30default_config_static_selectorELNS0_4arch9wavefront6targetE0EEEvT1_, .Lfunc_end174-_ZN7rocprim17ROCPRIM_400000_NS6detail17trampoline_kernelINS0_14default_configENS1_27scan_by_key_config_selectorIllEEZZNS1_16scan_by_key_implILNS1_25lookback_scan_determinismE0ELb0ES3_N6thrust23THRUST_200600_302600_NS16reverse_iteratorIPKlEESD_NSA_IPlEElN6hipcub16HIPCUB_304000_NS3MaxENSH_8EqualityElEE10hipError_tPvRmT2_T3_T4_T5_mT6_T7_P12ihipStream_tbENKUlT_T0_E_clISt17integral_constantIbLb0EESZ_IbLb1EEEEDaSV_SW_EUlSV_E_NS1_11comp_targetILNS1_3genE9ELNS1_11target_archE1100ELNS1_3gpuE3ELNS1_3repE0EEENS1_30default_config_static_selectorELNS0_4arch9wavefront6targetE0EEEvT1_
                                        ; -- End function
	.set _ZN7rocprim17ROCPRIM_400000_NS6detail17trampoline_kernelINS0_14default_configENS1_27scan_by_key_config_selectorIllEEZZNS1_16scan_by_key_implILNS1_25lookback_scan_determinismE0ELb0ES3_N6thrust23THRUST_200600_302600_NS16reverse_iteratorIPKlEESD_NSA_IPlEElN6hipcub16HIPCUB_304000_NS3MaxENSH_8EqualityElEE10hipError_tPvRmT2_T3_T4_T5_mT6_T7_P12ihipStream_tbENKUlT_T0_E_clISt17integral_constantIbLb0EESZ_IbLb1EEEEDaSV_SW_EUlSV_E_NS1_11comp_targetILNS1_3genE9ELNS1_11target_archE1100ELNS1_3gpuE3ELNS1_3repE0EEENS1_30default_config_static_selectorELNS0_4arch9wavefront6targetE0EEEvT1_.num_vgpr, 0
	.set _ZN7rocprim17ROCPRIM_400000_NS6detail17trampoline_kernelINS0_14default_configENS1_27scan_by_key_config_selectorIllEEZZNS1_16scan_by_key_implILNS1_25lookback_scan_determinismE0ELb0ES3_N6thrust23THRUST_200600_302600_NS16reverse_iteratorIPKlEESD_NSA_IPlEElN6hipcub16HIPCUB_304000_NS3MaxENSH_8EqualityElEE10hipError_tPvRmT2_T3_T4_T5_mT6_T7_P12ihipStream_tbENKUlT_T0_E_clISt17integral_constantIbLb0EESZ_IbLb1EEEEDaSV_SW_EUlSV_E_NS1_11comp_targetILNS1_3genE9ELNS1_11target_archE1100ELNS1_3gpuE3ELNS1_3repE0EEENS1_30default_config_static_selectorELNS0_4arch9wavefront6targetE0EEEvT1_.num_agpr, 0
	.set _ZN7rocprim17ROCPRIM_400000_NS6detail17trampoline_kernelINS0_14default_configENS1_27scan_by_key_config_selectorIllEEZZNS1_16scan_by_key_implILNS1_25lookback_scan_determinismE0ELb0ES3_N6thrust23THRUST_200600_302600_NS16reverse_iteratorIPKlEESD_NSA_IPlEElN6hipcub16HIPCUB_304000_NS3MaxENSH_8EqualityElEE10hipError_tPvRmT2_T3_T4_T5_mT6_T7_P12ihipStream_tbENKUlT_T0_E_clISt17integral_constantIbLb0EESZ_IbLb1EEEEDaSV_SW_EUlSV_E_NS1_11comp_targetILNS1_3genE9ELNS1_11target_archE1100ELNS1_3gpuE3ELNS1_3repE0EEENS1_30default_config_static_selectorELNS0_4arch9wavefront6targetE0EEEvT1_.numbered_sgpr, 0
	.set _ZN7rocprim17ROCPRIM_400000_NS6detail17trampoline_kernelINS0_14default_configENS1_27scan_by_key_config_selectorIllEEZZNS1_16scan_by_key_implILNS1_25lookback_scan_determinismE0ELb0ES3_N6thrust23THRUST_200600_302600_NS16reverse_iteratorIPKlEESD_NSA_IPlEElN6hipcub16HIPCUB_304000_NS3MaxENSH_8EqualityElEE10hipError_tPvRmT2_T3_T4_T5_mT6_T7_P12ihipStream_tbENKUlT_T0_E_clISt17integral_constantIbLb0EESZ_IbLb1EEEEDaSV_SW_EUlSV_E_NS1_11comp_targetILNS1_3genE9ELNS1_11target_archE1100ELNS1_3gpuE3ELNS1_3repE0EEENS1_30default_config_static_selectorELNS0_4arch9wavefront6targetE0EEEvT1_.num_named_barrier, 0
	.set _ZN7rocprim17ROCPRIM_400000_NS6detail17trampoline_kernelINS0_14default_configENS1_27scan_by_key_config_selectorIllEEZZNS1_16scan_by_key_implILNS1_25lookback_scan_determinismE0ELb0ES3_N6thrust23THRUST_200600_302600_NS16reverse_iteratorIPKlEESD_NSA_IPlEElN6hipcub16HIPCUB_304000_NS3MaxENSH_8EqualityElEE10hipError_tPvRmT2_T3_T4_T5_mT6_T7_P12ihipStream_tbENKUlT_T0_E_clISt17integral_constantIbLb0EESZ_IbLb1EEEEDaSV_SW_EUlSV_E_NS1_11comp_targetILNS1_3genE9ELNS1_11target_archE1100ELNS1_3gpuE3ELNS1_3repE0EEENS1_30default_config_static_selectorELNS0_4arch9wavefront6targetE0EEEvT1_.private_seg_size, 0
	.set _ZN7rocprim17ROCPRIM_400000_NS6detail17trampoline_kernelINS0_14default_configENS1_27scan_by_key_config_selectorIllEEZZNS1_16scan_by_key_implILNS1_25lookback_scan_determinismE0ELb0ES3_N6thrust23THRUST_200600_302600_NS16reverse_iteratorIPKlEESD_NSA_IPlEElN6hipcub16HIPCUB_304000_NS3MaxENSH_8EqualityElEE10hipError_tPvRmT2_T3_T4_T5_mT6_T7_P12ihipStream_tbENKUlT_T0_E_clISt17integral_constantIbLb0EESZ_IbLb1EEEEDaSV_SW_EUlSV_E_NS1_11comp_targetILNS1_3genE9ELNS1_11target_archE1100ELNS1_3gpuE3ELNS1_3repE0EEENS1_30default_config_static_selectorELNS0_4arch9wavefront6targetE0EEEvT1_.uses_vcc, 0
	.set _ZN7rocprim17ROCPRIM_400000_NS6detail17trampoline_kernelINS0_14default_configENS1_27scan_by_key_config_selectorIllEEZZNS1_16scan_by_key_implILNS1_25lookback_scan_determinismE0ELb0ES3_N6thrust23THRUST_200600_302600_NS16reverse_iteratorIPKlEESD_NSA_IPlEElN6hipcub16HIPCUB_304000_NS3MaxENSH_8EqualityElEE10hipError_tPvRmT2_T3_T4_T5_mT6_T7_P12ihipStream_tbENKUlT_T0_E_clISt17integral_constantIbLb0EESZ_IbLb1EEEEDaSV_SW_EUlSV_E_NS1_11comp_targetILNS1_3genE9ELNS1_11target_archE1100ELNS1_3gpuE3ELNS1_3repE0EEENS1_30default_config_static_selectorELNS0_4arch9wavefront6targetE0EEEvT1_.uses_flat_scratch, 0
	.set _ZN7rocprim17ROCPRIM_400000_NS6detail17trampoline_kernelINS0_14default_configENS1_27scan_by_key_config_selectorIllEEZZNS1_16scan_by_key_implILNS1_25lookback_scan_determinismE0ELb0ES3_N6thrust23THRUST_200600_302600_NS16reverse_iteratorIPKlEESD_NSA_IPlEElN6hipcub16HIPCUB_304000_NS3MaxENSH_8EqualityElEE10hipError_tPvRmT2_T3_T4_T5_mT6_T7_P12ihipStream_tbENKUlT_T0_E_clISt17integral_constantIbLb0EESZ_IbLb1EEEEDaSV_SW_EUlSV_E_NS1_11comp_targetILNS1_3genE9ELNS1_11target_archE1100ELNS1_3gpuE3ELNS1_3repE0EEENS1_30default_config_static_selectorELNS0_4arch9wavefront6targetE0EEEvT1_.has_dyn_sized_stack, 0
	.set _ZN7rocprim17ROCPRIM_400000_NS6detail17trampoline_kernelINS0_14default_configENS1_27scan_by_key_config_selectorIllEEZZNS1_16scan_by_key_implILNS1_25lookback_scan_determinismE0ELb0ES3_N6thrust23THRUST_200600_302600_NS16reverse_iteratorIPKlEESD_NSA_IPlEElN6hipcub16HIPCUB_304000_NS3MaxENSH_8EqualityElEE10hipError_tPvRmT2_T3_T4_T5_mT6_T7_P12ihipStream_tbENKUlT_T0_E_clISt17integral_constantIbLb0EESZ_IbLb1EEEEDaSV_SW_EUlSV_E_NS1_11comp_targetILNS1_3genE9ELNS1_11target_archE1100ELNS1_3gpuE3ELNS1_3repE0EEENS1_30default_config_static_selectorELNS0_4arch9wavefront6targetE0EEEvT1_.has_recursion, 0
	.set _ZN7rocprim17ROCPRIM_400000_NS6detail17trampoline_kernelINS0_14default_configENS1_27scan_by_key_config_selectorIllEEZZNS1_16scan_by_key_implILNS1_25lookback_scan_determinismE0ELb0ES3_N6thrust23THRUST_200600_302600_NS16reverse_iteratorIPKlEESD_NSA_IPlEElN6hipcub16HIPCUB_304000_NS3MaxENSH_8EqualityElEE10hipError_tPvRmT2_T3_T4_T5_mT6_T7_P12ihipStream_tbENKUlT_T0_E_clISt17integral_constantIbLb0EESZ_IbLb1EEEEDaSV_SW_EUlSV_E_NS1_11comp_targetILNS1_3genE9ELNS1_11target_archE1100ELNS1_3gpuE3ELNS1_3repE0EEENS1_30default_config_static_selectorELNS0_4arch9wavefront6targetE0EEEvT1_.has_indirect_call, 0
	.section	.AMDGPU.csdata,"",@progbits
; Kernel info:
; codeLenInByte = 0
; TotalNumSgprs: 0
; NumVgprs: 0
; ScratchSize: 0
; MemoryBound: 0
; FloatMode: 240
; IeeeMode: 1
; LDSByteSize: 0 bytes/workgroup (compile time only)
; SGPRBlocks: 0
; VGPRBlocks: 0
; NumSGPRsForWavesPerEU: 1
; NumVGPRsForWavesPerEU: 1
; NamedBarCnt: 0
; Occupancy: 16
; WaveLimiterHint : 0
; COMPUTE_PGM_RSRC2:SCRATCH_EN: 0
; COMPUTE_PGM_RSRC2:USER_SGPR: 2
; COMPUTE_PGM_RSRC2:TRAP_HANDLER: 0
; COMPUTE_PGM_RSRC2:TGID_X_EN: 1
; COMPUTE_PGM_RSRC2:TGID_Y_EN: 0
; COMPUTE_PGM_RSRC2:TGID_Z_EN: 0
; COMPUTE_PGM_RSRC2:TIDIG_COMP_CNT: 0
	.section	.text._ZN7rocprim17ROCPRIM_400000_NS6detail17trampoline_kernelINS0_14default_configENS1_27scan_by_key_config_selectorIllEEZZNS1_16scan_by_key_implILNS1_25lookback_scan_determinismE0ELb0ES3_N6thrust23THRUST_200600_302600_NS16reverse_iteratorIPKlEESD_NSA_IPlEElN6hipcub16HIPCUB_304000_NS3MaxENSH_8EqualityElEE10hipError_tPvRmT2_T3_T4_T5_mT6_T7_P12ihipStream_tbENKUlT_T0_E_clISt17integral_constantIbLb0EESZ_IbLb1EEEEDaSV_SW_EUlSV_E_NS1_11comp_targetILNS1_3genE8ELNS1_11target_archE1030ELNS1_3gpuE2ELNS1_3repE0EEENS1_30default_config_static_selectorELNS0_4arch9wavefront6targetE0EEEvT1_,"axG",@progbits,_ZN7rocprim17ROCPRIM_400000_NS6detail17trampoline_kernelINS0_14default_configENS1_27scan_by_key_config_selectorIllEEZZNS1_16scan_by_key_implILNS1_25lookback_scan_determinismE0ELb0ES3_N6thrust23THRUST_200600_302600_NS16reverse_iteratorIPKlEESD_NSA_IPlEElN6hipcub16HIPCUB_304000_NS3MaxENSH_8EqualityElEE10hipError_tPvRmT2_T3_T4_T5_mT6_T7_P12ihipStream_tbENKUlT_T0_E_clISt17integral_constantIbLb0EESZ_IbLb1EEEEDaSV_SW_EUlSV_E_NS1_11comp_targetILNS1_3genE8ELNS1_11target_archE1030ELNS1_3gpuE2ELNS1_3repE0EEENS1_30default_config_static_selectorELNS0_4arch9wavefront6targetE0EEEvT1_,comdat
	.protected	_ZN7rocprim17ROCPRIM_400000_NS6detail17trampoline_kernelINS0_14default_configENS1_27scan_by_key_config_selectorIllEEZZNS1_16scan_by_key_implILNS1_25lookback_scan_determinismE0ELb0ES3_N6thrust23THRUST_200600_302600_NS16reverse_iteratorIPKlEESD_NSA_IPlEElN6hipcub16HIPCUB_304000_NS3MaxENSH_8EqualityElEE10hipError_tPvRmT2_T3_T4_T5_mT6_T7_P12ihipStream_tbENKUlT_T0_E_clISt17integral_constantIbLb0EESZ_IbLb1EEEEDaSV_SW_EUlSV_E_NS1_11comp_targetILNS1_3genE8ELNS1_11target_archE1030ELNS1_3gpuE2ELNS1_3repE0EEENS1_30default_config_static_selectorELNS0_4arch9wavefront6targetE0EEEvT1_ ; -- Begin function _ZN7rocprim17ROCPRIM_400000_NS6detail17trampoline_kernelINS0_14default_configENS1_27scan_by_key_config_selectorIllEEZZNS1_16scan_by_key_implILNS1_25lookback_scan_determinismE0ELb0ES3_N6thrust23THRUST_200600_302600_NS16reverse_iteratorIPKlEESD_NSA_IPlEElN6hipcub16HIPCUB_304000_NS3MaxENSH_8EqualityElEE10hipError_tPvRmT2_T3_T4_T5_mT6_T7_P12ihipStream_tbENKUlT_T0_E_clISt17integral_constantIbLb0EESZ_IbLb1EEEEDaSV_SW_EUlSV_E_NS1_11comp_targetILNS1_3genE8ELNS1_11target_archE1030ELNS1_3gpuE2ELNS1_3repE0EEENS1_30default_config_static_selectorELNS0_4arch9wavefront6targetE0EEEvT1_
	.globl	_ZN7rocprim17ROCPRIM_400000_NS6detail17trampoline_kernelINS0_14default_configENS1_27scan_by_key_config_selectorIllEEZZNS1_16scan_by_key_implILNS1_25lookback_scan_determinismE0ELb0ES3_N6thrust23THRUST_200600_302600_NS16reverse_iteratorIPKlEESD_NSA_IPlEElN6hipcub16HIPCUB_304000_NS3MaxENSH_8EqualityElEE10hipError_tPvRmT2_T3_T4_T5_mT6_T7_P12ihipStream_tbENKUlT_T0_E_clISt17integral_constantIbLb0EESZ_IbLb1EEEEDaSV_SW_EUlSV_E_NS1_11comp_targetILNS1_3genE8ELNS1_11target_archE1030ELNS1_3gpuE2ELNS1_3repE0EEENS1_30default_config_static_selectorELNS0_4arch9wavefront6targetE0EEEvT1_
	.p2align	8
	.type	_ZN7rocprim17ROCPRIM_400000_NS6detail17trampoline_kernelINS0_14default_configENS1_27scan_by_key_config_selectorIllEEZZNS1_16scan_by_key_implILNS1_25lookback_scan_determinismE0ELb0ES3_N6thrust23THRUST_200600_302600_NS16reverse_iteratorIPKlEESD_NSA_IPlEElN6hipcub16HIPCUB_304000_NS3MaxENSH_8EqualityElEE10hipError_tPvRmT2_T3_T4_T5_mT6_T7_P12ihipStream_tbENKUlT_T0_E_clISt17integral_constantIbLb0EESZ_IbLb1EEEEDaSV_SW_EUlSV_E_NS1_11comp_targetILNS1_3genE8ELNS1_11target_archE1030ELNS1_3gpuE2ELNS1_3repE0EEENS1_30default_config_static_selectorELNS0_4arch9wavefront6targetE0EEEvT1_,@function
_ZN7rocprim17ROCPRIM_400000_NS6detail17trampoline_kernelINS0_14default_configENS1_27scan_by_key_config_selectorIllEEZZNS1_16scan_by_key_implILNS1_25lookback_scan_determinismE0ELb0ES3_N6thrust23THRUST_200600_302600_NS16reverse_iteratorIPKlEESD_NSA_IPlEElN6hipcub16HIPCUB_304000_NS3MaxENSH_8EqualityElEE10hipError_tPvRmT2_T3_T4_T5_mT6_T7_P12ihipStream_tbENKUlT_T0_E_clISt17integral_constantIbLb0EESZ_IbLb1EEEEDaSV_SW_EUlSV_E_NS1_11comp_targetILNS1_3genE8ELNS1_11target_archE1030ELNS1_3gpuE2ELNS1_3repE0EEENS1_30default_config_static_selectorELNS0_4arch9wavefront6targetE0EEEvT1_: ; @_ZN7rocprim17ROCPRIM_400000_NS6detail17trampoline_kernelINS0_14default_configENS1_27scan_by_key_config_selectorIllEEZZNS1_16scan_by_key_implILNS1_25lookback_scan_determinismE0ELb0ES3_N6thrust23THRUST_200600_302600_NS16reverse_iteratorIPKlEESD_NSA_IPlEElN6hipcub16HIPCUB_304000_NS3MaxENSH_8EqualityElEE10hipError_tPvRmT2_T3_T4_T5_mT6_T7_P12ihipStream_tbENKUlT_T0_E_clISt17integral_constantIbLb0EESZ_IbLb1EEEEDaSV_SW_EUlSV_E_NS1_11comp_targetILNS1_3genE8ELNS1_11target_archE1030ELNS1_3gpuE2ELNS1_3repE0EEENS1_30default_config_static_selectorELNS0_4arch9wavefront6targetE0EEEvT1_
; %bb.0:
	.section	.rodata,"a",@progbits
	.p2align	6, 0x0
	.amdhsa_kernel _ZN7rocprim17ROCPRIM_400000_NS6detail17trampoline_kernelINS0_14default_configENS1_27scan_by_key_config_selectorIllEEZZNS1_16scan_by_key_implILNS1_25lookback_scan_determinismE0ELb0ES3_N6thrust23THRUST_200600_302600_NS16reverse_iteratorIPKlEESD_NSA_IPlEElN6hipcub16HIPCUB_304000_NS3MaxENSH_8EqualityElEE10hipError_tPvRmT2_T3_T4_T5_mT6_T7_P12ihipStream_tbENKUlT_T0_E_clISt17integral_constantIbLb0EESZ_IbLb1EEEEDaSV_SW_EUlSV_E_NS1_11comp_targetILNS1_3genE8ELNS1_11target_archE1030ELNS1_3gpuE2ELNS1_3repE0EEENS1_30default_config_static_selectorELNS0_4arch9wavefront6targetE0EEEvT1_
		.amdhsa_group_segment_fixed_size 0
		.amdhsa_private_segment_fixed_size 0
		.amdhsa_kernarg_size 136
		.amdhsa_user_sgpr_count 2
		.amdhsa_user_sgpr_dispatch_ptr 0
		.amdhsa_user_sgpr_queue_ptr 0
		.amdhsa_user_sgpr_kernarg_segment_ptr 1
		.amdhsa_user_sgpr_dispatch_id 0
		.amdhsa_user_sgpr_kernarg_preload_length 0
		.amdhsa_user_sgpr_kernarg_preload_offset 0
		.amdhsa_user_sgpr_private_segment_size 0
		.amdhsa_wavefront_size32 1
		.amdhsa_uses_dynamic_stack 0
		.amdhsa_enable_private_segment 0
		.amdhsa_system_sgpr_workgroup_id_x 1
		.amdhsa_system_sgpr_workgroup_id_y 0
		.amdhsa_system_sgpr_workgroup_id_z 0
		.amdhsa_system_sgpr_workgroup_info 0
		.amdhsa_system_vgpr_workitem_id 0
		.amdhsa_next_free_vgpr 1
		.amdhsa_next_free_sgpr 1
		.amdhsa_named_barrier_count 0
		.amdhsa_reserve_vcc 0
		.amdhsa_float_round_mode_32 0
		.amdhsa_float_round_mode_16_64 0
		.amdhsa_float_denorm_mode_32 3
		.amdhsa_float_denorm_mode_16_64 3
		.amdhsa_fp16_overflow 0
		.amdhsa_memory_ordered 1
		.amdhsa_forward_progress 1
		.amdhsa_inst_pref_size 0
		.amdhsa_round_robin_scheduling 0
		.amdhsa_exception_fp_ieee_invalid_op 0
		.amdhsa_exception_fp_denorm_src 0
		.amdhsa_exception_fp_ieee_div_zero 0
		.amdhsa_exception_fp_ieee_overflow 0
		.amdhsa_exception_fp_ieee_underflow 0
		.amdhsa_exception_fp_ieee_inexact 0
		.amdhsa_exception_int_div_zero 0
	.end_amdhsa_kernel
	.section	.text._ZN7rocprim17ROCPRIM_400000_NS6detail17trampoline_kernelINS0_14default_configENS1_27scan_by_key_config_selectorIllEEZZNS1_16scan_by_key_implILNS1_25lookback_scan_determinismE0ELb0ES3_N6thrust23THRUST_200600_302600_NS16reverse_iteratorIPKlEESD_NSA_IPlEElN6hipcub16HIPCUB_304000_NS3MaxENSH_8EqualityElEE10hipError_tPvRmT2_T3_T4_T5_mT6_T7_P12ihipStream_tbENKUlT_T0_E_clISt17integral_constantIbLb0EESZ_IbLb1EEEEDaSV_SW_EUlSV_E_NS1_11comp_targetILNS1_3genE8ELNS1_11target_archE1030ELNS1_3gpuE2ELNS1_3repE0EEENS1_30default_config_static_selectorELNS0_4arch9wavefront6targetE0EEEvT1_,"axG",@progbits,_ZN7rocprim17ROCPRIM_400000_NS6detail17trampoline_kernelINS0_14default_configENS1_27scan_by_key_config_selectorIllEEZZNS1_16scan_by_key_implILNS1_25lookback_scan_determinismE0ELb0ES3_N6thrust23THRUST_200600_302600_NS16reverse_iteratorIPKlEESD_NSA_IPlEElN6hipcub16HIPCUB_304000_NS3MaxENSH_8EqualityElEE10hipError_tPvRmT2_T3_T4_T5_mT6_T7_P12ihipStream_tbENKUlT_T0_E_clISt17integral_constantIbLb0EESZ_IbLb1EEEEDaSV_SW_EUlSV_E_NS1_11comp_targetILNS1_3genE8ELNS1_11target_archE1030ELNS1_3gpuE2ELNS1_3repE0EEENS1_30default_config_static_selectorELNS0_4arch9wavefront6targetE0EEEvT1_,comdat
.Lfunc_end175:
	.size	_ZN7rocprim17ROCPRIM_400000_NS6detail17trampoline_kernelINS0_14default_configENS1_27scan_by_key_config_selectorIllEEZZNS1_16scan_by_key_implILNS1_25lookback_scan_determinismE0ELb0ES3_N6thrust23THRUST_200600_302600_NS16reverse_iteratorIPKlEESD_NSA_IPlEElN6hipcub16HIPCUB_304000_NS3MaxENSH_8EqualityElEE10hipError_tPvRmT2_T3_T4_T5_mT6_T7_P12ihipStream_tbENKUlT_T0_E_clISt17integral_constantIbLb0EESZ_IbLb1EEEEDaSV_SW_EUlSV_E_NS1_11comp_targetILNS1_3genE8ELNS1_11target_archE1030ELNS1_3gpuE2ELNS1_3repE0EEENS1_30default_config_static_selectorELNS0_4arch9wavefront6targetE0EEEvT1_, .Lfunc_end175-_ZN7rocprim17ROCPRIM_400000_NS6detail17trampoline_kernelINS0_14default_configENS1_27scan_by_key_config_selectorIllEEZZNS1_16scan_by_key_implILNS1_25lookback_scan_determinismE0ELb0ES3_N6thrust23THRUST_200600_302600_NS16reverse_iteratorIPKlEESD_NSA_IPlEElN6hipcub16HIPCUB_304000_NS3MaxENSH_8EqualityElEE10hipError_tPvRmT2_T3_T4_T5_mT6_T7_P12ihipStream_tbENKUlT_T0_E_clISt17integral_constantIbLb0EESZ_IbLb1EEEEDaSV_SW_EUlSV_E_NS1_11comp_targetILNS1_3genE8ELNS1_11target_archE1030ELNS1_3gpuE2ELNS1_3repE0EEENS1_30default_config_static_selectorELNS0_4arch9wavefront6targetE0EEEvT1_
                                        ; -- End function
	.set _ZN7rocprim17ROCPRIM_400000_NS6detail17trampoline_kernelINS0_14default_configENS1_27scan_by_key_config_selectorIllEEZZNS1_16scan_by_key_implILNS1_25lookback_scan_determinismE0ELb0ES3_N6thrust23THRUST_200600_302600_NS16reverse_iteratorIPKlEESD_NSA_IPlEElN6hipcub16HIPCUB_304000_NS3MaxENSH_8EqualityElEE10hipError_tPvRmT2_T3_T4_T5_mT6_T7_P12ihipStream_tbENKUlT_T0_E_clISt17integral_constantIbLb0EESZ_IbLb1EEEEDaSV_SW_EUlSV_E_NS1_11comp_targetILNS1_3genE8ELNS1_11target_archE1030ELNS1_3gpuE2ELNS1_3repE0EEENS1_30default_config_static_selectorELNS0_4arch9wavefront6targetE0EEEvT1_.num_vgpr, 0
	.set _ZN7rocprim17ROCPRIM_400000_NS6detail17trampoline_kernelINS0_14default_configENS1_27scan_by_key_config_selectorIllEEZZNS1_16scan_by_key_implILNS1_25lookback_scan_determinismE0ELb0ES3_N6thrust23THRUST_200600_302600_NS16reverse_iteratorIPKlEESD_NSA_IPlEElN6hipcub16HIPCUB_304000_NS3MaxENSH_8EqualityElEE10hipError_tPvRmT2_T3_T4_T5_mT6_T7_P12ihipStream_tbENKUlT_T0_E_clISt17integral_constantIbLb0EESZ_IbLb1EEEEDaSV_SW_EUlSV_E_NS1_11comp_targetILNS1_3genE8ELNS1_11target_archE1030ELNS1_3gpuE2ELNS1_3repE0EEENS1_30default_config_static_selectorELNS0_4arch9wavefront6targetE0EEEvT1_.num_agpr, 0
	.set _ZN7rocprim17ROCPRIM_400000_NS6detail17trampoline_kernelINS0_14default_configENS1_27scan_by_key_config_selectorIllEEZZNS1_16scan_by_key_implILNS1_25lookback_scan_determinismE0ELb0ES3_N6thrust23THRUST_200600_302600_NS16reverse_iteratorIPKlEESD_NSA_IPlEElN6hipcub16HIPCUB_304000_NS3MaxENSH_8EqualityElEE10hipError_tPvRmT2_T3_T4_T5_mT6_T7_P12ihipStream_tbENKUlT_T0_E_clISt17integral_constantIbLb0EESZ_IbLb1EEEEDaSV_SW_EUlSV_E_NS1_11comp_targetILNS1_3genE8ELNS1_11target_archE1030ELNS1_3gpuE2ELNS1_3repE0EEENS1_30default_config_static_selectorELNS0_4arch9wavefront6targetE0EEEvT1_.numbered_sgpr, 0
	.set _ZN7rocprim17ROCPRIM_400000_NS6detail17trampoline_kernelINS0_14default_configENS1_27scan_by_key_config_selectorIllEEZZNS1_16scan_by_key_implILNS1_25lookback_scan_determinismE0ELb0ES3_N6thrust23THRUST_200600_302600_NS16reverse_iteratorIPKlEESD_NSA_IPlEElN6hipcub16HIPCUB_304000_NS3MaxENSH_8EqualityElEE10hipError_tPvRmT2_T3_T4_T5_mT6_T7_P12ihipStream_tbENKUlT_T0_E_clISt17integral_constantIbLb0EESZ_IbLb1EEEEDaSV_SW_EUlSV_E_NS1_11comp_targetILNS1_3genE8ELNS1_11target_archE1030ELNS1_3gpuE2ELNS1_3repE0EEENS1_30default_config_static_selectorELNS0_4arch9wavefront6targetE0EEEvT1_.num_named_barrier, 0
	.set _ZN7rocprim17ROCPRIM_400000_NS6detail17trampoline_kernelINS0_14default_configENS1_27scan_by_key_config_selectorIllEEZZNS1_16scan_by_key_implILNS1_25lookback_scan_determinismE0ELb0ES3_N6thrust23THRUST_200600_302600_NS16reverse_iteratorIPKlEESD_NSA_IPlEElN6hipcub16HIPCUB_304000_NS3MaxENSH_8EqualityElEE10hipError_tPvRmT2_T3_T4_T5_mT6_T7_P12ihipStream_tbENKUlT_T0_E_clISt17integral_constantIbLb0EESZ_IbLb1EEEEDaSV_SW_EUlSV_E_NS1_11comp_targetILNS1_3genE8ELNS1_11target_archE1030ELNS1_3gpuE2ELNS1_3repE0EEENS1_30default_config_static_selectorELNS0_4arch9wavefront6targetE0EEEvT1_.private_seg_size, 0
	.set _ZN7rocprim17ROCPRIM_400000_NS6detail17trampoline_kernelINS0_14default_configENS1_27scan_by_key_config_selectorIllEEZZNS1_16scan_by_key_implILNS1_25lookback_scan_determinismE0ELb0ES3_N6thrust23THRUST_200600_302600_NS16reverse_iteratorIPKlEESD_NSA_IPlEElN6hipcub16HIPCUB_304000_NS3MaxENSH_8EqualityElEE10hipError_tPvRmT2_T3_T4_T5_mT6_T7_P12ihipStream_tbENKUlT_T0_E_clISt17integral_constantIbLb0EESZ_IbLb1EEEEDaSV_SW_EUlSV_E_NS1_11comp_targetILNS1_3genE8ELNS1_11target_archE1030ELNS1_3gpuE2ELNS1_3repE0EEENS1_30default_config_static_selectorELNS0_4arch9wavefront6targetE0EEEvT1_.uses_vcc, 0
	.set _ZN7rocprim17ROCPRIM_400000_NS6detail17trampoline_kernelINS0_14default_configENS1_27scan_by_key_config_selectorIllEEZZNS1_16scan_by_key_implILNS1_25lookback_scan_determinismE0ELb0ES3_N6thrust23THRUST_200600_302600_NS16reverse_iteratorIPKlEESD_NSA_IPlEElN6hipcub16HIPCUB_304000_NS3MaxENSH_8EqualityElEE10hipError_tPvRmT2_T3_T4_T5_mT6_T7_P12ihipStream_tbENKUlT_T0_E_clISt17integral_constantIbLb0EESZ_IbLb1EEEEDaSV_SW_EUlSV_E_NS1_11comp_targetILNS1_3genE8ELNS1_11target_archE1030ELNS1_3gpuE2ELNS1_3repE0EEENS1_30default_config_static_selectorELNS0_4arch9wavefront6targetE0EEEvT1_.uses_flat_scratch, 0
	.set _ZN7rocprim17ROCPRIM_400000_NS6detail17trampoline_kernelINS0_14default_configENS1_27scan_by_key_config_selectorIllEEZZNS1_16scan_by_key_implILNS1_25lookback_scan_determinismE0ELb0ES3_N6thrust23THRUST_200600_302600_NS16reverse_iteratorIPKlEESD_NSA_IPlEElN6hipcub16HIPCUB_304000_NS3MaxENSH_8EqualityElEE10hipError_tPvRmT2_T3_T4_T5_mT6_T7_P12ihipStream_tbENKUlT_T0_E_clISt17integral_constantIbLb0EESZ_IbLb1EEEEDaSV_SW_EUlSV_E_NS1_11comp_targetILNS1_3genE8ELNS1_11target_archE1030ELNS1_3gpuE2ELNS1_3repE0EEENS1_30default_config_static_selectorELNS0_4arch9wavefront6targetE0EEEvT1_.has_dyn_sized_stack, 0
	.set _ZN7rocprim17ROCPRIM_400000_NS6detail17trampoline_kernelINS0_14default_configENS1_27scan_by_key_config_selectorIllEEZZNS1_16scan_by_key_implILNS1_25lookback_scan_determinismE0ELb0ES3_N6thrust23THRUST_200600_302600_NS16reverse_iteratorIPKlEESD_NSA_IPlEElN6hipcub16HIPCUB_304000_NS3MaxENSH_8EqualityElEE10hipError_tPvRmT2_T3_T4_T5_mT6_T7_P12ihipStream_tbENKUlT_T0_E_clISt17integral_constantIbLb0EESZ_IbLb1EEEEDaSV_SW_EUlSV_E_NS1_11comp_targetILNS1_3genE8ELNS1_11target_archE1030ELNS1_3gpuE2ELNS1_3repE0EEENS1_30default_config_static_selectorELNS0_4arch9wavefront6targetE0EEEvT1_.has_recursion, 0
	.set _ZN7rocprim17ROCPRIM_400000_NS6detail17trampoline_kernelINS0_14default_configENS1_27scan_by_key_config_selectorIllEEZZNS1_16scan_by_key_implILNS1_25lookback_scan_determinismE0ELb0ES3_N6thrust23THRUST_200600_302600_NS16reverse_iteratorIPKlEESD_NSA_IPlEElN6hipcub16HIPCUB_304000_NS3MaxENSH_8EqualityElEE10hipError_tPvRmT2_T3_T4_T5_mT6_T7_P12ihipStream_tbENKUlT_T0_E_clISt17integral_constantIbLb0EESZ_IbLb1EEEEDaSV_SW_EUlSV_E_NS1_11comp_targetILNS1_3genE8ELNS1_11target_archE1030ELNS1_3gpuE2ELNS1_3repE0EEENS1_30default_config_static_selectorELNS0_4arch9wavefront6targetE0EEEvT1_.has_indirect_call, 0
	.section	.AMDGPU.csdata,"",@progbits
; Kernel info:
; codeLenInByte = 0
; TotalNumSgprs: 0
; NumVgprs: 0
; ScratchSize: 0
; MemoryBound: 0
; FloatMode: 240
; IeeeMode: 1
; LDSByteSize: 0 bytes/workgroup (compile time only)
; SGPRBlocks: 0
; VGPRBlocks: 0
; NumSGPRsForWavesPerEU: 1
; NumVGPRsForWavesPerEU: 1
; NamedBarCnt: 0
; Occupancy: 16
; WaveLimiterHint : 0
; COMPUTE_PGM_RSRC2:SCRATCH_EN: 0
; COMPUTE_PGM_RSRC2:USER_SGPR: 2
; COMPUTE_PGM_RSRC2:TRAP_HANDLER: 0
; COMPUTE_PGM_RSRC2:TGID_X_EN: 1
; COMPUTE_PGM_RSRC2:TGID_Y_EN: 0
; COMPUTE_PGM_RSRC2:TGID_Z_EN: 0
; COMPUTE_PGM_RSRC2:TIDIG_COMP_CNT: 0
	.section	.text._ZN2at6native12_GLOBAL__N_136embedding_renorm_wrap_indices_kernelIiEEvPKT_PS3_ll,"axG",@progbits,_ZN2at6native12_GLOBAL__N_136embedding_renorm_wrap_indices_kernelIiEEvPKT_PS3_ll,comdat
	.globl	_ZN2at6native12_GLOBAL__N_136embedding_renorm_wrap_indices_kernelIiEEvPKT_PS3_ll ; -- Begin function _ZN2at6native12_GLOBAL__N_136embedding_renorm_wrap_indices_kernelIiEEvPKT_PS3_ll
	.p2align	8
	.type	_ZN2at6native12_GLOBAL__N_136embedding_renorm_wrap_indices_kernelIiEEvPKT_PS3_ll,@function
_ZN2at6native12_GLOBAL__N_136embedding_renorm_wrap_indices_kernelIiEEvPKT_PS3_ll: ; @_ZN2at6native12_GLOBAL__N_136embedding_renorm_wrap_indices_kernelIiEEvPKT_PS3_ll
; %bb.0:
	s_load_b32 s2, s[0:1], 0x2c
	s_bfe_u32 s12, ttmp6, 0x4000c
	s_load_b256 s[4:11], s[0:1], 0x0
	s_add_co_i32 s12, s12, 1
	s_and_b32 s3, ttmp6, 15
	s_wait_xcnt 0x0
	s_mul_i32 s1, ttmp9, s12
	s_getreg_b32 s0, hwreg(HW_REG_IB_STS2, 6, 4)
	v_mov_b32_e32 v1, 0
	s_add_co_i32 s3, s3, s1
	s_wait_kmcnt 0x0
	s_and_b32 s2, s2, 0xffff
	s_cmp_eq_u32 s0, 0
	s_cselect_b32 s0, ttmp9, s3
	s_delay_alu instid0(SALU_CYCLE_1) | instskip(SKIP_1) | instid1(VALU_DEP_1)
	v_mad_nc_u64_u32 v[0:1], s2, s0, v[0:1]
	s_mov_b32 s0, exec_lo
	v_cmpx_gt_i64_e64 s[8:9], v[0:1]
	s_cbranch_execz .LBB176_6
; %bb.1:
	v_lshl_add_u64 v[2:3], v[0:1], 2, s[4:5]
	s_sub_nc_u64 s[0:1], 0, s[10:11]
	global_load_b32 v2, v[2:3], off
	s_wait_loadcnt 0x0
	v_ashrrev_i32_e32 v3, 31, v2
	s_delay_alu instid0(VALU_DEP_1)
	v_cmp_le_i64_e32 vcc_lo, s[0:1], v[2:3]
	s_mov_b32 s1, -1
	s_and_saveexec_b32 s0, vcc_lo
	s_cbranch_execz .LBB176_5
; %bb.2:
	v_cmp_le_i64_e32 vcc_lo, s[10:11], v[2:3]
	s_get_pc_i64 s[2:3]
	s_add_nc_u64 s[2:3], s[2:3], .str.5@rel64+4
	s_delay_alu instid0(SALU_CYCLE_1) | instskip(SKIP_1) | instid1(SALU_CYCLE_1)
	s_cmp_eq_u64 s[2:3], 0
	s_cselect_b32 s1, -1, 0
	s_or_b32 s1, vcc_lo, s1
	s_delay_alu instid0(SALU_CYCLE_1) | instskip(NEXT) | instid1(SALU_CYCLE_1)
	s_xor_b32 s3, s1, -1
	s_and_saveexec_b32 s2, s3
; %bb.3:
	v_ashrrev_i32_e32 v3, 31, v2
	v_lshl_add_u64 v[0:1], v[0:1], 2, s[6:7]
	s_delay_alu instid0(VALU_DEP_2) | instskip(NEXT) | instid1(VALU_DEP_1)
	v_and_b32_e32 v3, s10, v3
	v_add_nc_u32_e32 v2, v3, v2
	global_store_b32 v[0:1], v2, off
; %bb.4:
	s_wait_xcnt 0x0
	s_or_b32 exec_lo, exec_lo, s2
	s_delay_alu instid0(SALU_CYCLE_1)
	s_or_not1_b32 s1, s1, exec_lo
.LBB176_5:
	s_or_b32 exec_lo, exec_lo, s0
	s_delay_alu instid0(SALU_CYCLE_1)
	s_and_b32 exec_lo, exec_lo, s1
	s_cbranch_execnz .LBB176_7
.LBB176_6:
	s_endpgm
.LBB176_7:
	s_trap 2
	; divergent unreachable
	s_endpgm
	.section	.rodata,"a",@progbits
	.p2align	6, 0x0
	.amdhsa_kernel _ZN2at6native12_GLOBAL__N_136embedding_renorm_wrap_indices_kernelIiEEvPKT_PS3_ll
		.amdhsa_group_segment_fixed_size 0
		.amdhsa_private_segment_fixed_size 0
		.amdhsa_kernarg_size 288
		.amdhsa_user_sgpr_count 2
		.amdhsa_user_sgpr_dispatch_ptr 0
		.amdhsa_user_sgpr_queue_ptr 0
		.amdhsa_user_sgpr_kernarg_segment_ptr 1
		.amdhsa_user_sgpr_dispatch_id 0
		.amdhsa_user_sgpr_kernarg_preload_length 0
		.amdhsa_user_sgpr_kernarg_preload_offset 0
		.amdhsa_user_sgpr_private_segment_size 0
		.amdhsa_wavefront_size32 1
		.amdhsa_uses_dynamic_stack 0
		.amdhsa_enable_private_segment 0
		.amdhsa_system_sgpr_workgroup_id_x 1
		.amdhsa_system_sgpr_workgroup_id_y 0
		.amdhsa_system_sgpr_workgroup_id_z 0
		.amdhsa_system_sgpr_workgroup_info 0
		.amdhsa_system_vgpr_workitem_id 0
		.amdhsa_next_free_vgpr 4
		.amdhsa_next_free_sgpr 13
		.amdhsa_named_barrier_count 0
		.amdhsa_reserve_vcc 1
		.amdhsa_float_round_mode_32 0
		.amdhsa_float_round_mode_16_64 0
		.amdhsa_float_denorm_mode_32 3
		.amdhsa_float_denorm_mode_16_64 3
		.amdhsa_fp16_overflow 0
		.amdhsa_memory_ordered 1
		.amdhsa_forward_progress 1
		.amdhsa_inst_pref_size 3
		.amdhsa_round_robin_scheduling 0
		.amdhsa_exception_fp_ieee_invalid_op 0
		.amdhsa_exception_fp_denorm_src 0
		.amdhsa_exception_fp_ieee_div_zero 0
		.amdhsa_exception_fp_ieee_overflow 0
		.amdhsa_exception_fp_ieee_underflow 0
		.amdhsa_exception_fp_ieee_inexact 0
		.amdhsa_exception_int_div_zero 0
	.end_amdhsa_kernel
	.section	.text._ZN2at6native12_GLOBAL__N_136embedding_renorm_wrap_indices_kernelIiEEvPKT_PS3_ll,"axG",@progbits,_ZN2at6native12_GLOBAL__N_136embedding_renorm_wrap_indices_kernelIiEEvPKT_PS3_ll,comdat
.Lfunc_end176:
	.size	_ZN2at6native12_GLOBAL__N_136embedding_renorm_wrap_indices_kernelIiEEvPKT_PS3_ll, .Lfunc_end176-_ZN2at6native12_GLOBAL__N_136embedding_renorm_wrap_indices_kernelIiEEvPKT_PS3_ll
                                        ; -- End function
	.set _ZN2at6native12_GLOBAL__N_136embedding_renorm_wrap_indices_kernelIiEEvPKT_PS3_ll.num_vgpr, 4
	.set _ZN2at6native12_GLOBAL__N_136embedding_renorm_wrap_indices_kernelIiEEvPKT_PS3_ll.num_agpr, 0
	.set _ZN2at6native12_GLOBAL__N_136embedding_renorm_wrap_indices_kernelIiEEvPKT_PS3_ll.numbered_sgpr, 13
	.set _ZN2at6native12_GLOBAL__N_136embedding_renorm_wrap_indices_kernelIiEEvPKT_PS3_ll.num_named_barrier, 0
	.set _ZN2at6native12_GLOBAL__N_136embedding_renorm_wrap_indices_kernelIiEEvPKT_PS3_ll.private_seg_size, 0
	.set _ZN2at6native12_GLOBAL__N_136embedding_renorm_wrap_indices_kernelIiEEvPKT_PS3_ll.uses_vcc, 1
	.set _ZN2at6native12_GLOBAL__N_136embedding_renorm_wrap_indices_kernelIiEEvPKT_PS3_ll.uses_flat_scratch, 0
	.set _ZN2at6native12_GLOBAL__N_136embedding_renorm_wrap_indices_kernelIiEEvPKT_PS3_ll.has_dyn_sized_stack, 0
	.set _ZN2at6native12_GLOBAL__N_136embedding_renorm_wrap_indices_kernelIiEEvPKT_PS3_ll.has_recursion, 0
	.set _ZN2at6native12_GLOBAL__N_136embedding_renorm_wrap_indices_kernelIiEEvPKT_PS3_ll.has_indirect_call, 0
	.section	.AMDGPU.csdata,"",@progbits
; Kernel info:
; codeLenInByte = 280
; TotalNumSgprs: 15
; NumVgprs: 4
; ScratchSize: 0
; MemoryBound: 0
; FloatMode: 240
; IeeeMode: 1
; LDSByteSize: 0 bytes/workgroup (compile time only)
; SGPRBlocks: 0
; VGPRBlocks: 0
; NumSGPRsForWavesPerEU: 15
; NumVGPRsForWavesPerEU: 4
; NamedBarCnt: 0
; Occupancy: 16
; WaveLimiterHint : 0
; COMPUTE_PGM_RSRC2:SCRATCH_EN: 0
; COMPUTE_PGM_RSRC2:USER_SGPR: 2
; COMPUTE_PGM_RSRC2:TRAP_HANDLER: 0
; COMPUTE_PGM_RSRC2:TGID_X_EN: 1
; COMPUTE_PGM_RSRC2:TGID_Y_EN: 0
; COMPUTE_PGM_RSRC2:TGID_Z_EN: 0
; COMPUTE_PGM_RSRC2:TIDIG_COMP_CNT: 0
	.section	.text._ZN7rocprim17ROCPRIM_400000_NS6detail31init_lookback_scan_state_kernelINS1_19lookback_scan_stateIjLb0ELb1EEENS1_16block_id_wrapperIjLb0EEEEEvT_jT0_jPNS7_10value_typeE,"axG",@progbits,_ZN7rocprim17ROCPRIM_400000_NS6detail31init_lookback_scan_state_kernelINS1_19lookback_scan_stateIjLb0ELb1EEENS1_16block_id_wrapperIjLb0EEEEEvT_jT0_jPNS7_10value_typeE,comdat
	.protected	_ZN7rocprim17ROCPRIM_400000_NS6detail31init_lookback_scan_state_kernelINS1_19lookback_scan_stateIjLb0ELb1EEENS1_16block_id_wrapperIjLb0EEEEEvT_jT0_jPNS7_10value_typeE ; -- Begin function _ZN7rocprim17ROCPRIM_400000_NS6detail31init_lookback_scan_state_kernelINS1_19lookback_scan_stateIjLb0ELb1EEENS1_16block_id_wrapperIjLb0EEEEEvT_jT0_jPNS7_10value_typeE
	.globl	_ZN7rocprim17ROCPRIM_400000_NS6detail31init_lookback_scan_state_kernelINS1_19lookback_scan_stateIjLb0ELb1EEENS1_16block_id_wrapperIjLb0EEEEEvT_jT0_jPNS7_10value_typeE
	.p2align	8
	.type	_ZN7rocprim17ROCPRIM_400000_NS6detail31init_lookback_scan_state_kernelINS1_19lookback_scan_stateIjLb0ELb1EEENS1_16block_id_wrapperIjLb0EEEEEvT_jT0_jPNS7_10value_typeE,@function
_ZN7rocprim17ROCPRIM_400000_NS6detail31init_lookback_scan_state_kernelINS1_19lookback_scan_stateIjLb0ELb1EEENS1_16block_id_wrapperIjLb0EEEEEvT_jT0_jPNS7_10value_typeE: ; @_ZN7rocprim17ROCPRIM_400000_NS6detail31init_lookback_scan_state_kernelINS1_19lookback_scan_stateIjLb0ELb1EEENS1_16block_id_wrapperIjLb0EEEEEvT_jT0_jPNS7_10value_typeE
; %bb.0:
	s_clause 0x2
	s_load_b32 s7, s[0:1], 0x2c
	s_load_b96 s[4:6], s[0:1], 0x0
	s_load_b64 s[2:3], s[0:1], 0x18
	s_bfe_u32 s8, ttmp6, 0x4000c
	s_and_b32 s9, ttmp6, 15
	s_add_co_i32 s8, s8, 1
	s_getreg_b32 s10, hwreg(HW_REG_IB_STS2, 6, 4)
	s_mul_i32 s8, ttmp9, s8
	s_delay_alu instid0(SALU_CYCLE_1)
	s_add_co_i32 s9, s9, s8
	s_wait_kmcnt 0x0
	s_and_b32 s7, s7, 0xffff
	s_cmp_eq_u32 s10, 0
	s_cselect_b32 s8, ttmp9, s9
	s_cmp_eq_u64 s[2:3], 0
	v_mad_u32 v4, s8, s7, v0
	s_cbranch_scc1 .LBB177_7
; %bb.1:
	s_load_b32 s0, s[0:1], 0x10
	s_mov_b32 s7, exec_lo
	s_wait_kmcnt 0x0
	s_cmp_lt_u32 s0, s6
	s_cselect_b32 s1, s0, 0
	s_delay_alu instid0(VALU_DEP_1) | instid1(SALU_CYCLE_1)
	v_cmpx_eq_u32_e64 s1, v4
	s_cbranch_execz .LBB177_6
; %bb.2:
	s_add_co_i32 s0, s0, 32
	s_delay_alu instid0(SALU_CYCLE_1) | instskip(SKIP_3) | instid1(VALU_DEP_1)
	v_dual_mov_b32 v2, 0 :: v_dual_mov_b32 v0, s0
	global_load_b64 v[0:1], v0, s[4:5] scale_offset scope:SCOPE_DEV
	s_wait_loadcnt 0x0
	v_and_b32_e32 v3, 0xff, v1
	v_cmp_ne_u64_e32 vcc_lo, 0, v[2:3]
	s_cbranch_vccnz .LBB177_5
; %bb.3:
	s_mov_b32 s1, 0
	s_delay_alu instid0(SALU_CYCLE_1) | instskip(NEXT) | instid1(SALU_CYCLE_1)
	s_lshl_b64 s[0:1], s[0:1], 3
	s_add_nc_u64 s[0:1], s[4:5], s[0:1]
.LBB177_4:                              ; =>This Inner Loop Header: Depth=1
	global_load_b64 v[0:1], v2, s[0:1] scope:SCOPE_DEV
	s_wait_loadcnt 0x0
	v_and_b32_e32 v3, 0xff, v1
	s_delay_alu instid0(VALU_DEP_1)
	v_cmp_eq_u64_e32 vcc_lo, 0, v[2:3]
	s_cbranch_vccnz .LBB177_4
.LBB177_5:
	v_mov_b32_e32 v1, 0
	global_store_b32 v1, v0, s[2:3]
.LBB177_6:
	s_wait_xcnt 0x0
	s_or_b32 exec_lo, exec_lo, s7
.LBB177_7:
	s_delay_alu instid0(SALU_CYCLE_1) | instskip(NEXT) | instid1(VALU_DEP_1)
	s_mov_b32 s0, exec_lo
	v_cmpx_gt_u32_e64 s6, v4
	s_cbranch_execz .LBB177_9
; %bb.8:
	v_mov_b64_e32 v[0:1], 0
	v_add_nc_u32_e32 v2, 32, v4
	global_store_b64 v2, v[0:1], s[4:5] scale_offset
.LBB177_9:
	s_wait_xcnt 0x0
	s_or_b32 exec_lo, exec_lo, s0
	s_delay_alu instid0(SALU_CYCLE_1)
	s_mov_b32 s0, exec_lo
	v_cmpx_gt_u32_e32 32, v4
	s_cbranch_execz .LBB177_11
; %bb.10:
	v_mov_b64_e32 v[0:1], 0xff00000000
	global_store_b64 v4, v[0:1], s[4:5] scale_offset
.LBB177_11:
	s_endpgm
	.section	.rodata,"a",@progbits
	.p2align	6, 0x0
	.amdhsa_kernel _ZN7rocprim17ROCPRIM_400000_NS6detail31init_lookback_scan_state_kernelINS1_19lookback_scan_stateIjLb0ELb1EEENS1_16block_id_wrapperIjLb0EEEEEvT_jT0_jPNS7_10value_typeE
		.amdhsa_group_segment_fixed_size 0
		.amdhsa_private_segment_fixed_size 0
		.amdhsa_kernarg_size 288
		.amdhsa_user_sgpr_count 2
		.amdhsa_user_sgpr_dispatch_ptr 0
		.amdhsa_user_sgpr_queue_ptr 0
		.amdhsa_user_sgpr_kernarg_segment_ptr 1
		.amdhsa_user_sgpr_dispatch_id 0
		.amdhsa_user_sgpr_kernarg_preload_length 0
		.amdhsa_user_sgpr_kernarg_preload_offset 0
		.amdhsa_user_sgpr_private_segment_size 0
		.amdhsa_wavefront_size32 1
		.amdhsa_uses_dynamic_stack 0
		.amdhsa_enable_private_segment 0
		.amdhsa_system_sgpr_workgroup_id_x 1
		.amdhsa_system_sgpr_workgroup_id_y 0
		.amdhsa_system_sgpr_workgroup_id_z 0
		.amdhsa_system_sgpr_workgroup_info 0
		.amdhsa_system_vgpr_workitem_id 0
		.amdhsa_next_free_vgpr 5
		.amdhsa_next_free_sgpr 11
		.amdhsa_named_barrier_count 0
		.amdhsa_reserve_vcc 1
		.amdhsa_float_round_mode_32 0
		.amdhsa_float_round_mode_16_64 0
		.amdhsa_float_denorm_mode_32 3
		.amdhsa_float_denorm_mode_16_64 3
		.amdhsa_fp16_overflow 0
		.amdhsa_memory_ordered 1
		.amdhsa_forward_progress 1
		.amdhsa_inst_pref_size 3
		.amdhsa_round_robin_scheduling 0
		.amdhsa_exception_fp_ieee_invalid_op 0
		.amdhsa_exception_fp_denorm_src 0
		.amdhsa_exception_fp_ieee_div_zero 0
		.amdhsa_exception_fp_ieee_overflow 0
		.amdhsa_exception_fp_ieee_underflow 0
		.amdhsa_exception_fp_ieee_inexact 0
		.amdhsa_exception_int_div_zero 0
	.end_amdhsa_kernel
	.section	.text._ZN7rocprim17ROCPRIM_400000_NS6detail31init_lookback_scan_state_kernelINS1_19lookback_scan_stateIjLb0ELb1EEENS1_16block_id_wrapperIjLb0EEEEEvT_jT0_jPNS7_10value_typeE,"axG",@progbits,_ZN7rocprim17ROCPRIM_400000_NS6detail31init_lookback_scan_state_kernelINS1_19lookback_scan_stateIjLb0ELb1EEENS1_16block_id_wrapperIjLb0EEEEEvT_jT0_jPNS7_10value_typeE,comdat
.Lfunc_end177:
	.size	_ZN7rocprim17ROCPRIM_400000_NS6detail31init_lookback_scan_state_kernelINS1_19lookback_scan_stateIjLb0ELb1EEENS1_16block_id_wrapperIjLb0EEEEEvT_jT0_jPNS7_10value_typeE, .Lfunc_end177-_ZN7rocprim17ROCPRIM_400000_NS6detail31init_lookback_scan_state_kernelINS1_19lookback_scan_stateIjLb0ELb1EEENS1_16block_id_wrapperIjLb0EEEEEvT_jT0_jPNS7_10value_typeE
                                        ; -- End function
	.set _ZN7rocprim17ROCPRIM_400000_NS6detail31init_lookback_scan_state_kernelINS1_19lookback_scan_stateIjLb0ELb1EEENS1_16block_id_wrapperIjLb0EEEEEvT_jT0_jPNS7_10value_typeE.num_vgpr, 5
	.set _ZN7rocprim17ROCPRIM_400000_NS6detail31init_lookback_scan_state_kernelINS1_19lookback_scan_stateIjLb0ELb1EEENS1_16block_id_wrapperIjLb0EEEEEvT_jT0_jPNS7_10value_typeE.num_agpr, 0
	.set _ZN7rocprim17ROCPRIM_400000_NS6detail31init_lookback_scan_state_kernelINS1_19lookback_scan_stateIjLb0ELb1EEENS1_16block_id_wrapperIjLb0EEEEEvT_jT0_jPNS7_10value_typeE.numbered_sgpr, 11
	.set _ZN7rocprim17ROCPRIM_400000_NS6detail31init_lookback_scan_state_kernelINS1_19lookback_scan_stateIjLb0ELb1EEENS1_16block_id_wrapperIjLb0EEEEEvT_jT0_jPNS7_10value_typeE.num_named_barrier, 0
	.set _ZN7rocprim17ROCPRIM_400000_NS6detail31init_lookback_scan_state_kernelINS1_19lookback_scan_stateIjLb0ELb1EEENS1_16block_id_wrapperIjLb0EEEEEvT_jT0_jPNS7_10value_typeE.private_seg_size, 0
	.set _ZN7rocprim17ROCPRIM_400000_NS6detail31init_lookback_scan_state_kernelINS1_19lookback_scan_stateIjLb0ELb1EEENS1_16block_id_wrapperIjLb0EEEEEvT_jT0_jPNS7_10value_typeE.uses_vcc, 1
	.set _ZN7rocprim17ROCPRIM_400000_NS6detail31init_lookback_scan_state_kernelINS1_19lookback_scan_stateIjLb0ELb1EEENS1_16block_id_wrapperIjLb0EEEEEvT_jT0_jPNS7_10value_typeE.uses_flat_scratch, 0
	.set _ZN7rocprim17ROCPRIM_400000_NS6detail31init_lookback_scan_state_kernelINS1_19lookback_scan_stateIjLb0ELb1EEENS1_16block_id_wrapperIjLb0EEEEEvT_jT0_jPNS7_10value_typeE.has_dyn_sized_stack, 0
	.set _ZN7rocprim17ROCPRIM_400000_NS6detail31init_lookback_scan_state_kernelINS1_19lookback_scan_stateIjLb0ELb1EEENS1_16block_id_wrapperIjLb0EEEEEvT_jT0_jPNS7_10value_typeE.has_recursion, 0
	.set _ZN7rocprim17ROCPRIM_400000_NS6detail31init_lookback_scan_state_kernelINS1_19lookback_scan_stateIjLb0ELb1EEENS1_16block_id_wrapperIjLb0EEEEEvT_jT0_jPNS7_10value_typeE.has_indirect_call, 0
	.section	.AMDGPU.csdata,"",@progbits
; Kernel info:
; codeLenInByte = 356
; TotalNumSgprs: 13
; NumVgprs: 5
; ScratchSize: 0
; MemoryBound: 0
; FloatMode: 240
; IeeeMode: 1
; LDSByteSize: 0 bytes/workgroup (compile time only)
; SGPRBlocks: 0
; VGPRBlocks: 0
; NumSGPRsForWavesPerEU: 13
; NumVGPRsForWavesPerEU: 5
; NamedBarCnt: 0
; Occupancy: 16
; WaveLimiterHint : 0
; COMPUTE_PGM_RSRC2:SCRATCH_EN: 0
; COMPUTE_PGM_RSRC2:USER_SGPR: 2
; COMPUTE_PGM_RSRC2:TRAP_HANDLER: 0
; COMPUTE_PGM_RSRC2:TGID_X_EN: 1
; COMPUTE_PGM_RSRC2:TGID_Y_EN: 0
; COMPUTE_PGM_RSRC2:TGID_Z_EN: 0
; COMPUTE_PGM_RSRC2:TIDIG_COMP_CNT: 0
	.section	.text._ZN7rocprim17ROCPRIM_400000_NS6detail17trampoline_kernelINS0_14default_configENS1_25partition_config_selectorILNS1_17partition_subalgoE8EiNS0_10empty_typeEbEEZZNS1_14partition_implILS5_8ELb0ES3_jPKiPS6_PKS6_NS0_5tupleIJPiS6_EEENSE_IJSB_SB_EEENS0_18inequality_wrapperIN6hipcub16HIPCUB_304000_NS8EqualityEEEPlJS6_EEE10hipError_tPvRmT3_T4_T5_T6_T7_T9_mT8_P12ihipStream_tbDpT10_ENKUlT_T0_E_clISt17integral_constantIbLb0EES17_EEDaS12_S13_EUlS12_E_NS1_11comp_targetILNS1_3genE0ELNS1_11target_archE4294967295ELNS1_3gpuE0ELNS1_3repE0EEENS1_30default_config_static_selectorELNS0_4arch9wavefront6targetE0EEEvT1_,"axG",@progbits,_ZN7rocprim17ROCPRIM_400000_NS6detail17trampoline_kernelINS0_14default_configENS1_25partition_config_selectorILNS1_17partition_subalgoE8EiNS0_10empty_typeEbEEZZNS1_14partition_implILS5_8ELb0ES3_jPKiPS6_PKS6_NS0_5tupleIJPiS6_EEENSE_IJSB_SB_EEENS0_18inequality_wrapperIN6hipcub16HIPCUB_304000_NS8EqualityEEEPlJS6_EEE10hipError_tPvRmT3_T4_T5_T6_T7_T9_mT8_P12ihipStream_tbDpT10_ENKUlT_T0_E_clISt17integral_constantIbLb0EES17_EEDaS12_S13_EUlS12_E_NS1_11comp_targetILNS1_3genE0ELNS1_11target_archE4294967295ELNS1_3gpuE0ELNS1_3repE0EEENS1_30default_config_static_selectorELNS0_4arch9wavefront6targetE0EEEvT1_,comdat
	.protected	_ZN7rocprim17ROCPRIM_400000_NS6detail17trampoline_kernelINS0_14default_configENS1_25partition_config_selectorILNS1_17partition_subalgoE8EiNS0_10empty_typeEbEEZZNS1_14partition_implILS5_8ELb0ES3_jPKiPS6_PKS6_NS0_5tupleIJPiS6_EEENSE_IJSB_SB_EEENS0_18inequality_wrapperIN6hipcub16HIPCUB_304000_NS8EqualityEEEPlJS6_EEE10hipError_tPvRmT3_T4_T5_T6_T7_T9_mT8_P12ihipStream_tbDpT10_ENKUlT_T0_E_clISt17integral_constantIbLb0EES17_EEDaS12_S13_EUlS12_E_NS1_11comp_targetILNS1_3genE0ELNS1_11target_archE4294967295ELNS1_3gpuE0ELNS1_3repE0EEENS1_30default_config_static_selectorELNS0_4arch9wavefront6targetE0EEEvT1_ ; -- Begin function _ZN7rocprim17ROCPRIM_400000_NS6detail17trampoline_kernelINS0_14default_configENS1_25partition_config_selectorILNS1_17partition_subalgoE8EiNS0_10empty_typeEbEEZZNS1_14partition_implILS5_8ELb0ES3_jPKiPS6_PKS6_NS0_5tupleIJPiS6_EEENSE_IJSB_SB_EEENS0_18inequality_wrapperIN6hipcub16HIPCUB_304000_NS8EqualityEEEPlJS6_EEE10hipError_tPvRmT3_T4_T5_T6_T7_T9_mT8_P12ihipStream_tbDpT10_ENKUlT_T0_E_clISt17integral_constantIbLb0EES17_EEDaS12_S13_EUlS12_E_NS1_11comp_targetILNS1_3genE0ELNS1_11target_archE4294967295ELNS1_3gpuE0ELNS1_3repE0EEENS1_30default_config_static_selectorELNS0_4arch9wavefront6targetE0EEEvT1_
	.globl	_ZN7rocprim17ROCPRIM_400000_NS6detail17trampoline_kernelINS0_14default_configENS1_25partition_config_selectorILNS1_17partition_subalgoE8EiNS0_10empty_typeEbEEZZNS1_14partition_implILS5_8ELb0ES3_jPKiPS6_PKS6_NS0_5tupleIJPiS6_EEENSE_IJSB_SB_EEENS0_18inequality_wrapperIN6hipcub16HIPCUB_304000_NS8EqualityEEEPlJS6_EEE10hipError_tPvRmT3_T4_T5_T6_T7_T9_mT8_P12ihipStream_tbDpT10_ENKUlT_T0_E_clISt17integral_constantIbLb0EES17_EEDaS12_S13_EUlS12_E_NS1_11comp_targetILNS1_3genE0ELNS1_11target_archE4294967295ELNS1_3gpuE0ELNS1_3repE0EEENS1_30default_config_static_selectorELNS0_4arch9wavefront6targetE0EEEvT1_
	.p2align	8
	.type	_ZN7rocprim17ROCPRIM_400000_NS6detail17trampoline_kernelINS0_14default_configENS1_25partition_config_selectorILNS1_17partition_subalgoE8EiNS0_10empty_typeEbEEZZNS1_14partition_implILS5_8ELb0ES3_jPKiPS6_PKS6_NS0_5tupleIJPiS6_EEENSE_IJSB_SB_EEENS0_18inequality_wrapperIN6hipcub16HIPCUB_304000_NS8EqualityEEEPlJS6_EEE10hipError_tPvRmT3_T4_T5_T6_T7_T9_mT8_P12ihipStream_tbDpT10_ENKUlT_T0_E_clISt17integral_constantIbLb0EES17_EEDaS12_S13_EUlS12_E_NS1_11comp_targetILNS1_3genE0ELNS1_11target_archE4294967295ELNS1_3gpuE0ELNS1_3repE0EEENS1_30default_config_static_selectorELNS0_4arch9wavefront6targetE0EEEvT1_,@function
_ZN7rocprim17ROCPRIM_400000_NS6detail17trampoline_kernelINS0_14default_configENS1_25partition_config_selectorILNS1_17partition_subalgoE8EiNS0_10empty_typeEbEEZZNS1_14partition_implILS5_8ELb0ES3_jPKiPS6_PKS6_NS0_5tupleIJPiS6_EEENSE_IJSB_SB_EEENS0_18inequality_wrapperIN6hipcub16HIPCUB_304000_NS8EqualityEEEPlJS6_EEE10hipError_tPvRmT3_T4_T5_T6_T7_T9_mT8_P12ihipStream_tbDpT10_ENKUlT_T0_E_clISt17integral_constantIbLb0EES17_EEDaS12_S13_EUlS12_E_NS1_11comp_targetILNS1_3genE0ELNS1_11target_archE4294967295ELNS1_3gpuE0ELNS1_3repE0EEENS1_30default_config_static_selectorELNS0_4arch9wavefront6targetE0EEEvT1_: ; @_ZN7rocprim17ROCPRIM_400000_NS6detail17trampoline_kernelINS0_14default_configENS1_25partition_config_selectorILNS1_17partition_subalgoE8EiNS0_10empty_typeEbEEZZNS1_14partition_implILS5_8ELb0ES3_jPKiPS6_PKS6_NS0_5tupleIJPiS6_EEENSE_IJSB_SB_EEENS0_18inequality_wrapperIN6hipcub16HIPCUB_304000_NS8EqualityEEEPlJS6_EEE10hipError_tPvRmT3_T4_T5_T6_T7_T9_mT8_P12ihipStream_tbDpT10_ENKUlT_T0_E_clISt17integral_constantIbLb0EES17_EEDaS12_S13_EUlS12_E_NS1_11comp_targetILNS1_3genE0ELNS1_11target_archE4294967295ELNS1_3gpuE0ELNS1_3repE0EEENS1_30default_config_static_selectorELNS0_4arch9wavefront6targetE0EEEvT1_
; %bb.0:
	s_clause 0x3
	s_load_b128 s[4:7], s[0:1], 0x8
	s_load_b128 s[20:23], s[0:1], 0x40
	s_load_b32 s12, s[0:1], 0x68
	s_load_b64 s[2:3], s[0:1], 0x50
	s_bfe_u32 s10, ttmp6, 0x4000c
	s_and_b32 s8, ttmp6, 15
	s_add_co_i32 s10, s10, 1
	s_mov_b32 s9, 0
	s_mul_i32 s10, ttmp9, s10
	s_getreg_b32 s13, hwreg(HW_REG_IB_STS2, 6, 4)
	s_add_co_i32 s14, s8, s10
	v_mov_b32_e32 v14, v0
	s_wait_kmcnt 0x0
	s_lshl_b64 s[10:11], s[6:7], 2
	s_load_b64 s[22:23], s[22:23], 0x0
	s_mul_i32 s8, s12, 0x1600
	s_cmp_eq_u32 s13, 0
	s_add_nc_u64 s[10:11], s[4:5], s[10:11]
	s_add_nc_u64 s[4:5], s[6:7], s[8:9]
	s_cselect_b32 s26, ttmp9, s14
	s_add_co_i32 s8, s8, s6
	v_cmp_le_u64_e64 s3, s[2:3], s[4:5]
	s_add_co_i32 s12, s12, -1
	s_sub_co_i32 s27, s2, s8
	s_cmp_eq_u32 s26, s12
	s_mul_i32 s8, s26, 0x1600
	s_cselect_b32 s24, -1, 0
	s_mov_b32 s4, -1
	s_and_b32 s28, s24, s3
	s_lshl_b64 s[2:3], s[8:9], 2
	s_xor_b32 s25, s28, -1
	s_add_nc_u64 s[2:3], s[10:11], s[2:3]
	s_and_b32 vcc_lo, exec_lo, s25
	s_cbranch_vccz .LBB178_2
; %bb.1:
	s_clause 0xa
	global_load_b32 v1, v0, s[2:3] scale_offset
	global_load_b32 v2, v0, s[2:3] offset:2048 scale_offset
	global_load_b32 v3, v0, s[2:3] offset:4096 scale_offset
	;; [unrolled: 1-line block ×10, first 2 shown]
	v_lshlrev_b32_e32 v12, 2, v0
	s_mov_b32 s4, 0
	s_wait_loadcnt 0x9
	ds_store_2addr_stride64_b32 v12, v1, v2 offset1:8
	s_wait_loadcnt 0x7
	ds_store_2addr_stride64_b32 v12, v3, v4 offset0:16 offset1:24
	s_wait_loadcnt 0x5
	ds_store_2addr_stride64_b32 v12, v5, v6 offset0:32 offset1:40
	;; [unrolled: 2-line block ×4, first 2 shown]
	s_wait_loadcnt 0x0
	ds_store_b32 v12, v11 offset:20480
	s_wait_dscnt 0x0
	s_barrier_signal -1
	s_barrier_wait -1
.LBB178_2:
	s_and_not1_b32 vcc_lo, exec_lo, s4
	s_addk_co_i32 s27, 0x1600
	s_cbranch_vccnz .LBB178_26
; %bb.3:
	v_mov_b32_e32 v2, 0
	s_mov_b32 s4, exec_lo
	s_delay_alu instid0(VALU_DEP_1)
	v_dual_mov_b32 v3, v2 :: v_dual_mov_b32 v4, v2
	v_dual_mov_b32 v5, v2 :: v_dual_mov_b32 v6, v2
	;; [unrolled: 1-line block ×5, first 2 shown]
	v_cmpx_gt_u32_e64 s27, v0
	s_cbranch_execz .LBB178_5
; %bb.4:
	global_load_b32 v16, v0, s[2:3] scale_offset
	v_dual_mov_b32 v17, v2 :: v_dual_mov_b32 v18, v2
	v_dual_mov_b32 v19, v2 :: v_dual_mov_b32 v20, v2
	;; [unrolled: 1-line block ×5, first 2 shown]
	s_wait_loadcnt 0x0
	v_dual_mov_b32 v2, v16 :: v_dual_mov_b32 v3, v17
	v_dual_mov_b32 v4, v18 :: v_dual_mov_b32 v5, v19
	;; [unrolled: 1-line block ×5, first 2 shown]
	v_mov_b32_e32 v12, v26
.LBB178_5:
	s_or_b32 exec_lo, exec_lo, s4
	v_or_b32_e32 v1, 0x200, v0
	s_mov_b32 s4, exec_lo
	s_delay_alu instid0(VALU_DEP_1)
	v_cmpx_gt_u32_e64 s27, v1
	s_cbranch_execz .LBB178_7
; %bb.6:
	global_load_b32 v3, v0, s[2:3] offset:2048 scale_offset
.LBB178_7:
	s_wait_xcnt 0x0
	s_or_b32 exec_lo, exec_lo, s4
	v_or_b32_e32 v1, 0x400, v0
	s_mov_b32 s4, exec_lo
	s_delay_alu instid0(VALU_DEP_1)
	v_cmpx_gt_u32_e64 s27, v1
	s_cbranch_execz .LBB178_9
; %bb.8:
	global_load_b32 v4, v0, s[2:3] offset:4096 scale_offset
.LBB178_9:
	s_wait_xcnt 0x0
	;; [unrolled: 10-line block ×10, first 2 shown]
	s_or_b32 exec_lo, exec_lo, s4
	v_lshlrev_b32_e32 v1, 2, v0
	s_wait_loadcnt 0x0
	ds_store_2addr_stride64_b32 v1, v2, v3 offset1:8
	ds_store_2addr_stride64_b32 v1, v4, v5 offset0:16 offset1:24
	ds_store_2addr_stride64_b32 v1, v6, v7 offset0:32 offset1:40
	;; [unrolled: 1-line block ×4, first 2 shown]
	ds_store_b32 v1, v12 offset:20480
	s_wait_dscnt 0x0
	s_barrier_signal -1
	s_barrier_wait -1
.LBB178_26:
	v_mul_u32_u24_e32 v6, 11, v0
	s_cmp_lg_u32 s26, 0
	s_mov_b32 s18, 0
	s_cselect_b32 s29, -1, 0
	s_delay_alu instid0(VALU_DEP_1)
	v_lshlrev_b32_e32 v1, 2, v6
	s_cmp_lg_u64 s[6:7], 0
	ds_load_2addr_b32 v[22:23], v1 offset0:2 offset1:3
	ds_load_2addr_b32 v[24:25], v1 offset1:1
	ds_load_2addr_b32 v[12:13], v1 offset0:3 offset1:4
	ds_load_2addr_b32 v[2:3], v1 offset0:1 offset1:2
	ds_load_2addr_b32 v[18:19], v1 offset0:7 offset1:8
	ds_load_2addr_b32 v[16:17], v1 offset0:9 offset1:10
	ds_load_2addr_b32 v[20:21], v1 offset0:5 offset1:6
	s_cselect_b32 s4, -1, 0
	s_wait_dscnt 0x0
	s_or_b32 s4, s29, s4
	s_barrier_signal -1
	s_and_b32 vcc_lo, exec_lo, s4
	s_barrier_wait -1
	s_cbranch_vccz .LBB178_31
; %bb.27:
	s_add_nc_u64 s[2:3], s[2:3], -4
	v_lshlrev_b32_e32 v10, 2, v0
	s_load_b32 s3, s[2:3], 0x0
	s_and_b32 vcc_lo, exec_lo, s25
	ds_store_b32 v10, v17
	s_cbranch_vccz .LBB178_33
; %bb.28:
	s_wait_kmcnt 0x0
	v_mov_b32_e32 v4, s3
	s_mov_b32 s4, 0
	s_mov_b32 s2, exec_lo
	s_wait_dscnt 0x0
	s_barrier_signal -1
	s_barrier_wait -1
	v_cmpx_ne_u32_e32 0, v0
; %bb.29:
	v_add_nc_u32_e32 v4, -4, v10
	ds_load_b32 v4, v4
; %bb.30:
	s_or_b32 exec_lo, exec_lo, s2
	v_cmp_ne_u32_e32 vcc_lo, v23, v22
	s_wait_dscnt 0x0
	v_cmp_ne_u32_e64 s2, v4, v24
	v_cndmask_b32_e64 v5, 0, 1, vcc_lo
	v_cmp_ne_u32_e32 vcc_lo, v20, v13
	s_delay_alu instid0(VALU_DEP_2) | instskip(SKIP_2) | instid1(VALU_DEP_2)
	v_lshlrev_b16 v5, 8, v5
	v_cndmask_b32_e64 v7, 0, 1, vcc_lo
	v_cmp_ne_u32_e32 vcc_lo, v25, v24
	v_lshlrev_b16 v7, 8, v7
	v_cndmask_b32_e64 v8, 0, 1, vcc_lo
	v_cmp_ne_u32_e32 vcc_lo, v18, v21
	s_delay_alu instid0(VALU_DEP_3) | instskip(NEXT) | instid1(VALU_DEP_3)
	v_dual_lshrrev_b32 v5, 8, v5 :: v_dual_lshrrev_b32 v11, 8, v7
	v_lshlrev_b16 v8, 8, v8
	v_cndmask_b32_e64 v9, 0, 1, vcc_lo
	v_cmp_ne_u32_e32 vcc_lo, v16, v17
	s_delay_alu instid0(VALU_DEP_4) | instskip(SKIP_1) | instid1(VALU_DEP_4)
	v_lshlrev_b16 v5, 8, v5
	v_lshlrev_b16 v11, 8, v11
	;; [unrolled: 1-line block ×3, first 2 shown]
	v_cndmask_b32_e64 v7, 0, 1, vcc_lo
	v_cmp_ne_u32_e32 vcc_lo, v25, v22
	s_delay_alu instid0(VALU_DEP_2) | instskip(SKIP_2) | instid1(VALU_DEP_2)
	v_lshlrev_b16 v28, 8, v7
	v_cndmask_b32_e64 v15, 0, 1, vcc_lo
	v_cmp_ne_u32_e32 vcc_lo, v23, v13
	v_dual_lshrrev_b32 v8, 8, v8 :: v_dual_bitop2_b32 v5, v15, v5 bitop3:0x54
	v_cndmask_b32_e64 v26, 0, 1, vcc_lo
	v_cmp_ne_u32_e32 vcc_lo, v20, v21
	s_delay_alu instid0(VALU_DEP_3) | instskip(NEXT) | instid1(VALU_DEP_3)
	v_lshlrev_b16 v8, 8, v8
	v_dual_lshlrev_b32 v5, 16, v5 :: v_dual_bitop2_b32 v11, v26, v11 bitop3:0x54
	v_cndmask_b32_e64 v27, 0, 1, vcc_lo
	v_cmp_ne_u32_e32 vcc_lo, v16, v19
	s_delay_alu instid0(VALU_DEP_4) | instskip(NEXT) | instid1(VALU_DEP_4)
	v_and_b32_e32 v26, 0xffff, v8
	v_and_b32_e32 v11, 0xffff, v11
	s_delay_alu instid0(VALU_DEP_4) | instskip(SKIP_3) | instid1(VALU_DEP_3)
	v_or_b32_e32 v9, v27, v9
	v_cndmask_b32_e64 v15, 0, 1, vcc_lo
	v_cmp_ne_u32_e32 vcc_lo, v18, v19
	v_or_b32_e32 v4, v26, v5
	v_dual_lshlrev_b32 v27, 16, v9 :: v_dual_bitop2_b32 v9, v15, v28 bitop3:0x54
	v_cndmask_b32_e64 v8, 0, 1, vcc_lo
	s_delay_alu instid0(VALU_DEP_2)
	v_or_b32_e32 v5, v11, v27
	s_and_b32 vcc_lo, exec_lo, s4
	s_cbranch_vccnz .LBB178_34
	s_branch .LBB178_37
.LBB178_31:
                                        ; implicit-def: $sgpr2
                                        ; implicit-def: $vgpr7
                                        ; implicit-def: $vgpr9
                                        ; implicit-def: $vgpr8
                                        ; implicit-def: $vgpr5
	s_branch .LBB178_38
.LBB178_32:
                                        ; implicit-def: $vgpr26
                                        ; implicit-def: $vgpr37
                                        ; implicit-def: $vgpr35
                                        ; implicit-def: $vgpr28
                                        ; implicit-def: $vgpr36
                                        ; implicit-def: $vgpr34
                                        ; implicit-def: $vgpr33
                                        ; implicit-def: $vgpr15
                                        ; implicit-def: $vgpr29
                                        ; implicit-def: $vgpr1
	s_branch .LBB178_46
.LBB178_33:
                                        ; implicit-def: $sgpr2
                                        ; implicit-def: $vgpr7
                                        ; implicit-def: $vgpr9
                                        ; implicit-def: $vgpr8
                                        ; implicit-def: $vgpr5
	s_cbranch_execz .LBB178_37
.LBB178_34:
	s_wait_kmcnt 0x0
	v_mov_b32_e32 v4, s3
	s_mov_b32 s2, exec_lo
	s_wait_dscnt 0x0
	s_barrier_signal -1
	s_barrier_wait -1
	v_cmpx_ne_u32_e32 0, v0
; %bb.35:
	v_add_nc_u32_e32 v4, -4, v10
	ds_load_b32 v4, v4
; %bb.36:
	s_or_b32 exec_lo, exec_lo, s2
	v_dual_add_nc_u32 v5, 10, v6 :: v_dual_add_nc_u32 v7, 9, v6
	v_add_nc_u32_e32 v8, 8, v6
	v_cmp_ne_u32_e64 s17, v23, v22
	v_cmp_ne_u32_e64 s11, v20, v13
	s_delay_alu instid0(VALU_DEP_4)
	v_cmp_gt_u32_e64 s2, s27, v5
	v_add_nc_u32_e32 v5, 7, v6
	v_cmp_gt_u32_e64 s3, s27, v7
	v_add_nc_u32_e32 v7, 5, v6
	;; [unrolled: 2-line block ×6, first 2 shown]
	v_cmp_gt_u32_e64 s13, s27, v5
	v_cmp_ne_u32_e64 s15, v25, v24
	v_cmp_gt_u32_e64 s14, s27, v7
	s_and_b32 s9, s9, s11
	v_add_nc_u32_e32 v5, 2, v6
	s_and_b32 s13, s13, s17
	v_cmp_gt_u32_e64 s16, s27, v8
	v_cndmask_b32_e64 v7, 0, 1, s13
	v_cndmask_b32_e64 v8, 0, 1, s9
	v_cmp_ne_u32_e32 vcc_lo, v16, v17
	v_cmp_ne_u32_e64 s8, v18, v21
	s_and_b32 s14, s14, s15
	v_cmp_gt_u32_e64 s19, s27, v5
	v_cmp_ne_u32_e64 s13, v25, v22
	v_lshlrev_b16 v7, 8, v7
	v_cndmask_b32_e64 v5, 0, 1, s14
	v_lshlrev_b16 v10, 8, v8
	v_cmp_ne_u32_e64 s18, v23, v13
	s_and_b32 s2, s2, vcc_lo
	v_cmp_ne_u32_e64 s12, v20, v21
	s_and_b32 s6, s6, s8
	v_dual_lshrrev_b32 v11, 8, v7 :: v_dual_lshrrev_b32 v10, 8, v10
	v_cndmask_b32_e64 v7, 0, 1, s2
	s_and_b32 s2, s19, s13
	v_lshlrev_b16 v5, 8, v5
	v_cndmask_b32_e64 v9, 0, 1, s6
	v_cndmask_b32_e64 v15, 0, 1, s2
	s_and_b32 s2, s16, s18
	v_lshlrev_b16 v11, 8, v11
	v_cndmask_b32_e64 v26, 0, 1, s2
	s_and_b32 s2, s10, s12
	v_lshlrev_b16 v9, 8, v9
	s_delay_alu instid0(VALU_DEP_3) | instskip(SKIP_3) | instid1(VALU_DEP_4)
	v_dual_lshrrev_b32 v5, 8, v5 :: v_dual_bitop2_b32 v11, v15, v11 bitop3:0x54
	v_lshlrev_b16 v10, 8, v10
	v_cndmask_b32_e64 v27, 0, 1, s2
	v_cmp_ne_u32_e64 s4, v16, v19
	v_lshlrev_b16 v5, 8, v5
	v_cmp_ne_u32_e64 s7, v18, v19
	v_dual_lshlrev_b32 v11, 16, v11 :: v_dual_bitop2_b32 v10, v26, v10 bitop3:0x54
	v_or_b32_e32 v9, v27, v9
	s_and_b32 s2, s3, s4
	v_lshlrev_b16 v28, 8, v7
	v_cndmask_b32_e64 v15, 0, 1, s2
	v_and_b32_e32 v5, 0xffff, v5
	v_and_b32_e32 v10, 0xffff, v10
	v_lshlrev_b32_e32 v26, 16, v9
	s_and_b32 s5, s5, s7
	v_cmp_gt_u32_e32 vcc_lo, s27, v6
	s_wait_dscnt 0x0
	v_cmp_ne_u32_e64 s2, v4, v24
	v_cndmask_b32_e64 v8, 0, 1, s5
	v_or_b32_e32 v9, v15, v28
	v_or_b32_e32 v4, v5, v11
	;; [unrolled: 1-line block ×3, first 2 shown]
	s_and_b32 s2, vcc_lo, s2
.LBB178_37:
	s_wait_kmcnt 0x0
	s_mov_b32 s18, -1
	s_cbranch_execnz .LBB178_32
.LBB178_38:
	v_mad_i32_i24 v10, 0xffffffd8, v0, v1
	v_cmp_ne_u32_e64 s2, v16, v17
	v_cmp_ne_u32_e64 s3, v18, v19
	;; [unrolled: 1-line block ×4, first 2 shown]
	s_and_b32 vcc_lo, exec_lo, s25
	ds_store_b32 v10, v17
	s_cbranch_vccz .LBB178_42
; %bb.39:
	v_cmp_ne_u32_e32 vcc_lo, v25, v22
	v_cndmask_b32_e64 v27, 0, 1, s5
	v_cndmask_b32_e64 v34, 0, 1, s4
	;; [unrolled: 1-line block ×4, first 2 shown]
	v_cndmask_b32_e64 v35, 0, 1, vcc_lo
	v_cmp_ne_u32_e32 vcc_lo, v25, v24
	v_lshlrev_b16 v29, 8, v27
	v_lshlrev_b16 v31, 8, v34
	;; [unrolled: 1-line block ×4, first 2 shown]
	v_cndmask_b32_e64 v28, 0, 1, vcc_lo
	v_cmp_ne_u32_e32 vcc_lo, v23, v22
	v_lshlrev_b16 v39, 8, v1
	v_mov_b32_e32 v26, 1
	s_mov_b32 s3, 0
	s_mov_b32 s4, exec_lo
	v_cndmask_b32_e64 v30, 0, 1, vcc_lo
	v_cmp_ne_u32_e32 vcc_lo, v20, v13
	s_wait_dscnt 0x0
	s_barrier_signal -1
	s_barrier_wait -1
	v_cndmask_b32_e64 v32, 0, 1, vcc_lo
	v_cmp_ne_u32_e32 vcc_lo, v18, v21
                                        ; implicit-def: $sgpr2
                                        ; implicit-def: $vgpr7
                                        ; implicit-def: $vgpr9
                                        ; implicit-def: $vgpr8
                                        ; implicit-def: $vgpr5
	v_cndmask_b32_e64 v38, 0, 1, vcc_lo
	v_cmp_ne_u32_e32 vcc_lo, v16, v19
	v_cndmask_b32_e64 v40, 0, 1, vcc_lo
	v_cmpx_ne_u32_e32 0, v0
	s_xor_b32 s4, exec_lo, s4
	s_cbranch_execz .LBB178_41
; %bb.40:
	s_delay_alu instid0(VALU_DEP_2) | instskip(SKIP_3) | instid1(VALU_DEP_4)
	v_lshlrev_b16 v5, 8, v40
	v_lshlrev_b16 v4, 8, v32
	;; [unrolled: 1-line block ×4, first 2 shown]
	v_dual_add_nc_u32 v9, -4, v10 :: v_dual_lshrrev_b32 v5, 8, v5
	s_delay_alu instid0(VALU_DEP_3)
	v_dual_lshrrev_b32 v4, 8, v4 :: v_dual_lshrrev_b32 v7, 8, v7
	v_lshlrev_b16 v36, 8, v38
	ds_load_b32 v9, v9
	v_lshlrev_b16 v5, 8, v5
	v_lshrrev_b32_e32 v8, 8, v8
	v_lshlrev_b16 v4, 8, v4
	v_lshlrev_b16 v7, 8, v7
	v_or_b32_e32 v36, v34, v36
	v_or_b32_e32 v5, v15, v5
	v_lshlrev_b16 v8, 8, v8
	s_or_b32 s18, s18, exec_lo
	s_delay_alu instid0(VALU_DEP_3) | instskip(SKIP_1) | instid1(VALU_DEP_3)
	v_dual_lshlrev_b32 v36, 16, v36 :: v_dual_bitop2_b32 v7, v35, v7 bitop3:0x54
	v_or_b32_e32 v4, v27, v4
	v_or_b32_e32 v8, 1, v8
	v_and_b32_e32 v5, 0xffff, v5
	s_delay_alu instid0(VALU_DEP_4) | instskip(NEXT) | instid1(VALU_DEP_4)
	v_lshlrev_b32_e32 v7, 16, v7
	v_and_b32_e32 v4, 0xffff, v4
	s_delay_alu instid0(VALU_DEP_4) | instskip(NEXT) | instid1(VALU_DEP_4)
	v_and_b32_e32 v37, 0xffff, v8
	v_lshl_or_b32 v8, v1, 16, v5
	s_wait_dscnt 0x0
	v_cmp_ne_u32_e64 s2, v9, v24
	v_or_b32_e32 v5, v4, v36
	s_delay_alu instid0(VALU_DEP_3)
	v_dual_lshrrev_b32 v9, 8, v8 :: v_dual_bitop2_b32 v4, v37, v7 bitop3:0x54
	v_lshrrev_b32_e32 v7, 16, v8
.LBB178_41:
	s_or_b32 exec_lo, exec_lo, s4
	v_or_b32_e32 v37, v28, v11
	v_or_b32_e32 v28, v30, v29
	;; [unrolled: 1-line block ×5, first 2 shown]
	s_and_b32 vcc_lo, exec_lo, s3
	s_cbranch_vccnz .LBB178_43
	s_branch .LBB178_46
.LBB178_42:
                                        ; implicit-def: $sgpr2
                                        ; implicit-def: $vgpr7
                                        ; implicit-def: $vgpr9
                                        ; implicit-def: $vgpr8
                                        ; implicit-def: $vgpr5
                                        ; implicit-def: $vgpr26
                                        ; implicit-def: $vgpr37
                                        ; implicit-def: $vgpr35
                                        ; implicit-def: $vgpr28
                                        ; implicit-def: $vgpr36
                                        ; implicit-def: $vgpr34
                                        ; implicit-def: $vgpr33
                                        ; implicit-def: $vgpr15
                                        ; implicit-def: $vgpr29
                                        ; implicit-def: $vgpr1
	s_cbranch_execz .LBB178_46
.LBB178_43:
	v_dual_add_nc_u32 v1, 10, v6 :: v_dual_add_nc_u32 v4, 9, v6
	v_add_nc_u32_e32 v5, 6, v6
	v_cmp_ne_u32_e64 s13, v23, v13
	v_cmp_ne_u32_e64 s11, v18, v19
	s_delay_alu instid0(VALU_DEP_4) | instskip(SKIP_4) | instid1(VALU_DEP_4)
	v_cmp_gt_u32_e64 s2, s27, v1
	v_add_nc_u32_e32 v1, 5, v6
	v_cmp_gt_u32_e64 s3, s27, v4
	v_dual_add_nc_u32 v4, 8, v6 :: v_dual_add_nc_u32 v7, 7, v6
	v_cmp_gt_u32_e64 s5, s27, v5
	v_cmp_gt_u32_e64 s6, s27, v1
	v_dual_add_nc_u32 v1, 4, v6 :: v_dual_add_nc_u32 v5, 3, v6
	s_delay_alu instid0(VALU_DEP_4) | instskip(SKIP_2) | instid1(VALU_DEP_4)
	v_cmp_gt_u32_e64 s7, s27, v4
	v_add_nc_u32_e32 v4, 2, v6
	v_cmp_ne_u32_e64 s9, v20, v21
	v_cmp_gt_u32_e64 s14, s27, v1
	v_cmp_gt_u32_e64 s8, s27, v7
	v_cmp_ne_u32_e64 s12, v21, v18
	v_add_nc_u32_e32 v1, 1, v6
	v_cmp_ne_u32_e64 s15, v25, v3
	s_and_b32 s13, s14, s13
	v_cmp_gt_u32_e64 s17, s27, v4
	v_cndmask_b32_e64 v4, 0, 1, s13
	v_cmp_ne_u32_e64 s13, v22, v12
	v_cmp_gt_u32_e64 s14, s27, v5
	s_and_b32 s7, s7, s11
	s_and_b32 s5, s5, s9
	v_cndmask_b32_e64 v35, 0, 1, s7
	s_and_b32 s15, s17, s15
	s_and_b32 s7, s14, s13
	v_cndmask_b32_e64 v36, 0, 1, s5
	s_and_b32 s5, s8, s12
	v_cndmask_b32_e64 v32, 0, 1, s15
	v_lshlrev_b16 v3, 8, v4
	v_cndmask_b32_e64 v38, 0, 1, s7
	v_lshlrev_b16 v5, 8, v35
	v_cndmask_b32_e64 v37, 0, 1, s5
	v_cmp_ne_u32_e32 vcc_lo, v16, v17
	v_cmp_ne_u32_e64 s16, v24, v2
	v_lshlrev_b16 v2, 8, v32
	v_cmp_ne_u32_e64 s10, v13, v20
	v_or_b32_e32 v33, v37, v5
	v_or_b32_e32 v28, v38, v3
	v_lshlrev_b16 v3, 8, v36
	v_cmp_ne_u32_e64 s4, v19, v16
	v_cmp_gt_u32_e64 s5, s27, v1
	s_and_b32 s2, s2, vcc_lo
	v_and_b32_e32 v5, 0xffff, v2
	v_dual_lshlrev_b32 v15, 16, v33 :: v_dual_lshlrev_b32 v11, 16, v28
	v_and_b32_e32 v7, 0xffff, v3
	v_cndmask_b32_e64 v1, 0, 1, s2
	s_and_b32 s2, s6, s10
	s_and_b32 s5, s5, s16
	v_cndmask_b32_e64 v27, 0, 1, s2
	s_and_b32 s2, s3, s4
	v_cndmask_b32_e64 v12, 0, 1, s5
	v_dual_mov_b32 v26, 1 :: v_dual_bitop2_b32 v30, v5, v11 bitop3:0x54
	v_or_b32_e32 v31, v7, v15
	v_lshlrev_b16 v29, 8, v1
	v_cndmask_b32_e64 v34, 0, 1, s2
	s_mov_b32 s3, exec_lo
	s_wait_dscnt 0x0
	s_barrier_signal -1
	s_barrier_wait -1
                                        ; implicit-def: $sgpr2
                                        ; implicit-def: $vgpr7
                                        ; implicit-def: $vgpr9
                                        ; implicit-def: $vgpr8
                                        ; implicit-def: $vgpr5
	v_cmpx_ne_u32_e32 0, v0
	s_cbranch_execz .LBB178_45
; %bb.44:
	v_lshlrev_b16 v5, 8, v34
	v_lshlrev_b16 v7, 8, v27
	;; [unrolled: 1-line block ×3, first 2 shown]
	v_add_nc_u32_e32 v9, -4, v10
	v_lshlrev_b16 v10, 8, v12
	s_delay_alu instid0(VALU_DEP_4) | instskip(NEXT) | instid1(VALU_DEP_4)
	v_dual_lshrrev_b32 v5, 8, v5 :: v_dual_lshrrev_b32 v7, 8, v7
	v_lshrrev_b32_e32 v8, 8, v8
	ds_load_b32 v9, v9
	v_lshlrev_b16 v37, 8, v37
	v_lshlrev_b16 v5, 8, v5
	v_lshrrev_b32_e32 v10, 8, v10
	v_lshlrev_b16 v7, 8, v7
	v_lshlrev_b16 v8, 8, v8
	v_cmp_gt_u32_e32 vcc_lo, s27, v6
	v_or_b32_e32 v5, v35, v5
	v_lshlrev_b16 v10, 8, v10
	v_or_b32_e32 v4, v4, v7
	v_or_b32_e32 v7, v32, v8
	;; [unrolled: 1-line block ×3, first 2 shown]
	v_and_b32_e32 v5, 0xffff, v5
	v_or_b32_e32 v8, 1, v10
	s_or_b32 s18, s18, exec_lo
	v_lshlrev_b32_e32 v7, 16, v7
	v_lshlrev_b32_e32 v10, 16, v35
	s_delay_alu instid0(VALU_DEP_3) | instskip(SKIP_3) | instid1(VALU_DEP_2)
	v_and_b32_e32 v32, 0xffff, v8
	v_lshl_or_b32 v8, v1, 16, v5
	s_wait_dscnt 0x0
	v_cmp_ne_u32_e64 s2, v9, v24
	v_lshrrev_b32_e32 v9, 8, v8
	v_and_b32_e32 v4, 0xffff, v4
	s_and_b32 s2, vcc_lo, s2
	s_delay_alu instid0(VALU_DEP_1)
	v_or_b32_e32 v5, v4, v10
	v_dual_lshrrev_b32 v7, 16, v8 :: v_dual_bitop2_b32 v4, v32, v7 bitop3:0x54
.LBB178_45:
	s_or_b32 exec_lo, exec_lo, s3
	v_dual_lshrrev_b32 v15, 24, v15 :: v_dual_bitop2_b32 v37, v12, v2 bitop3:0x54
	v_dual_lshrrev_b32 v35, 8, v30 :: v_dual_bitop2_b32 v36, v27, v3 bitop3:0x54
	;; [unrolled: 1-line block ×3, first 2 shown]
	v_lshrrev_b32_e32 v34, 8, v31
.LBB178_46:
	s_and_saveexec_b32 s3, s18
	s_cbranch_execz .LBB178_48
; %bb.47:
	v_lshrrev_b64 v[28:29], 24, v[4:5]
	v_dual_lshrrev_b32 v36, 8, v5 :: v_dual_lshrrev_b32 v34, 16, v5
	v_dual_lshrrev_b32 v33, 24, v5 :: v_dual_lshrrev_b32 v35, 16, v4
	v_dual_lshrrev_b32 v37, 8, v4 :: v_dual_mov_b32 v27, v5
	v_cndmask_b32_e64 v26, 0, 1, s2
	v_dual_mov_b32 v15, v8 :: v_dual_mov_b32 v29, v9
	v_mov_b32_e32 v1, v7
.LBB178_48:
	s_or_b32 exec_lo, exec_lo, s3
	s_load_b64 s[10:11], s[0:1], 0x60
	s_and_not1_b32 vcc_lo, exec_lo, s28
	s_cbranch_vccnz .LBB178_52
; %bb.49:
	v_perm_b32 v2, v26, v37, 0xc0c0004
	v_perm_b32 v3, v35, v28, 0xc0c0004
	v_cmp_gt_u32_e32 vcc_lo, s27, v6
	v_dual_add_nc_u32 v4, 1, v6 :: v_dual_add_nc_u32 v5, 2, v6
	v_perm_b32 v7, v27, v36, 0xc0c0004
	s_delay_alu instid0(VALU_DEP_4) | instskip(SKIP_2) | instid1(VALU_DEP_3)
	v_lshl_or_b32 v2, v3, 16, v2
	v_and_b32_e32 v1, 0xff, v1
	v_perm_b32 v9, v15, v29, 0xc0c0004
	v_cndmask_b32_e32 v3, 0, v2, vcc_lo
	v_cmp_gt_u32_e32 vcc_lo, s27, v4
	v_perm_b32 v4, v34, v33, 0xc0c0004
	s_delay_alu instid0(VALU_DEP_1) | instskip(NEXT) | instid1(VALU_DEP_4)
	v_dual_lshlrev_b32 v1, 16, v1 :: v_dual_lshlrev_b32 v4, 16, v4
	v_and_b32_e32 v3, 0xff, v3
	s_delay_alu instid0(VALU_DEP_2) | instskip(NEXT) | instid1(VALU_DEP_3)
	v_or_b32_e32 v9, v9, v1
	v_or_b32_e32 v8, v7, v4
	v_bitop3_b32 v4, v7, 0xffffff00, v4 bitop3:0xc8
	s_delay_alu instid0(VALU_DEP_4) | instskip(SKIP_2) | instid1(VALU_DEP_3)
	v_cndmask_b32_e32 v3, v3, v2, vcc_lo
	v_cmp_gt_u32_e32 vcc_lo, s27, v5
	v_dual_add_nc_u32 v5, 4, v6 :: v_dual_add_nc_u32 v7, 3, v6
	v_and_b32_e32 v3, 0xffff, v3
	s_delay_alu instid0(VALU_DEP_2) | instskip(SKIP_1) | instid1(VALU_DEP_3)
	v_cmp_gt_u32_e64 s2, s27, v7
	v_lshlrev_b16 v7, 8, v29
	v_cndmask_b32_e32 v3, v3, v2, vcc_lo
	v_cmp_gt_u32_e32 vcc_lo, s27, v5
	v_add_nc_u32_e32 v5, 5, v6
	s_delay_alu instid0(VALU_DEP_3) | instskip(SKIP_1) | instid1(VALU_DEP_1)
	v_and_b32_e32 v3, 0xffffff, v3
	v_cndmask_b32_e32 v4, v4, v8, vcc_lo
	v_and_b32_e32 v4, 0xffff00ff, v4
	s_delay_alu instid0(VALU_DEP_3) | instskip(NEXT) | instid1(VALU_DEP_1)
	v_cndmask_b32_e64 v3, v3, v2, s2
	v_cndmask_b32_e32 v3, v3, v2, vcc_lo
	v_cmp_gt_u32_e32 vcc_lo, s27, v5
	v_and_b32_e32 v5, 0xffff, v7
	v_dual_cndmask_b32 v4, v4, v8 :: v_dual_add_nc_u32 v7, 8, v6
	s_delay_alu instid0(VALU_DEP_2) | instskip(SKIP_1) | instid1(VALU_DEP_3)
	v_dual_add_nc_u32 v5, 6, v6 :: v_dual_bitop2_b32 v1, v5, v1 bitop3:0x54
	v_cndmask_b32_e32 v3, v3, v2, vcc_lo
	v_cmp_gt_u32_e32 vcc_lo, s27, v7
	s_delay_alu instid0(VALU_DEP_4) | instskip(SKIP_3) | instid1(VALU_DEP_3)
	v_and_b32_e32 v4, 0xff00ffff, v4
	v_add_nc_u32_e32 v7, 9, v6
	v_cmp_gt_u32_e64 s2, s27, v5
	v_dual_cndmask_b32 v1, v1, v9 :: v_dual_add_nc_u32 v10, 7, v6
	v_cmp_gt_u32_e64 s3, s27, v7
	s_delay_alu instid0(VALU_DEP_3) | instskip(NEXT) | instid1(VALU_DEP_3)
	v_cndmask_b32_e64 v4, v4, v8, s2
	v_cmp_gt_u32_e64 s4, s27, v10
	s_delay_alu instid0(VALU_DEP_4) | instskip(NEXT) | instid1(VALU_DEP_3)
	v_and_b32_e32 v1, 0xffff00ff, v1
	v_and_b32_e32 v4, 0xffffff, v4
	s_delay_alu instid0(VALU_DEP_2) | instskip(SKIP_1) | instid1(SALU_CYCLE_1)
	v_cndmask_b32_e64 v15, v1, v9, s3
	s_or_b32 s3, s3, vcc_lo
	s_or_b32 vcc_lo, s3, s4
	s_delay_alu instid0(VALU_DEP_2) | instskip(SKIP_2) | instid1(VALU_DEP_2)
	v_cndmask_b32_e32 v27, v4, v8, vcc_lo
	s_or_b32 vcc_lo, vcc_lo, s2
	v_dual_cndmask_b32 v26, v3, v2 :: v_dual_lshrrev_b32 v1, 16, v15
	v_dual_add_nc_u32 v2, 10, v6 :: v_dual_lshrrev_b32 v34, 16, v27
	v_dual_lshrrev_b32 v33, 24, v27 :: v_dual_lshrrev_b32 v36, 8, v27
	s_delay_alu instid0(VALU_DEP_3)
	v_lshrrev_b64 v[28:29], 24, v[26:27]
	v_dual_lshrrev_b32 v35, 16, v26 :: v_dual_lshrrev_b32 v37, 8, v26
	v_lshrrev_b32_e32 v29, 8, v15
	s_mov_b32 s2, exec_lo
	v_cmpx_le_u32_e64 s27, v2
; %bb.50:
	v_mov_b32_e32 v1, 0
; %bb.51:
	s_or_b32 exec_lo, exec_lo, s2
.LBB178_52:
	v_and_b32_e32 v38, 0xff, v26
	v_and_b32_e32 v39, 0xff, v37
	;; [unrolled: 1-line block ×7, first 2 shown]
	v_add3_u32 v2, v39, v38, v40
	v_and_b32_e32 v45, 0xff, v33
	v_mbcnt_lo_u32_b32 v48, -1, 0
	v_and_b32_e32 v46, 0xff, v15
	v_and_b32_e32 v47, 0xff, v29
	v_add3_u32 v2, v2, v41, v42
	v_and_b32_e32 v4, 0xff, v1
	v_and_b32_e32 v3, 15, v48
	v_dual_lshrrev_b32 v49, 5, v0 :: v_dual_bitop2_b32 v5, 31, v0 bitop3:0x54
	s_delay_alu instid0(VALU_DEP_4) | instskip(SKIP_1) | instid1(VALU_DEP_4)
	v_add3_u32 v2, v2, v43, v44
	v_and_b32_e32 v6, 16, v48
	v_cmp_eq_u32_e64 s5, 0, v3
	v_cmp_lt_u32_e64 s4, 1, v3
	v_cmp_lt_u32_e64 s3, 3, v3
	v_add3_u32 v2, v2, v45, v46
	v_cmp_lt_u32_e64 s2, 7, v3
	v_cmp_eq_u32_e64 s7, 0, v6
	v_cmp_eq_u32_e64 s6, v0, v5
	s_and_b32 vcc_lo, exec_lo, s29
	v_add3_u32 v50, v2, v47, v4
	s_mov_b32 s8, -1
	s_wait_dscnt 0x0
	s_barrier_signal -1
	s_barrier_wait -1
	s_cbranch_vccz .LBB178_74
; %bb.53:
	v_mov_b32_dpp v2, v50 row_shr:1 row_mask:0xf bank_mask:0xf
	s_delay_alu instid0(VALU_DEP_1) | instskip(NEXT) | instid1(VALU_DEP_1)
	v_cndmask_b32_e64 v2, v2, 0, s5
	v_add_nc_u32_e32 v2, v2, v50
	s_delay_alu instid0(VALU_DEP_1) | instskip(NEXT) | instid1(VALU_DEP_1)
	v_mov_b32_dpp v3, v2 row_shr:2 row_mask:0xf bank_mask:0xf
	v_cndmask_b32_e64 v3, 0, v3, s4
	s_delay_alu instid0(VALU_DEP_1) | instskip(NEXT) | instid1(VALU_DEP_1)
	v_add_nc_u32_e32 v2, v2, v3
	v_mov_b32_dpp v3, v2 row_shr:4 row_mask:0xf bank_mask:0xf
	s_delay_alu instid0(VALU_DEP_1) | instskip(NEXT) | instid1(VALU_DEP_1)
	v_cndmask_b32_e64 v3, 0, v3, s3
	v_add_nc_u32_e32 v2, v2, v3
	s_delay_alu instid0(VALU_DEP_1) | instskip(NEXT) | instid1(VALU_DEP_1)
	v_mov_b32_dpp v3, v2 row_shr:8 row_mask:0xf bank_mask:0xf
	v_cndmask_b32_e64 v3, 0, v3, s2
	s_delay_alu instid0(VALU_DEP_1) | instskip(SKIP_3) | instid1(VALU_DEP_1)
	v_add_nc_u32_e32 v2, v2, v3
	ds_swizzle_b32 v3, v2 offset:swizzle(BROADCAST,32,15)
	s_wait_dscnt 0x0
	v_cndmask_b32_e64 v3, v3, 0, s7
	v_add_nc_u32_e32 v2, v2, v3
	s_and_saveexec_b32 s8, s6
; %bb.54:
	v_lshlrev_b32_e32 v3, 2, v49
	ds_store_b32 v3, v2
; %bb.55:
	s_or_b32 exec_lo, exec_lo, s8
	s_delay_alu instid0(SALU_CYCLE_1)
	s_mov_b32 s8, exec_lo
	s_wait_dscnt 0x0
	s_barrier_signal -1
	s_barrier_wait -1
	v_cmpx_gt_u32_e32 16, v0
	s_cbranch_execz .LBB178_57
; %bb.56:
	v_lshlrev_b32_e32 v3, 2, v0
	ds_load_b32 v4, v3
	s_wait_dscnt 0x0
	v_mov_b32_dpp v5, v4 row_shr:1 row_mask:0xf bank_mask:0xf
	s_delay_alu instid0(VALU_DEP_1) | instskip(NEXT) | instid1(VALU_DEP_1)
	v_cndmask_b32_e64 v5, v5, 0, s5
	v_add_nc_u32_e32 v4, v5, v4
	s_delay_alu instid0(VALU_DEP_1) | instskip(NEXT) | instid1(VALU_DEP_1)
	v_mov_b32_dpp v5, v4 row_shr:2 row_mask:0xf bank_mask:0xf
	v_cndmask_b32_e64 v5, 0, v5, s4
	s_delay_alu instid0(VALU_DEP_1) | instskip(NEXT) | instid1(VALU_DEP_1)
	v_add_nc_u32_e32 v4, v4, v5
	v_mov_b32_dpp v5, v4 row_shr:4 row_mask:0xf bank_mask:0xf
	s_delay_alu instid0(VALU_DEP_1) | instskip(NEXT) | instid1(VALU_DEP_1)
	v_cndmask_b32_e64 v5, 0, v5, s3
	v_add_nc_u32_e32 v4, v4, v5
	s_delay_alu instid0(VALU_DEP_1) | instskip(NEXT) | instid1(VALU_DEP_1)
	v_mov_b32_dpp v5, v4 row_shr:8 row_mask:0xf bank_mask:0xf
	v_cndmask_b32_e64 v5, 0, v5, s2
	s_delay_alu instid0(VALU_DEP_1)
	v_add_nc_u32_e32 v4, v4, v5
	ds_store_b32 v3, v4
.LBB178_57:
	s_or_b32 exec_lo, exec_lo, s8
	s_delay_alu instid0(SALU_CYCLE_1)
	s_mov_b32 s9, exec_lo
	v_cmp_gt_u32_e32 vcc_lo, 32, v0
	s_wait_dscnt 0x0
	s_barrier_signal -1
	s_barrier_wait -1
                                        ; implicit-def: $vgpr10
	v_cmpx_lt_u32_e32 31, v0
	s_cbranch_execz .LBB178_59
; %bb.58:
	v_lshl_add_u32 v3, v49, 2, -4
	ds_load_b32 v10, v3
	s_wait_dscnt 0x0
	v_add_nc_u32_e32 v2, v10, v2
.LBB178_59:
	s_or_b32 exec_lo, exec_lo, s9
	v_sub_co_u32 v3, s8, v48, 1
	s_delay_alu instid0(VALU_DEP_1) | instskip(NEXT) | instid1(VALU_DEP_1)
	v_cmp_gt_i32_e64 s9, 0, v3
	v_cndmask_b32_e64 v3, v3, v48, s9
	s_delay_alu instid0(VALU_DEP_1)
	v_lshlrev_b32_e32 v3, 2, v3
	ds_bpermute_b32 v11, v3, v2
	s_and_saveexec_b32 s9, vcc_lo
	s_cbranch_execz .LBB178_79
; %bb.60:
	v_mov_b32_e32 v9, 0
	ds_load_b32 v2, v9 offset:60
	s_and_saveexec_b32 s12, s8
	s_cbranch_execz .LBB178_62
; %bb.61:
	s_add_co_i32 s13, s26, 32
	s_delay_alu instid0(SALU_CYCLE_1)
	v_dual_mov_b32 v3, 1 :: v_dual_mov_b32 v4, s13
	s_wait_xcnt 0x0
	s_wait_dscnt 0x0
	s_wait_kmcnt 0x0
	global_store_b64 v4, v[2:3], s[10:11] scale_offset scope:SCOPE_DEV
.LBB178_62:
	s_wait_xcnt 0x0
	s_or_b32 exec_lo, exec_lo, s12
	v_xad_u32 v4, v48, -1, s26
	s_mov_b32 s13, 0
	s_mov_b32 s12, exec_lo
	s_delay_alu instid0(VALU_DEP_1)
	v_add_nc_u32_e32 v8, 32, v4
	s_wait_kmcnt 0x0
	global_load_b64 v[6:7], v8, s[10:11] scale_offset scope:SCOPE_DEV
	s_wait_loadcnt 0x0
	v_and_b32_e32 v3, 0xff, v7
	s_wait_xcnt 0x0
	s_delay_alu instid0(VALU_DEP_1)
	v_cmpx_eq_u16_e32 0, v3
	s_cbranch_execz .LBB178_66
; %bb.63:
	v_lshl_add_u64 v[8:9], v[8:9], 3, s[10:11]
.LBB178_64:                             ; =>This Inner Loop Header: Depth=1
	global_load_b64 v[6:7], v[8:9], off scope:SCOPE_DEV
	s_wait_loadcnt 0x0
	v_and_b32_e32 v3, 0xff, v7
	s_delay_alu instid0(VALU_DEP_1)
	v_cmp_ne_u16_e32 vcc_lo, 0, v3
	s_or_b32 s13, vcc_lo, s13
	s_wait_xcnt 0x0
	s_and_not1_b32 exec_lo, exec_lo, s13
	s_cbranch_execnz .LBB178_64
; %bb.65:
	s_or_b32 exec_lo, exec_lo, s13
.LBB178_66:
	s_delay_alu instid0(SALU_CYCLE_1)
	s_or_b32 exec_lo, exec_lo, s12
	v_cmp_ne_u32_e32 vcc_lo, 31, v48
	v_lshlrev_b32_e64 v30, v48, -1
	v_lshl_or_b32 v55, v48, 2, 64
	v_dual_add_nc_u32 v32, 2, v48 :: v_dual_add_nc_u32 v52, 4, v48
	v_add_co_ci_u32_e64 v3, null, 0, v48, vcc_lo
	v_dual_add_nc_u32 v54, 8, v48 :: v_dual_add_nc_u32 v56, 16, v48
	s_delay_alu instid0(VALU_DEP_2)
	v_lshlrev_b32_e32 v12, 2, v3
	v_and_b32_e32 v3, 0xff, v7
	ds_bpermute_b32 v5, v12, v6
	v_cmp_eq_u16_e32 vcc_lo, 2, v3
	v_and_or_b32 v3, vcc_lo, v30, 0x80000000
	v_cmp_gt_u32_e32 vcc_lo, 30, v48
	s_delay_alu instid0(VALU_DEP_2) | instskip(SKIP_1) | instid1(VALU_DEP_2)
	v_ctz_i32_b32_e32 v3, v3
	v_cndmask_b32_e64 v8, 0, 2, vcc_lo
	v_cmp_lt_u32_e32 vcc_lo, v48, v3
	s_delay_alu instid0(VALU_DEP_2) | instskip(SKIP_3) | instid1(VALU_DEP_2)
	v_add_lshl_u32 v31, v8, v48, 2
	s_wait_dscnt 0x0
	v_cndmask_b32_e32 v5, 0, v5, vcc_lo
	v_cmp_gt_u32_e32 vcc_lo, 28, v48
	v_add_nc_u32_e32 v5, v5, v6
	v_cndmask_b32_e64 v8, 0, 4, vcc_lo
	v_cmp_le_u32_e32 vcc_lo, v32, v3
	ds_bpermute_b32 v6, v31, v5
	v_add_lshl_u32 v51, v8, v48, 2
	s_wait_dscnt 0x0
	v_cndmask_b32_e32 v6, 0, v6, vcc_lo
	v_cmp_gt_u32_e32 vcc_lo, 24, v48
	v_cndmask_b32_e64 v8, 0, 8, vcc_lo
	v_cmp_le_u32_e32 vcc_lo, v52, v3
	s_delay_alu instid0(VALU_DEP_4) | instskip(NEXT) | instid1(VALU_DEP_3)
	v_add_nc_u32_e32 v5, v5, v6
	v_add_lshl_u32 v53, v8, v48, 2
	ds_bpermute_b32 v6, v51, v5
	s_wait_dscnt 0x0
	v_cndmask_b32_e32 v6, 0, v6, vcc_lo
	v_cmp_le_u32_e32 vcc_lo, v54, v3
	s_delay_alu instid0(VALU_DEP_2) | instskip(SKIP_4) | instid1(VALU_DEP_2)
	v_add_nc_u32_e32 v5, v5, v6
	ds_bpermute_b32 v6, v53, v5
	s_wait_dscnt 0x0
	v_cndmask_b32_e32 v6, 0, v6, vcc_lo
	v_cmp_le_u32_e32 vcc_lo, v56, v3
	v_add_nc_u32_e32 v5, v5, v6
	ds_bpermute_b32 v6, v55, v5
	s_wait_dscnt 0x0
	v_cndmask_b32_e32 v3, 0, v6, vcc_lo
	s_delay_alu instid0(VALU_DEP_1)
	v_dual_mov_b32 v5, 0 :: v_dual_add_nc_u32 v6, v5, v3
	s_branch .LBB178_69
.LBB178_67:                             ;   in Loop: Header=BB178_69 Depth=1
	s_or_b32 exec_lo, exec_lo, s12
	v_and_b32_e32 v8, 0xff, v7
	ds_bpermute_b32 v9, v12, v6
	v_subrev_nc_u32_e32 v4, 32, v4
	s_mov_b32 s12, 0
	v_cmp_eq_u16_e32 vcc_lo, 2, v8
	v_and_or_b32 v8, vcc_lo, v30, 0x80000000
	s_delay_alu instid0(VALU_DEP_1) | instskip(NEXT) | instid1(VALU_DEP_1)
	v_ctz_i32_b32_e32 v8, v8
	v_cmp_lt_u32_e32 vcc_lo, v48, v8
	s_wait_dscnt 0x0
	v_cndmask_b32_e32 v9, 0, v9, vcc_lo
	v_cmp_le_u32_e32 vcc_lo, v32, v8
	s_delay_alu instid0(VALU_DEP_2) | instskip(SKIP_4) | instid1(VALU_DEP_2)
	v_add_nc_u32_e32 v6, v9, v6
	ds_bpermute_b32 v9, v31, v6
	s_wait_dscnt 0x0
	v_cndmask_b32_e32 v9, 0, v9, vcc_lo
	v_cmp_le_u32_e32 vcc_lo, v52, v8
	v_add_nc_u32_e32 v6, v6, v9
	ds_bpermute_b32 v9, v51, v6
	s_wait_dscnt 0x0
	v_cndmask_b32_e32 v9, 0, v9, vcc_lo
	v_cmp_le_u32_e32 vcc_lo, v54, v8
	s_delay_alu instid0(VALU_DEP_2) | instskip(SKIP_4) | instid1(VALU_DEP_2)
	v_add_nc_u32_e32 v6, v6, v9
	ds_bpermute_b32 v9, v53, v6
	s_wait_dscnt 0x0
	v_cndmask_b32_e32 v9, 0, v9, vcc_lo
	v_cmp_le_u32_e32 vcc_lo, v56, v8
	v_add_nc_u32_e32 v6, v6, v9
	ds_bpermute_b32 v9, v55, v6
	s_wait_dscnt 0x0
	v_cndmask_b32_e32 v8, 0, v9, vcc_lo
	s_delay_alu instid0(VALU_DEP_1)
	v_add3_u32 v6, v8, v3, v6
.LBB178_68:                             ;   in Loop: Header=BB178_69 Depth=1
	s_and_b32 vcc_lo, exec_lo, s12
	s_cbranch_vccnz .LBB178_75
.LBB178_69:                             ; =>This Loop Header: Depth=1
                                        ;     Child Loop BB178_72 Depth 2
	v_and_b32_e32 v3, 0xff, v7
	s_mov_b32 s12, -1
                                        ; implicit-def: $vgpr7
	s_delay_alu instid0(VALU_DEP_1)
	v_cmp_ne_u16_e32 vcc_lo, 2, v3
	v_mov_b32_e32 v3, v6
                                        ; implicit-def: $vgpr6
	s_cmp_lg_u32 vcc_lo, exec_lo
	s_cbranch_scc1 .LBB178_68
; %bb.70:                               ;   in Loop: Header=BB178_69 Depth=1
	global_load_b64 v[6:7], v4, s[10:11] scale_offset scope:SCOPE_DEV
	s_mov_b32 s12, exec_lo
	s_wait_loadcnt 0x0
	v_and_b32_e32 v8, 0xff, v7
	s_wait_xcnt 0x0
	s_delay_alu instid0(VALU_DEP_1)
	v_cmpx_eq_u16_e32 0, v8
	s_cbranch_execz .LBB178_67
; %bb.71:                               ;   in Loop: Header=BB178_69 Depth=1
	v_lshl_add_u64 v[8:9], v[4:5], 3, s[10:11]
	s_mov_b32 s13, 0
.LBB178_72:                             ;   Parent Loop BB178_69 Depth=1
                                        ; =>  This Inner Loop Header: Depth=2
	global_load_b64 v[6:7], v[8:9], off scope:SCOPE_DEV
	s_wait_loadcnt 0x0
	v_and_b32_e32 v57, 0xff, v7
	s_delay_alu instid0(VALU_DEP_1)
	v_cmp_ne_u16_e32 vcc_lo, 0, v57
	s_or_b32 s13, vcc_lo, s13
	s_wait_xcnt 0x0
	s_and_not1_b32 exec_lo, exec_lo, s13
	s_cbranch_execnz .LBB178_72
; %bb.73:                               ;   in Loop: Header=BB178_69 Depth=1
	s_or_b32 exec_lo, exec_lo, s13
	s_branch .LBB178_67
.LBB178_74:
                                        ; implicit-def: $vgpr32
                                        ; implicit-def: $vgpr30
                                        ; implicit-def: $vgpr2_vgpr3_vgpr4_vgpr5_vgpr6_vgpr7_vgpr8_vgpr9_vgpr10_vgpr11_vgpr12
	s_and_b32 vcc_lo, exec_lo, s8
	s_cbranch_vccnz .LBB178_80
	s_branch .LBB178_89
.LBB178_75:
	s_and_saveexec_b32 s12, s8
	s_cbranch_execz .LBB178_77
; %bb.76:
	s_add_co_i32 s13, s26, 32
	v_dual_mov_b32 v5, 2 :: v_dual_add_nc_u32 v4, v3, v2
	v_dual_mov_b32 v6, s13 :: v_dual_mov_b32 v7, 0
	global_store_b64 v6, v[4:5], s[10:11] scale_offset scope:SCOPE_DEV
	ds_store_b64 v7, v[2:3] offset:22528
.LBB178_77:
	s_wait_xcnt 0x0
	s_or_b32 exec_lo, exec_lo, s12
	v_cmp_eq_u32_e32 vcc_lo, 0, v0
	s_and_b32 exec_lo, exec_lo, vcc_lo
; %bb.78:
	v_mov_b32_e32 v2, 0
	ds_store_b32 v2, v3 offset:60
.LBB178_79:
	s_or_b32 exec_lo, exec_lo, s9
	s_wait_dscnt 0x0
	v_dual_mov_b32 v9, 0 :: v_dual_cndmask_b32 v3, v11, v10, s8
	s_wait_storecnt 0x0
	s_barrier_signal -1
	s_barrier_wait -1
	ds_load_b32 v2, v9 offset:60
	v_cmp_ne_u32_e32 vcc_lo, 0, v0
	s_wait_dscnt 0x0
	s_barrier_signal -1
	s_barrier_wait -1
	v_cndmask_b32_e32 v3, 0, v3, vcc_lo
	ds_load_b64 v[30:31], v9 offset:22528
	v_add_nc_u32_e32 v2, v2, v3
	s_wait_dscnt 0x0
	s_delay_alu instid0(VALU_DEP_1) | instskip(NEXT) | instid1(VALU_DEP_1)
	v_dual_mov_b32 v32, v31 :: v_dual_add_nc_u32 v3, v2, v38
	v_add_nc_u32_e32 v4, v3, v39
	s_delay_alu instid0(VALU_DEP_1) | instskip(NEXT) | instid1(VALU_DEP_1)
	v_add_nc_u32_e32 v5, v4, v40
	v_add_nc_u32_e32 v6, v5, v41
	s_delay_alu instid0(VALU_DEP_1) | instskip(NEXT) | instid1(VALU_DEP_1)
	v_add_nc_u32_e32 v7, v6, v42
	v_add_nc_u32_e32 v8, v7, v43
	s_delay_alu instid0(VALU_DEP_1) | instskip(NEXT) | instid1(VALU_DEP_1)
	v_add_nc_u32_e32 v9, v8, v44
	v_add_nc_u32_e32 v10, v9, v45
	s_delay_alu instid0(VALU_DEP_1) | instskip(NEXT) | instid1(VALU_DEP_1)
	v_add_nc_u32_e32 v11, v10, v46
	v_add_nc_u32_e32 v12, v11, v47
	s_branch .LBB178_89
.LBB178_80:
	v_mov_b32_dpp v2, v50 row_shr:1 row_mask:0xf bank_mask:0xf
	s_delay_alu instid0(VALU_DEP_1) | instskip(NEXT) | instid1(VALU_DEP_1)
	v_cndmask_b32_e64 v2, v2, 0, s5
	v_add_nc_u32_e32 v2, v2, v50
	s_delay_alu instid0(VALU_DEP_1) | instskip(NEXT) | instid1(VALU_DEP_1)
	v_mov_b32_dpp v3, v2 row_shr:2 row_mask:0xf bank_mask:0xf
	v_cndmask_b32_e64 v3, 0, v3, s4
	s_delay_alu instid0(VALU_DEP_1) | instskip(NEXT) | instid1(VALU_DEP_1)
	v_add_nc_u32_e32 v2, v2, v3
	v_mov_b32_dpp v3, v2 row_shr:4 row_mask:0xf bank_mask:0xf
	s_delay_alu instid0(VALU_DEP_1) | instskip(NEXT) | instid1(VALU_DEP_1)
	v_cndmask_b32_e64 v3, 0, v3, s3
	v_add_nc_u32_e32 v2, v2, v3
	s_delay_alu instid0(VALU_DEP_1) | instskip(NEXT) | instid1(VALU_DEP_1)
	v_mov_b32_dpp v3, v2 row_shr:8 row_mask:0xf bank_mask:0xf
	v_cndmask_b32_e64 v3, 0, v3, s2
	s_delay_alu instid0(VALU_DEP_1) | instskip(SKIP_3) | instid1(VALU_DEP_1)
	v_add_nc_u32_e32 v2, v2, v3
	ds_swizzle_b32 v3, v2 offset:swizzle(BROADCAST,32,15)
	s_wait_dscnt 0x0
	v_cndmask_b32_e64 v3, v3, 0, s7
	v_add_nc_u32_e32 v2, v2, v3
	s_and_saveexec_b32 s7, s6
; %bb.81:
	v_lshlrev_b32_e32 v3, 2, v49
	ds_store_b32 v3, v2
; %bb.82:
	s_or_b32 exec_lo, exec_lo, s7
	s_delay_alu instid0(SALU_CYCLE_1)
	s_mov_b32 s6, exec_lo
	s_wait_dscnt 0x0
	s_barrier_signal -1
	s_barrier_wait -1
	v_cmpx_gt_u32_e32 16, v0
	s_cbranch_execz .LBB178_84
; %bb.83:
	v_lshlrev_b32_e32 v3, 2, v0
	ds_load_b32 v4, v3
	s_wait_dscnt 0x0
	v_mov_b32_dpp v5, v4 row_shr:1 row_mask:0xf bank_mask:0xf
	s_delay_alu instid0(VALU_DEP_1) | instskip(NEXT) | instid1(VALU_DEP_1)
	v_cndmask_b32_e64 v5, v5, 0, s5
	v_add_nc_u32_e32 v4, v5, v4
	s_delay_alu instid0(VALU_DEP_1) | instskip(NEXT) | instid1(VALU_DEP_1)
	v_mov_b32_dpp v5, v4 row_shr:2 row_mask:0xf bank_mask:0xf
	v_cndmask_b32_e64 v5, 0, v5, s4
	s_delay_alu instid0(VALU_DEP_1) | instskip(NEXT) | instid1(VALU_DEP_1)
	v_add_nc_u32_e32 v4, v4, v5
	v_mov_b32_dpp v5, v4 row_shr:4 row_mask:0xf bank_mask:0xf
	s_delay_alu instid0(VALU_DEP_1) | instskip(NEXT) | instid1(VALU_DEP_1)
	v_cndmask_b32_e64 v5, 0, v5, s3
	v_add_nc_u32_e32 v4, v4, v5
	s_delay_alu instid0(VALU_DEP_1) | instskip(NEXT) | instid1(VALU_DEP_1)
	v_mov_b32_dpp v5, v4 row_shr:8 row_mask:0xf bank_mask:0xf
	v_cndmask_b32_e64 v5, 0, v5, s2
	s_delay_alu instid0(VALU_DEP_1)
	v_add_nc_u32_e32 v4, v4, v5
	ds_store_b32 v3, v4
.LBB178_84:
	s_or_b32 exec_lo, exec_lo, s6
	v_dual_mov_b32 v4, 0 :: v_dual_mov_b32 v3, 0
	s_mov_b32 s2, exec_lo
	s_wait_dscnt 0x0
	s_barrier_signal -1
	s_barrier_wait -1
	v_cmpx_lt_u32_e32 31, v0
; %bb.85:
	v_lshl_add_u32 v3, v49, 2, -4
	ds_load_b32 v3, v3
; %bb.86:
	s_or_b32 exec_lo, exec_lo, s2
	v_sub_co_u32 v5, vcc_lo, v48, 1
	ds_load_b32 v30, v4 offset:60
	s_wait_dscnt 0x1
	v_add_nc_u32_e32 v2, v3, v2
	v_cmp_gt_i32_e64 s2, 0, v5
	s_delay_alu instid0(VALU_DEP_1) | instskip(SKIP_1) | instid1(VALU_DEP_2)
	v_cndmask_b32_e64 v5, v5, v48, s2
	v_cmp_eq_u32_e64 s2, 0, v0
	v_lshlrev_b32_e32 v5, 2, v5
	ds_bpermute_b32 v2, v5, v2
	s_and_saveexec_b32 s3, s2
	s_cbranch_execz .LBB178_88
; %bb.87:
	v_dual_mov_b32 v4, 0 :: v_dual_mov_b32 v31, 2
	s_wait_xcnt 0x0
	s_wait_dscnt 0x1
	s_wait_kmcnt 0x0
	global_store_b64 v4, v[30:31], s[10:11] offset:256 scope:SCOPE_DEV
.LBB178_88:
	s_wait_xcnt 0x0
	s_or_b32 exec_lo, exec_lo, s3
	s_wait_dscnt 0x0
	v_cndmask_b32_e32 v2, v2, v3, vcc_lo
	s_wait_storecnt 0x0
	s_barrier_signal -1
	s_barrier_wait -1
	s_delay_alu instid0(VALU_DEP_1) | instskip(NEXT) | instid1(VALU_DEP_1)
	v_cndmask_b32_e64 v2, v2, 0, s2
	v_dual_mov_b32 v32, 0 :: v_dual_add_nc_u32 v3, v2, v38
	s_delay_alu instid0(VALU_DEP_1) | instskip(NEXT) | instid1(VALU_DEP_1)
	v_add_nc_u32_e32 v4, v3, v39
	v_add_nc_u32_e32 v5, v4, v40
	s_delay_alu instid0(VALU_DEP_1) | instskip(NEXT) | instid1(VALU_DEP_1)
	v_add_nc_u32_e32 v6, v5, v41
	v_add_nc_u32_e32 v7, v6, v42
	;; [unrolled: 3-line block ×4, first 2 shown]
	s_delay_alu instid0(VALU_DEP_1)
	v_add_nc_u32_e32 v12, v11, v47
.LBB178_89:
	s_load_b64 s[2:3], s[0:1], 0x28
	v_and_b32_e32 v26, 1, v26
	v_cmp_gt_u32_e32 vcc_lo, 0x201, v30
	s_wait_xcnt 0x0
	s_mov_b32 s1, -1
	s_delay_alu instid0(VALU_DEP_2)
	v_cmp_eq_u32_e64 s0, 1, v26
	s_cbranch_vccnz .LBB178_93
; %bb.90:
	s_and_b32 vcc_lo, exec_lo, s1
	s_cbranch_vccnz .LBB178_116
.LBB178_91:
	v_cmp_eq_u32_e32 vcc_lo, 0, v0
	s_and_b32 s0, vcc_lo, s24
	s_delay_alu instid0(SALU_CYCLE_1)
	s_and_saveexec_b32 s1, s0
	s_cbranch_execnz .LBB178_151
.LBB178_92:
	s_endpgm
.LBB178_93:
	v_add_nc_u32_e32 v31, v32, v30
	s_wait_kmcnt 0x0
	s_lshl_b64 s[4:5], s[22:23], 2
	s_delay_alu instid0(SALU_CYCLE_1) | instskip(NEXT) | instid1(VALU_DEP_1)
	s_add_nc_u64 s[4:5], s[2:3], s[4:5]
	v_cmp_lt_u32_e32 vcc_lo, v2, v31
	s_or_b32 s1, s25, vcc_lo
	s_delay_alu instid0(SALU_CYCLE_1) | instskip(NEXT) | instid1(SALU_CYCLE_1)
	s_and_b32 s1, s1, s0
	s_and_saveexec_b32 s0, s1
	s_cbranch_execz .LBB178_95
; %bb.94:
	global_store_b32 v2, v24, s[4:5] scale_offset
.LBB178_95:
	s_wait_xcnt 0x0
	s_or_b32 exec_lo, exec_lo, s0
	v_and_b32_e32 v38, 1, v37
	v_cmp_lt_u32_e32 vcc_lo, v3, v31
	s_delay_alu instid0(VALU_DEP_2) | instskip(SKIP_1) | instid1(SALU_CYCLE_1)
	v_cmp_eq_u32_e64 s0, 1, v38
	s_or_b32 s1, s25, vcc_lo
	s_and_b32 s1, s1, s0
	s_delay_alu instid0(SALU_CYCLE_1)
	s_and_saveexec_b32 s0, s1
	s_cbranch_execz .LBB178_97
; %bb.96:
	global_store_b32 v3, v25, s[4:5] scale_offset
.LBB178_97:
	s_wait_xcnt 0x0
	s_or_b32 exec_lo, exec_lo, s0
	v_and_b32_e32 v38, 1, v35
	v_cmp_lt_u32_e32 vcc_lo, v4, v31
	s_delay_alu instid0(VALU_DEP_2) | instskip(SKIP_1) | instid1(SALU_CYCLE_1)
	v_cmp_eq_u32_e64 s0, 1, v38
	s_or_b32 s1, s25, vcc_lo
	s_and_b32 s1, s1, s0
	s_delay_alu instid0(SALU_CYCLE_1)
	;; [unrolled: 14-line block ×10, first 2 shown]
	s_and_saveexec_b32 s0, s1
	s_cbranch_execz .LBB178_115
; %bb.114:
	global_store_b32 v12, v17, s[4:5] scale_offset
.LBB178_115:
	s_wait_xcnt 0x0
	s_or_b32 exec_lo, exec_lo, s0
	s_branch .LBB178_91
.LBB178_116:
	s_mov_b32 s0, exec_lo
	v_cmpx_eq_u32_e32 1, v26
; %bb.117:
	v_sub_nc_u32_e32 v2, v2, v32
	s_delay_alu instid0(VALU_DEP_1)
	v_lshlrev_b32_e32 v2, 2, v2
	ds_store_b32 v2, v24
; %bb.118:
	s_or_b32 exec_lo, exec_lo, s0
	v_and_b32_e32 v2, 1, v37
	s_mov_b32 s0, exec_lo
	s_delay_alu instid0(VALU_DEP_1)
	v_cmpx_eq_u32_e32 1, v2
; %bb.119:
	v_sub_nc_u32_e32 v2, v3, v32
	s_delay_alu instid0(VALU_DEP_1)
	v_lshlrev_b32_e32 v2, 2, v2
	ds_store_b32 v2, v25
; %bb.120:
	s_or_b32 exec_lo, exec_lo, s0
	v_and_b32_e32 v2, 1, v35
	s_mov_b32 s0, exec_lo
	s_delay_alu instid0(VALU_DEP_1)
	;; [unrolled: 11-line block ×10, first 2 shown]
	v_cmpx_eq_u32_e32 1, v1
; %bb.137:
	v_sub_nc_u32_e32 v1, v12, v32
	s_delay_alu instid0(VALU_DEP_1)
	v_lshlrev_b32_e32 v1, 2, v1
	ds_store_b32 v1, v17
; %bb.138:
	s_or_b32 exec_lo, exec_lo, s0
	v_or_b32_e32 v1, 0x200, v0
	v_mov_b32_e32 v33, 0
	s_mov_b32 s1, -1
	s_mov_b32 s0, exec_lo
	s_wait_storecnt_dscnt 0x0
	v_max_u32_e32 v2, v30, v1
	s_barrier_signal -1
	s_barrier_wait -1
	s_delay_alu instid0(VALU_DEP_1) | instskip(SKIP_1) | instid1(VALU_DEP_2)
	v_xad_u32 v4, v0, -1, v2
	v_lshlrev_b64_e32 v[2:3], 2, v[32:33]
	v_cmpx_lt_u32_e32 0x1ff, v4
	s_cbranch_execz .LBB178_147
; %bb.139:
	v_lshrrev_b32_e32 v10, 9, v4
	s_wait_kmcnt 0x0
	s_lshl_b64 s[4:5], s[22:23], 2
	v_lshlrev_b32_e32 v11, 2, v0
	s_add_nc_u64 s[4:5], s[2:3], s[4:5]
	v_add_nc_u32_e32 v6, -1, v10
	v_add_nc_u64_e32 v[4:5], s[4:5], v[2:3]
	s_delay_alu instid0(VALU_DEP_2) | instskip(SKIP_1) | instid1(VALU_DEP_2)
	v_lshrrev_b32_e32 v7, 1, v6
	v_cmp_lt_u32_e32 vcc_lo, 13, v6
	v_add_nc_u32_e32 v12, 1, v7
	v_mov_b64_e32 v[6:7], v[0:1]
	s_and_saveexec_b32 s1, vcc_lo
	s_cbranch_execz .LBB178_143
; %bb.140:
	v_mov_b64_e32 v[6:7], v[0:1]
	v_dual_mov_b32 v9, 0 :: v_dual_bitop2_b32 v13, -8, v12 bitop3:0x40
	v_mov_b32_e32 v14, v11
	s_mov_b32 s4, 0
	s_mov_b32 s5, 0
.LBB178_141:                            ; =>This Inner Loop Header: Depth=1
	s_delay_alu instid0(VALU_DEP_2)
	v_dual_mov_b32 v8, v6 :: v_dual_mov_b32 v19, v9
	ds_load_2addr_stride64_b32 v[16:17], v14 offset1:8
	v_add_nc_u32_e32 v13, -8, v13
	ds_load_2addr_stride64_b32 v[20:21], v14 offset0:16 offset1:24
	v_lshl_add_u64 v[50:51], v[8:9], 2, v[4:5]
	v_mov_b32_e32 v8, v7
	ds_load_2addr_stride64_b32 v[24:25], v14 offset0:32 offset1:40
	ds_load_2addr_stride64_b32 v[28:29], v14 offset0:48 offset1:56
	v_dual_mov_b32 v23, v9 :: v_dual_add_nc_u32 v18, 0x400, v7
	v_lshl_add_u64 v[52:53], v[8:9], 2, v[4:5]
	v_add_nc_u32_e32 v8, 0x400, v6
	ds_load_2addr_stride64_b32 v[36:37], v14 offset0:64 offset1:72
	v_lshl_add_u64 v[18:19], v[18:19], 2, v[4:5]
	ds_load_2addr_stride64_b32 v[40:41], v14 offset0:80 offset1:88
	ds_load_2addr_stride64_b32 v[44:45], v14 offset0:96 offset1:104
	v_lshl_add_u64 v[54:55], v[8:9], 2, v[4:5]
	v_add_nc_u32_e32 v8, 0x800, v6
	ds_load_2addr_stride64_b32 v[48:49], v14 offset0:112 offset1:120
	s_wait_dscnt 0x7
	s_clause 0x1
	global_store_b32 v[50:51], v16, off
	global_store_b32 v[52:53], v17, off
	s_wait_dscnt 0x6
	s_clause 0x1
	global_store_b32 v[54:55], v20, off
	global_store_b32 v[18:19], v21, off
	v_lshl_add_u64 v[56:57], v[8:9], 2, v[4:5]
	v_add_nc_u32_e32 v8, 0xc00, v6
	v_dual_mov_b32 v27, v9 :: v_dual_add_nc_u32 v22, 0x800, v7
	v_dual_mov_b32 v35, v9 :: v_dual_add_nc_u32 v26, 0xc00, v7
	s_wait_xcnt 0x2
	s_delay_alu instid0(VALU_DEP_3)
	v_lshl_add_u64 v[16:17], v[8:9], 2, v[4:5]
	v_add_nc_u32_e32 v8, 0x1000, v6
	v_lshl_add_u64 v[22:23], v[22:23], 2, v[4:5]
	v_dual_mov_b32 v39, v9 :: v_dual_add_nc_u32 v34, 0x1000, v7
	v_lshl_add_u64 v[26:27], v[26:27], 2, v[4:5]
	s_wait_xcnt 0x0
	v_lshl_add_u64 v[18:19], v[8:9], 2, v[4:5]
	v_add_nc_u32_e32 v8, 0x1400, v6
	s_wait_dscnt 0x5
	s_clause 0x1
	global_store_b32 v[56:57], v24, off
	global_store_b32 v[22:23], v25, off
	s_wait_dscnt 0x4
	global_store_b32 v[16:17], v28, off
	v_dual_mov_b32 v43, v9 :: v_dual_add_nc_u32 v38, 0x1400, v7
	s_wait_xcnt 0x0
	v_lshl_add_u64 v[16:17], v[8:9], 2, v[4:5]
	v_add_nc_u32_e32 v8, 0x1800, v6
	v_dual_mov_b32 v47, v9 :: v_dual_add_nc_u32 v42, 0x1800, v7
	v_lshl_add_u64 v[34:35], v[34:35], 2, v[4:5]
	global_store_b32 v[26:27], v29, off
	s_wait_dscnt 0x3
	global_store_b32 v[18:19], v36, off
	s_wait_xcnt 0x0
	v_lshl_add_u64 v[18:19], v[8:9], 2, v[4:5]
	v_add_nc_u32_e32 v8, 0x1c00, v6
	s_add_co_i32 s5, s5, 16
	s_delay_alu instid0(SALU_CYCLE_1)
	v_dual_mov_b32 v33, s5 :: v_dual_add_nc_u32 v46, 0x1c00, v7
	v_cmp_eq_u32_e32 vcc_lo, 0, v13
	v_lshl_add_u64 v[38:39], v[38:39], 2, v[4:5]
	v_add_nc_u32_e32 v14, 0x8000, v14
	v_add_nc_u32_e32 v7, 0x2000, v7
	v_add_nc_u32_e32 v6, 0x2000, v6
	v_lshl_add_u64 v[42:43], v[42:43], 2, v[4:5]
	global_store_b32 v[34:35], v37, off
	s_wait_dscnt 0x2
	s_clause 0x1
	global_store_b32 v[16:17], v40, off
	global_store_b32 v[38:39], v41, off
	s_wait_xcnt 0x1
	v_lshl_add_u64 v[16:17], v[8:9], 2, v[4:5]
	v_lshl_add_u64 v[46:47], v[46:47], 2, v[4:5]
	s_or_b32 s4, vcc_lo, s4
	s_wait_dscnt 0x1
	s_clause 0x1
	global_store_b32 v[18:19], v44, off
	global_store_b32 v[42:43], v45, off
	s_wait_dscnt 0x0
	s_clause 0x1
	global_store_b32 v[16:17], v48, off
	global_store_b32 v[46:47], v49, off
	s_wait_xcnt 0x0
	s_and_not1_b32 exec_lo, exec_lo, s4
	s_cbranch_execnz .LBB178_141
; %bb.142:
	s_or_b32 exec_lo, exec_lo, s4
.LBB178_143:
	s_delay_alu instid0(SALU_CYCLE_1) | instskip(SKIP_3) | instid1(VALU_DEP_1)
	s_or_b32 exec_lo, exec_lo, s1
	v_and_b32_e32 v1, 7, v12
	s_mov_b32 s4, 0
	s_mov_b32 s1, exec_lo
	v_cmpx_ne_u32_e32 0, v1
	s_cbranch_execz .LBB178_146
; %bb.144:
	v_lshl_or_b32 v11, v33, 11, v11
	v_mov_b32_e32 v9, 0
.LBB178_145:                            ; =>This Inner Loop Header: Depth=1
	ds_load_2addr_stride64_b32 v[12:13], v11 offset1:8
	v_dual_mov_b32 v8, v6 :: v_dual_add_nc_u32 v1, -1, v1
	v_add_nc_u32_e32 v6, 0x400, v6
	v_add_nc_u32_e32 v11, 0x1000, v11
	s_delay_alu instid0(VALU_DEP_3) | instskip(SKIP_3) | instid1(VALU_DEP_3)
	v_lshl_add_u64 v[14:15], v[8:9], 2, v[4:5]
	v_mov_b32_e32 v8, v7
	v_cmp_eq_u32_e32 vcc_lo, 0, v1
	v_add_nc_u32_e32 v7, 0x400, v7
	v_lshl_add_u64 v[16:17], v[8:9], 2, v[4:5]
	s_or_b32 s4, vcc_lo, s4
	s_wait_dscnt 0x0
	s_clause 0x1
	global_store_b32 v[14:15], v12, off
	global_store_b32 v[16:17], v13, off
	s_wait_xcnt 0x0
	s_and_not1_b32 exec_lo, exec_lo, s4
	s_cbranch_execnz .LBB178_145
.LBB178_146:
	s_or_b32 exec_lo, exec_lo, s1
	v_add_nc_u32_e32 v1, 1, v10
	s_delay_alu instid0(VALU_DEP_1) | instskip(NEXT) | instid1(VALU_DEP_1)
	v_and_b32_e32 v4, 0xfffffe, v1
	v_cmp_ne_u32_e32 vcc_lo, v1, v4
	v_lshl_or_b32 v14, v4, 9, v0
	s_or_not1_b32 s1, vcc_lo, exec_lo
.LBB178_147:
	s_or_b32 exec_lo, exec_lo, s0
	s_and_saveexec_b32 s0, s1
	s_cbranch_execz .LBB178_150
; %bb.148:
	s_wait_kmcnt 0x0
	s_lshl_b64 s[4:5], s[22:23], 2
	v_dual_mov_b32 v15, 0 :: v_dual_lshlrev_b32 v1, 2, v14
	v_add_nc_u64_e32 v[2:3], s[4:5], v[2:3]
	s_mov_b32 s1, 0
	s_delay_alu instid0(VALU_DEP_1) | instskip(NEXT) | instid1(VALU_DEP_1)
	v_add_nc_u64_e32 v[2:3], s[2:3], v[2:3]
	v_lshl_add_u64 v[2:3], v[14:15], 2, v[2:3]
.LBB178_149:                            ; =>This Inner Loop Header: Depth=1
	ds_load_b32 v4, v1
	v_add_nc_u32_e32 v14, 0x200, v14
	v_add_nc_u32_e32 v1, 0x800, v1
	s_delay_alu instid0(VALU_DEP_2)
	v_cmp_ge_u32_e32 vcc_lo, v14, v30
	s_or_b32 s1, vcc_lo, s1
	s_wait_dscnt 0x0
	global_store_b32 v[2:3], v4, off
	s_wait_xcnt 0x0
	v_add_nc_u64_e32 v[2:3], 0x800, v[2:3]
	s_and_not1_b32 exec_lo, exec_lo, s1
	s_cbranch_execnz .LBB178_149
.LBB178_150:
	s_or_b32 exec_lo, exec_lo, s0
	v_cmp_eq_u32_e32 vcc_lo, 0, v0
	s_and_b32 s0, vcc_lo, s24
	s_delay_alu instid0(SALU_CYCLE_1)
	s_and_saveexec_b32 s1, s0
	s_cbranch_execz .LBB178_92
.LBB178_151:
	v_mov_b32_e32 v31, 0
	s_wait_kmcnt 0x0
	s_delay_alu instid0(VALU_DEP_1) | instskip(SKIP_1) | instid1(VALU_DEP_1)
	v_add_nc_u64_e32 v[0:1], s[22:23], v[30:31]
	v_mov_b32_e32 v33, v31
	v_add_nc_u64_e32 v[0:1], v[0:1], v[32:33]
	global_store_b64 v31, v[0:1], s[20:21]
	s_endpgm
	.section	.rodata,"a",@progbits
	.p2align	6, 0x0
	.amdhsa_kernel _ZN7rocprim17ROCPRIM_400000_NS6detail17trampoline_kernelINS0_14default_configENS1_25partition_config_selectorILNS1_17partition_subalgoE8EiNS0_10empty_typeEbEEZZNS1_14partition_implILS5_8ELb0ES3_jPKiPS6_PKS6_NS0_5tupleIJPiS6_EEENSE_IJSB_SB_EEENS0_18inequality_wrapperIN6hipcub16HIPCUB_304000_NS8EqualityEEEPlJS6_EEE10hipError_tPvRmT3_T4_T5_T6_T7_T9_mT8_P12ihipStream_tbDpT10_ENKUlT_T0_E_clISt17integral_constantIbLb0EES17_EEDaS12_S13_EUlS12_E_NS1_11comp_targetILNS1_3genE0ELNS1_11target_archE4294967295ELNS1_3gpuE0ELNS1_3repE0EEENS1_30default_config_static_selectorELNS0_4arch9wavefront6targetE0EEEvT1_
		.amdhsa_group_segment_fixed_size 22536
		.amdhsa_private_segment_fixed_size 0
		.amdhsa_kernarg_size 112
		.amdhsa_user_sgpr_count 2
		.amdhsa_user_sgpr_dispatch_ptr 0
		.amdhsa_user_sgpr_queue_ptr 0
		.amdhsa_user_sgpr_kernarg_segment_ptr 1
		.amdhsa_user_sgpr_dispatch_id 0
		.amdhsa_user_sgpr_kernarg_preload_length 0
		.amdhsa_user_sgpr_kernarg_preload_offset 0
		.amdhsa_user_sgpr_private_segment_size 0
		.amdhsa_wavefront_size32 1
		.amdhsa_uses_dynamic_stack 0
		.amdhsa_enable_private_segment 0
		.amdhsa_system_sgpr_workgroup_id_x 1
		.amdhsa_system_sgpr_workgroup_id_y 0
		.amdhsa_system_sgpr_workgroup_id_z 0
		.amdhsa_system_sgpr_workgroup_info 0
		.amdhsa_system_vgpr_workitem_id 0
		.amdhsa_next_free_vgpr 58
		.amdhsa_next_free_sgpr 30
		.amdhsa_named_barrier_count 0
		.amdhsa_reserve_vcc 1
		.amdhsa_float_round_mode_32 0
		.amdhsa_float_round_mode_16_64 0
		.amdhsa_float_denorm_mode_32 3
		.amdhsa_float_denorm_mode_16_64 3
		.amdhsa_fp16_overflow 0
		.amdhsa_memory_ordered 1
		.amdhsa_forward_progress 1
		.amdhsa_inst_pref_size 68
		.amdhsa_round_robin_scheduling 0
		.amdhsa_exception_fp_ieee_invalid_op 0
		.amdhsa_exception_fp_denorm_src 0
		.amdhsa_exception_fp_ieee_div_zero 0
		.amdhsa_exception_fp_ieee_overflow 0
		.amdhsa_exception_fp_ieee_underflow 0
		.amdhsa_exception_fp_ieee_inexact 0
		.amdhsa_exception_int_div_zero 0
	.end_amdhsa_kernel
	.section	.text._ZN7rocprim17ROCPRIM_400000_NS6detail17trampoline_kernelINS0_14default_configENS1_25partition_config_selectorILNS1_17partition_subalgoE8EiNS0_10empty_typeEbEEZZNS1_14partition_implILS5_8ELb0ES3_jPKiPS6_PKS6_NS0_5tupleIJPiS6_EEENSE_IJSB_SB_EEENS0_18inequality_wrapperIN6hipcub16HIPCUB_304000_NS8EqualityEEEPlJS6_EEE10hipError_tPvRmT3_T4_T5_T6_T7_T9_mT8_P12ihipStream_tbDpT10_ENKUlT_T0_E_clISt17integral_constantIbLb0EES17_EEDaS12_S13_EUlS12_E_NS1_11comp_targetILNS1_3genE0ELNS1_11target_archE4294967295ELNS1_3gpuE0ELNS1_3repE0EEENS1_30default_config_static_selectorELNS0_4arch9wavefront6targetE0EEEvT1_,"axG",@progbits,_ZN7rocprim17ROCPRIM_400000_NS6detail17trampoline_kernelINS0_14default_configENS1_25partition_config_selectorILNS1_17partition_subalgoE8EiNS0_10empty_typeEbEEZZNS1_14partition_implILS5_8ELb0ES3_jPKiPS6_PKS6_NS0_5tupleIJPiS6_EEENSE_IJSB_SB_EEENS0_18inequality_wrapperIN6hipcub16HIPCUB_304000_NS8EqualityEEEPlJS6_EEE10hipError_tPvRmT3_T4_T5_T6_T7_T9_mT8_P12ihipStream_tbDpT10_ENKUlT_T0_E_clISt17integral_constantIbLb0EES17_EEDaS12_S13_EUlS12_E_NS1_11comp_targetILNS1_3genE0ELNS1_11target_archE4294967295ELNS1_3gpuE0ELNS1_3repE0EEENS1_30default_config_static_selectorELNS0_4arch9wavefront6targetE0EEEvT1_,comdat
.Lfunc_end178:
	.size	_ZN7rocprim17ROCPRIM_400000_NS6detail17trampoline_kernelINS0_14default_configENS1_25partition_config_selectorILNS1_17partition_subalgoE8EiNS0_10empty_typeEbEEZZNS1_14partition_implILS5_8ELb0ES3_jPKiPS6_PKS6_NS0_5tupleIJPiS6_EEENSE_IJSB_SB_EEENS0_18inequality_wrapperIN6hipcub16HIPCUB_304000_NS8EqualityEEEPlJS6_EEE10hipError_tPvRmT3_T4_T5_T6_T7_T9_mT8_P12ihipStream_tbDpT10_ENKUlT_T0_E_clISt17integral_constantIbLb0EES17_EEDaS12_S13_EUlS12_E_NS1_11comp_targetILNS1_3genE0ELNS1_11target_archE4294967295ELNS1_3gpuE0ELNS1_3repE0EEENS1_30default_config_static_selectorELNS0_4arch9wavefront6targetE0EEEvT1_, .Lfunc_end178-_ZN7rocprim17ROCPRIM_400000_NS6detail17trampoline_kernelINS0_14default_configENS1_25partition_config_selectorILNS1_17partition_subalgoE8EiNS0_10empty_typeEbEEZZNS1_14partition_implILS5_8ELb0ES3_jPKiPS6_PKS6_NS0_5tupleIJPiS6_EEENSE_IJSB_SB_EEENS0_18inequality_wrapperIN6hipcub16HIPCUB_304000_NS8EqualityEEEPlJS6_EEE10hipError_tPvRmT3_T4_T5_T6_T7_T9_mT8_P12ihipStream_tbDpT10_ENKUlT_T0_E_clISt17integral_constantIbLb0EES17_EEDaS12_S13_EUlS12_E_NS1_11comp_targetILNS1_3genE0ELNS1_11target_archE4294967295ELNS1_3gpuE0ELNS1_3repE0EEENS1_30default_config_static_selectorELNS0_4arch9wavefront6targetE0EEEvT1_
                                        ; -- End function
	.set _ZN7rocprim17ROCPRIM_400000_NS6detail17trampoline_kernelINS0_14default_configENS1_25partition_config_selectorILNS1_17partition_subalgoE8EiNS0_10empty_typeEbEEZZNS1_14partition_implILS5_8ELb0ES3_jPKiPS6_PKS6_NS0_5tupleIJPiS6_EEENSE_IJSB_SB_EEENS0_18inequality_wrapperIN6hipcub16HIPCUB_304000_NS8EqualityEEEPlJS6_EEE10hipError_tPvRmT3_T4_T5_T6_T7_T9_mT8_P12ihipStream_tbDpT10_ENKUlT_T0_E_clISt17integral_constantIbLb0EES17_EEDaS12_S13_EUlS12_E_NS1_11comp_targetILNS1_3genE0ELNS1_11target_archE4294967295ELNS1_3gpuE0ELNS1_3repE0EEENS1_30default_config_static_selectorELNS0_4arch9wavefront6targetE0EEEvT1_.num_vgpr, 58
	.set _ZN7rocprim17ROCPRIM_400000_NS6detail17trampoline_kernelINS0_14default_configENS1_25partition_config_selectorILNS1_17partition_subalgoE8EiNS0_10empty_typeEbEEZZNS1_14partition_implILS5_8ELb0ES3_jPKiPS6_PKS6_NS0_5tupleIJPiS6_EEENSE_IJSB_SB_EEENS0_18inequality_wrapperIN6hipcub16HIPCUB_304000_NS8EqualityEEEPlJS6_EEE10hipError_tPvRmT3_T4_T5_T6_T7_T9_mT8_P12ihipStream_tbDpT10_ENKUlT_T0_E_clISt17integral_constantIbLb0EES17_EEDaS12_S13_EUlS12_E_NS1_11comp_targetILNS1_3genE0ELNS1_11target_archE4294967295ELNS1_3gpuE0ELNS1_3repE0EEENS1_30default_config_static_selectorELNS0_4arch9wavefront6targetE0EEEvT1_.num_agpr, 0
	.set _ZN7rocprim17ROCPRIM_400000_NS6detail17trampoline_kernelINS0_14default_configENS1_25partition_config_selectorILNS1_17partition_subalgoE8EiNS0_10empty_typeEbEEZZNS1_14partition_implILS5_8ELb0ES3_jPKiPS6_PKS6_NS0_5tupleIJPiS6_EEENSE_IJSB_SB_EEENS0_18inequality_wrapperIN6hipcub16HIPCUB_304000_NS8EqualityEEEPlJS6_EEE10hipError_tPvRmT3_T4_T5_T6_T7_T9_mT8_P12ihipStream_tbDpT10_ENKUlT_T0_E_clISt17integral_constantIbLb0EES17_EEDaS12_S13_EUlS12_E_NS1_11comp_targetILNS1_3genE0ELNS1_11target_archE4294967295ELNS1_3gpuE0ELNS1_3repE0EEENS1_30default_config_static_selectorELNS0_4arch9wavefront6targetE0EEEvT1_.numbered_sgpr, 30
	.set _ZN7rocprim17ROCPRIM_400000_NS6detail17trampoline_kernelINS0_14default_configENS1_25partition_config_selectorILNS1_17partition_subalgoE8EiNS0_10empty_typeEbEEZZNS1_14partition_implILS5_8ELb0ES3_jPKiPS6_PKS6_NS0_5tupleIJPiS6_EEENSE_IJSB_SB_EEENS0_18inequality_wrapperIN6hipcub16HIPCUB_304000_NS8EqualityEEEPlJS6_EEE10hipError_tPvRmT3_T4_T5_T6_T7_T9_mT8_P12ihipStream_tbDpT10_ENKUlT_T0_E_clISt17integral_constantIbLb0EES17_EEDaS12_S13_EUlS12_E_NS1_11comp_targetILNS1_3genE0ELNS1_11target_archE4294967295ELNS1_3gpuE0ELNS1_3repE0EEENS1_30default_config_static_selectorELNS0_4arch9wavefront6targetE0EEEvT1_.num_named_barrier, 0
	.set _ZN7rocprim17ROCPRIM_400000_NS6detail17trampoline_kernelINS0_14default_configENS1_25partition_config_selectorILNS1_17partition_subalgoE8EiNS0_10empty_typeEbEEZZNS1_14partition_implILS5_8ELb0ES3_jPKiPS6_PKS6_NS0_5tupleIJPiS6_EEENSE_IJSB_SB_EEENS0_18inequality_wrapperIN6hipcub16HIPCUB_304000_NS8EqualityEEEPlJS6_EEE10hipError_tPvRmT3_T4_T5_T6_T7_T9_mT8_P12ihipStream_tbDpT10_ENKUlT_T0_E_clISt17integral_constantIbLb0EES17_EEDaS12_S13_EUlS12_E_NS1_11comp_targetILNS1_3genE0ELNS1_11target_archE4294967295ELNS1_3gpuE0ELNS1_3repE0EEENS1_30default_config_static_selectorELNS0_4arch9wavefront6targetE0EEEvT1_.private_seg_size, 0
	.set _ZN7rocprim17ROCPRIM_400000_NS6detail17trampoline_kernelINS0_14default_configENS1_25partition_config_selectorILNS1_17partition_subalgoE8EiNS0_10empty_typeEbEEZZNS1_14partition_implILS5_8ELb0ES3_jPKiPS6_PKS6_NS0_5tupleIJPiS6_EEENSE_IJSB_SB_EEENS0_18inequality_wrapperIN6hipcub16HIPCUB_304000_NS8EqualityEEEPlJS6_EEE10hipError_tPvRmT3_T4_T5_T6_T7_T9_mT8_P12ihipStream_tbDpT10_ENKUlT_T0_E_clISt17integral_constantIbLb0EES17_EEDaS12_S13_EUlS12_E_NS1_11comp_targetILNS1_3genE0ELNS1_11target_archE4294967295ELNS1_3gpuE0ELNS1_3repE0EEENS1_30default_config_static_selectorELNS0_4arch9wavefront6targetE0EEEvT1_.uses_vcc, 1
	.set _ZN7rocprim17ROCPRIM_400000_NS6detail17trampoline_kernelINS0_14default_configENS1_25partition_config_selectorILNS1_17partition_subalgoE8EiNS0_10empty_typeEbEEZZNS1_14partition_implILS5_8ELb0ES3_jPKiPS6_PKS6_NS0_5tupleIJPiS6_EEENSE_IJSB_SB_EEENS0_18inequality_wrapperIN6hipcub16HIPCUB_304000_NS8EqualityEEEPlJS6_EEE10hipError_tPvRmT3_T4_T5_T6_T7_T9_mT8_P12ihipStream_tbDpT10_ENKUlT_T0_E_clISt17integral_constantIbLb0EES17_EEDaS12_S13_EUlS12_E_NS1_11comp_targetILNS1_3genE0ELNS1_11target_archE4294967295ELNS1_3gpuE0ELNS1_3repE0EEENS1_30default_config_static_selectorELNS0_4arch9wavefront6targetE0EEEvT1_.uses_flat_scratch, 0
	.set _ZN7rocprim17ROCPRIM_400000_NS6detail17trampoline_kernelINS0_14default_configENS1_25partition_config_selectorILNS1_17partition_subalgoE8EiNS0_10empty_typeEbEEZZNS1_14partition_implILS5_8ELb0ES3_jPKiPS6_PKS6_NS0_5tupleIJPiS6_EEENSE_IJSB_SB_EEENS0_18inequality_wrapperIN6hipcub16HIPCUB_304000_NS8EqualityEEEPlJS6_EEE10hipError_tPvRmT3_T4_T5_T6_T7_T9_mT8_P12ihipStream_tbDpT10_ENKUlT_T0_E_clISt17integral_constantIbLb0EES17_EEDaS12_S13_EUlS12_E_NS1_11comp_targetILNS1_3genE0ELNS1_11target_archE4294967295ELNS1_3gpuE0ELNS1_3repE0EEENS1_30default_config_static_selectorELNS0_4arch9wavefront6targetE0EEEvT1_.has_dyn_sized_stack, 0
	.set _ZN7rocprim17ROCPRIM_400000_NS6detail17trampoline_kernelINS0_14default_configENS1_25partition_config_selectorILNS1_17partition_subalgoE8EiNS0_10empty_typeEbEEZZNS1_14partition_implILS5_8ELb0ES3_jPKiPS6_PKS6_NS0_5tupleIJPiS6_EEENSE_IJSB_SB_EEENS0_18inequality_wrapperIN6hipcub16HIPCUB_304000_NS8EqualityEEEPlJS6_EEE10hipError_tPvRmT3_T4_T5_T6_T7_T9_mT8_P12ihipStream_tbDpT10_ENKUlT_T0_E_clISt17integral_constantIbLb0EES17_EEDaS12_S13_EUlS12_E_NS1_11comp_targetILNS1_3genE0ELNS1_11target_archE4294967295ELNS1_3gpuE0ELNS1_3repE0EEENS1_30default_config_static_selectorELNS0_4arch9wavefront6targetE0EEEvT1_.has_recursion, 0
	.set _ZN7rocprim17ROCPRIM_400000_NS6detail17trampoline_kernelINS0_14default_configENS1_25partition_config_selectorILNS1_17partition_subalgoE8EiNS0_10empty_typeEbEEZZNS1_14partition_implILS5_8ELb0ES3_jPKiPS6_PKS6_NS0_5tupleIJPiS6_EEENSE_IJSB_SB_EEENS0_18inequality_wrapperIN6hipcub16HIPCUB_304000_NS8EqualityEEEPlJS6_EEE10hipError_tPvRmT3_T4_T5_T6_T7_T9_mT8_P12ihipStream_tbDpT10_ENKUlT_T0_E_clISt17integral_constantIbLb0EES17_EEDaS12_S13_EUlS12_E_NS1_11comp_targetILNS1_3genE0ELNS1_11target_archE4294967295ELNS1_3gpuE0ELNS1_3repE0EEENS1_30default_config_static_selectorELNS0_4arch9wavefront6targetE0EEEvT1_.has_indirect_call, 0
	.section	.AMDGPU.csdata,"",@progbits
; Kernel info:
; codeLenInByte = 8676
; TotalNumSgprs: 32
; NumVgprs: 58
; ScratchSize: 0
; MemoryBound: 0
; FloatMode: 240
; IeeeMode: 1
; LDSByteSize: 22536 bytes/workgroup (compile time only)
; SGPRBlocks: 0
; VGPRBlocks: 3
; NumSGPRsForWavesPerEU: 32
; NumVGPRsForWavesPerEU: 58
; NamedBarCnt: 0
; Occupancy: 16
; WaveLimiterHint : 1
; COMPUTE_PGM_RSRC2:SCRATCH_EN: 0
; COMPUTE_PGM_RSRC2:USER_SGPR: 2
; COMPUTE_PGM_RSRC2:TRAP_HANDLER: 0
; COMPUTE_PGM_RSRC2:TGID_X_EN: 1
; COMPUTE_PGM_RSRC2:TGID_Y_EN: 0
; COMPUTE_PGM_RSRC2:TGID_Z_EN: 0
; COMPUTE_PGM_RSRC2:TIDIG_COMP_CNT: 0
	.section	.text._ZN7rocprim17ROCPRIM_400000_NS6detail17trampoline_kernelINS0_14default_configENS1_25partition_config_selectorILNS1_17partition_subalgoE8EiNS0_10empty_typeEbEEZZNS1_14partition_implILS5_8ELb0ES3_jPKiPS6_PKS6_NS0_5tupleIJPiS6_EEENSE_IJSB_SB_EEENS0_18inequality_wrapperIN6hipcub16HIPCUB_304000_NS8EqualityEEEPlJS6_EEE10hipError_tPvRmT3_T4_T5_T6_T7_T9_mT8_P12ihipStream_tbDpT10_ENKUlT_T0_E_clISt17integral_constantIbLb0EES17_EEDaS12_S13_EUlS12_E_NS1_11comp_targetILNS1_3genE5ELNS1_11target_archE942ELNS1_3gpuE9ELNS1_3repE0EEENS1_30default_config_static_selectorELNS0_4arch9wavefront6targetE0EEEvT1_,"axG",@progbits,_ZN7rocprim17ROCPRIM_400000_NS6detail17trampoline_kernelINS0_14default_configENS1_25partition_config_selectorILNS1_17partition_subalgoE8EiNS0_10empty_typeEbEEZZNS1_14partition_implILS5_8ELb0ES3_jPKiPS6_PKS6_NS0_5tupleIJPiS6_EEENSE_IJSB_SB_EEENS0_18inequality_wrapperIN6hipcub16HIPCUB_304000_NS8EqualityEEEPlJS6_EEE10hipError_tPvRmT3_T4_T5_T6_T7_T9_mT8_P12ihipStream_tbDpT10_ENKUlT_T0_E_clISt17integral_constantIbLb0EES17_EEDaS12_S13_EUlS12_E_NS1_11comp_targetILNS1_3genE5ELNS1_11target_archE942ELNS1_3gpuE9ELNS1_3repE0EEENS1_30default_config_static_selectorELNS0_4arch9wavefront6targetE0EEEvT1_,comdat
	.protected	_ZN7rocprim17ROCPRIM_400000_NS6detail17trampoline_kernelINS0_14default_configENS1_25partition_config_selectorILNS1_17partition_subalgoE8EiNS0_10empty_typeEbEEZZNS1_14partition_implILS5_8ELb0ES3_jPKiPS6_PKS6_NS0_5tupleIJPiS6_EEENSE_IJSB_SB_EEENS0_18inequality_wrapperIN6hipcub16HIPCUB_304000_NS8EqualityEEEPlJS6_EEE10hipError_tPvRmT3_T4_T5_T6_T7_T9_mT8_P12ihipStream_tbDpT10_ENKUlT_T0_E_clISt17integral_constantIbLb0EES17_EEDaS12_S13_EUlS12_E_NS1_11comp_targetILNS1_3genE5ELNS1_11target_archE942ELNS1_3gpuE9ELNS1_3repE0EEENS1_30default_config_static_selectorELNS0_4arch9wavefront6targetE0EEEvT1_ ; -- Begin function _ZN7rocprim17ROCPRIM_400000_NS6detail17trampoline_kernelINS0_14default_configENS1_25partition_config_selectorILNS1_17partition_subalgoE8EiNS0_10empty_typeEbEEZZNS1_14partition_implILS5_8ELb0ES3_jPKiPS6_PKS6_NS0_5tupleIJPiS6_EEENSE_IJSB_SB_EEENS0_18inequality_wrapperIN6hipcub16HIPCUB_304000_NS8EqualityEEEPlJS6_EEE10hipError_tPvRmT3_T4_T5_T6_T7_T9_mT8_P12ihipStream_tbDpT10_ENKUlT_T0_E_clISt17integral_constantIbLb0EES17_EEDaS12_S13_EUlS12_E_NS1_11comp_targetILNS1_3genE5ELNS1_11target_archE942ELNS1_3gpuE9ELNS1_3repE0EEENS1_30default_config_static_selectorELNS0_4arch9wavefront6targetE0EEEvT1_
	.globl	_ZN7rocprim17ROCPRIM_400000_NS6detail17trampoline_kernelINS0_14default_configENS1_25partition_config_selectorILNS1_17partition_subalgoE8EiNS0_10empty_typeEbEEZZNS1_14partition_implILS5_8ELb0ES3_jPKiPS6_PKS6_NS0_5tupleIJPiS6_EEENSE_IJSB_SB_EEENS0_18inequality_wrapperIN6hipcub16HIPCUB_304000_NS8EqualityEEEPlJS6_EEE10hipError_tPvRmT3_T4_T5_T6_T7_T9_mT8_P12ihipStream_tbDpT10_ENKUlT_T0_E_clISt17integral_constantIbLb0EES17_EEDaS12_S13_EUlS12_E_NS1_11comp_targetILNS1_3genE5ELNS1_11target_archE942ELNS1_3gpuE9ELNS1_3repE0EEENS1_30default_config_static_selectorELNS0_4arch9wavefront6targetE0EEEvT1_
	.p2align	8
	.type	_ZN7rocprim17ROCPRIM_400000_NS6detail17trampoline_kernelINS0_14default_configENS1_25partition_config_selectorILNS1_17partition_subalgoE8EiNS0_10empty_typeEbEEZZNS1_14partition_implILS5_8ELb0ES3_jPKiPS6_PKS6_NS0_5tupleIJPiS6_EEENSE_IJSB_SB_EEENS0_18inequality_wrapperIN6hipcub16HIPCUB_304000_NS8EqualityEEEPlJS6_EEE10hipError_tPvRmT3_T4_T5_T6_T7_T9_mT8_P12ihipStream_tbDpT10_ENKUlT_T0_E_clISt17integral_constantIbLb0EES17_EEDaS12_S13_EUlS12_E_NS1_11comp_targetILNS1_3genE5ELNS1_11target_archE942ELNS1_3gpuE9ELNS1_3repE0EEENS1_30default_config_static_selectorELNS0_4arch9wavefront6targetE0EEEvT1_,@function
_ZN7rocprim17ROCPRIM_400000_NS6detail17trampoline_kernelINS0_14default_configENS1_25partition_config_selectorILNS1_17partition_subalgoE8EiNS0_10empty_typeEbEEZZNS1_14partition_implILS5_8ELb0ES3_jPKiPS6_PKS6_NS0_5tupleIJPiS6_EEENSE_IJSB_SB_EEENS0_18inequality_wrapperIN6hipcub16HIPCUB_304000_NS8EqualityEEEPlJS6_EEE10hipError_tPvRmT3_T4_T5_T6_T7_T9_mT8_P12ihipStream_tbDpT10_ENKUlT_T0_E_clISt17integral_constantIbLb0EES17_EEDaS12_S13_EUlS12_E_NS1_11comp_targetILNS1_3genE5ELNS1_11target_archE942ELNS1_3gpuE9ELNS1_3repE0EEENS1_30default_config_static_selectorELNS0_4arch9wavefront6targetE0EEEvT1_: ; @_ZN7rocprim17ROCPRIM_400000_NS6detail17trampoline_kernelINS0_14default_configENS1_25partition_config_selectorILNS1_17partition_subalgoE8EiNS0_10empty_typeEbEEZZNS1_14partition_implILS5_8ELb0ES3_jPKiPS6_PKS6_NS0_5tupleIJPiS6_EEENSE_IJSB_SB_EEENS0_18inequality_wrapperIN6hipcub16HIPCUB_304000_NS8EqualityEEEPlJS6_EEE10hipError_tPvRmT3_T4_T5_T6_T7_T9_mT8_P12ihipStream_tbDpT10_ENKUlT_T0_E_clISt17integral_constantIbLb0EES17_EEDaS12_S13_EUlS12_E_NS1_11comp_targetILNS1_3genE5ELNS1_11target_archE942ELNS1_3gpuE9ELNS1_3repE0EEENS1_30default_config_static_selectorELNS0_4arch9wavefront6targetE0EEEvT1_
; %bb.0:
	.section	.rodata,"a",@progbits
	.p2align	6, 0x0
	.amdhsa_kernel _ZN7rocprim17ROCPRIM_400000_NS6detail17trampoline_kernelINS0_14default_configENS1_25partition_config_selectorILNS1_17partition_subalgoE8EiNS0_10empty_typeEbEEZZNS1_14partition_implILS5_8ELb0ES3_jPKiPS6_PKS6_NS0_5tupleIJPiS6_EEENSE_IJSB_SB_EEENS0_18inequality_wrapperIN6hipcub16HIPCUB_304000_NS8EqualityEEEPlJS6_EEE10hipError_tPvRmT3_T4_T5_T6_T7_T9_mT8_P12ihipStream_tbDpT10_ENKUlT_T0_E_clISt17integral_constantIbLb0EES17_EEDaS12_S13_EUlS12_E_NS1_11comp_targetILNS1_3genE5ELNS1_11target_archE942ELNS1_3gpuE9ELNS1_3repE0EEENS1_30default_config_static_selectorELNS0_4arch9wavefront6targetE0EEEvT1_
		.amdhsa_group_segment_fixed_size 0
		.amdhsa_private_segment_fixed_size 0
		.amdhsa_kernarg_size 112
		.amdhsa_user_sgpr_count 2
		.amdhsa_user_sgpr_dispatch_ptr 0
		.amdhsa_user_sgpr_queue_ptr 0
		.amdhsa_user_sgpr_kernarg_segment_ptr 1
		.amdhsa_user_sgpr_dispatch_id 0
		.amdhsa_user_sgpr_kernarg_preload_length 0
		.amdhsa_user_sgpr_kernarg_preload_offset 0
		.amdhsa_user_sgpr_private_segment_size 0
		.amdhsa_wavefront_size32 1
		.amdhsa_uses_dynamic_stack 0
		.amdhsa_enable_private_segment 0
		.amdhsa_system_sgpr_workgroup_id_x 1
		.amdhsa_system_sgpr_workgroup_id_y 0
		.amdhsa_system_sgpr_workgroup_id_z 0
		.amdhsa_system_sgpr_workgroup_info 0
		.amdhsa_system_vgpr_workitem_id 0
		.amdhsa_next_free_vgpr 1
		.amdhsa_next_free_sgpr 1
		.amdhsa_named_barrier_count 0
		.amdhsa_reserve_vcc 0
		.amdhsa_float_round_mode_32 0
		.amdhsa_float_round_mode_16_64 0
		.amdhsa_float_denorm_mode_32 3
		.amdhsa_float_denorm_mode_16_64 3
		.amdhsa_fp16_overflow 0
		.amdhsa_memory_ordered 1
		.amdhsa_forward_progress 1
		.amdhsa_inst_pref_size 0
		.amdhsa_round_robin_scheduling 0
		.amdhsa_exception_fp_ieee_invalid_op 0
		.amdhsa_exception_fp_denorm_src 0
		.amdhsa_exception_fp_ieee_div_zero 0
		.amdhsa_exception_fp_ieee_overflow 0
		.amdhsa_exception_fp_ieee_underflow 0
		.amdhsa_exception_fp_ieee_inexact 0
		.amdhsa_exception_int_div_zero 0
	.end_amdhsa_kernel
	.section	.text._ZN7rocprim17ROCPRIM_400000_NS6detail17trampoline_kernelINS0_14default_configENS1_25partition_config_selectorILNS1_17partition_subalgoE8EiNS0_10empty_typeEbEEZZNS1_14partition_implILS5_8ELb0ES3_jPKiPS6_PKS6_NS0_5tupleIJPiS6_EEENSE_IJSB_SB_EEENS0_18inequality_wrapperIN6hipcub16HIPCUB_304000_NS8EqualityEEEPlJS6_EEE10hipError_tPvRmT3_T4_T5_T6_T7_T9_mT8_P12ihipStream_tbDpT10_ENKUlT_T0_E_clISt17integral_constantIbLb0EES17_EEDaS12_S13_EUlS12_E_NS1_11comp_targetILNS1_3genE5ELNS1_11target_archE942ELNS1_3gpuE9ELNS1_3repE0EEENS1_30default_config_static_selectorELNS0_4arch9wavefront6targetE0EEEvT1_,"axG",@progbits,_ZN7rocprim17ROCPRIM_400000_NS6detail17trampoline_kernelINS0_14default_configENS1_25partition_config_selectorILNS1_17partition_subalgoE8EiNS0_10empty_typeEbEEZZNS1_14partition_implILS5_8ELb0ES3_jPKiPS6_PKS6_NS0_5tupleIJPiS6_EEENSE_IJSB_SB_EEENS0_18inequality_wrapperIN6hipcub16HIPCUB_304000_NS8EqualityEEEPlJS6_EEE10hipError_tPvRmT3_T4_T5_T6_T7_T9_mT8_P12ihipStream_tbDpT10_ENKUlT_T0_E_clISt17integral_constantIbLb0EES17_EEDaS12_S13_EUlS12_E_NS1_11comp_targetILNS1_3genE5ELNS1_11target_archE942ELNS1_3gpuE9ELNS1_3repE0EEENS1_30default_config_static_selectorELNS0_4arch9wavefront6targetE0EEEvT1_,comdat
.Lfunc_end179:
	.size	_ZN7rocprim17ROCPRIM_400000_NS6detail17trampoline_kernelINS0_14default_configENS1_25partition_config_selectorILNS1_17partition_subalgoE8EiNS0_10empty_typeEbEEZZNS1_14partition_implILS5_8ELb0ES3_jPKiPS6_PKS6_NS0_5tupleIJPiS6_EEENSE_IJSB_SB_EEENS0_18inequality_wrapperIN6hipcub16HIPCUB_304000_NS8EqualityEEEPlJS6_EEE10hipError_tPvRmT3_T4_T5_T6_T7_T9_mT8_P12ihipStream_tbDpT10_ENKUlT_T0_E_clISt17integral_constantIbLb0EES17_EEDaS12_S13_EUlS12_E_NS1_11comp_targetILNS1_3genE5ELNS1_11target_archE942ELNS1_3gpuE9ELNS1_3repE0EEENS1_30default_config_static_selectorELNS0_4arch9wavefront6targetE0EEEvT1_, .Lfunc_end179-_ZN7rocprim17ROCPRIM_400000_NS6detail17trampoline_kernelINS0_14default_configENS1_25partition_config_selectorILNS1_17partition_subalgoE8EiNS0_10empty_typeEbEEZZNS1_14partition_implILS5_8ELb0ES3_jPKiPS6_PKS6_NS0_5tupleIJPiS6_EEENSE_IJSB_SB_EEENS0_18inequality_wrapperIN6hipcub16HIPCUB_304000_NS8EqualityEEEPlJS6_EEE10hipError_tPvRmT3_T4_T5_T6_T7_T9_mT8_P12ihipStream_tbDpT10_ENKUlT_T0_E_clISt17integral_constantIbLb0EES17_EEDaS12_S13_EUlS12_E_NS1_11comp_targetILNS1_3genE5ELNS1_11target_archE942ELNS1_3gpuE9ELNS1_3repE0EEENS1_30default_config_static_selectorELNS0_4arch9wavefront6targetE0EEEvT1_
                                        ; -- End function
	.set _ZN7rocprim17ROCPRIM_400000_NS6detail17trampoline_kernelINS0_14default_configENS1_25partition_config_selectorILNS1_17partition_subalgoE8EiNS0_10empty_typeEbEEZZNS1_14partition_implILS5_8ELb0ES3_jPKiPS6_PKS6_NS0_5tupleIJPiS6_EEENSE_IJSB_SB_EEENS0_18inequality_wrapperIN6hipcub16HIPCUB_304000_NS8EqualityEEEPlJS6_EEE10hipError_tPvRmT3_T4_T5_T6_T7_T9_mT8_P12ihipStream_tbDpT10_ENKUlT_T0_E_clISt17integral_constantIbLb0EES17_EEDaS12_S13_EUlS12_E_NS1_11comp_targetILNS1_3genE5ELNS1_11target_archE942ELNS1_3gpuE9ELNS1_3repE0EEENS1_30default_config_static_selectorELNS0_4arch9wavefront6targetE0EEEvT1_.num_vgpr, 0
	.set _ZN7rocprim17ROCPRIM_400000_NS6detail17trampoline_kernelINS0_14default_configENS1_25partition_config_selectorILNS1_17partition_subalgoE8EiNS0_10empty_typeEbEEZZNS1_14partition_implILS5_8ELb0ES3_jPKiPS6_PKS6_NS0_5tupleIJPiS6_EEENSE_IJSB_SB_EEENS0_18inequality_wrapperIN6hipcub16HIPCUB_304000_NS8EqualityEEEPlJS6_EEE10hipError_tPvRmT3_T4_T5_T6_T7_T9_mT8_P12ihipStream_tbDpT10_ENKUlT_T0_E_clISt17integral_constantIbLb0EES17_EEDaS12_S13_EUlS12_E_NS1_11comp_targetILNS1_3genE5ELNS1_11target_archE942ELNS1_3gpuE9ELNS1_3repE0EEENS1_30default_config_static_selectorELNS0_4arch9wavefront6targetE0EEEvT1_.num_agpr, 0
	.set _ZN7rocprim17ROCPRIM_400000_NS6detail17trampoline_kernelINS0_14default_configENS1_25partition_config_selectorILNS1_17partition_subalgoE8EiNS0_10empty_typeEbEEZZNS1_14partition_implILS5_8ELb0ES3_jPKiPS6_PKS6_NS0_5tupleIJPiS6_EEENSE_IJSB_SB_EEENS0_18inequality_wrapperIN6hipcub16HIPCUB_304000_NS8EqualityEEEPlJS6_EEE10hipError_tPvRmT3_T4_T5_T6_T7_T9_mT8_P12ihipStream_tbDpT10_ENKUlT_T0_E_clISt17integral_constantIbLb0EES17_EEDaS12_S13_EUlS12_E_NS1_11comp_targetILNS1_3genE5ELNS1_11target_archE942ELNS1_3gpuE9ELNS1_3repE0EEENS1_30default_config_static_selectorELNS0_4arch9wavefront6targetE0EEEvT1_.numbered_sgpr, 0
	.set _ZN7rocprim17ROCPRIM_400000_NS6detail17trampoline_kernelINS0_14default_configENS1_25partition_config_selectorILNS1_17partition_subalgoE8EiNS0_10empty_typeEbEEZZNS1_14partition_implILS5_8ELb0ES3_jPKiPS6_PKS6_NS0_5tupleIJPiS6_EEENSE_IJSB_SB_EEENS0_18inequality_wrapperIN6hipcub16HIPCUB_304000_NS8EqualityEEEPlJS6_EEE10hipError_tPvRmT3_T4_T5_T6_T7_T9_mT8_P12ihipStream_tbDpT10_ENKUlT_T0_E_clISt17integral_constantIbLb0EES17_EEDaS12_S13_EUlS12_E_NS1_11comp_targetILNS1_3genE5ELNS1_11target_archE942ELNS1_3gpuE9ELNS1_3repE0EEENS1_30default_config_static_selectorELNS0_4arch9wavefront6targetE0EEEvT1_.num_named_barrier, 0
	.set _ZN7rocprim17ROCPRIM_400000_NS6detail17trampoline_kernelINS0_14default_configENS1_25partition_config_selectorILNS1_17partition_subalgoE8EiNS0_10empty_typeEbEEZZNS1_14partition_implILS5_8ELb0ES3_jPKiPS6_PKS6_NS0_5tupleIJPiS6_EEENSE_IJSB_SB_EEENS0_18inequality_wrapperIN6hipcub16HIPCUB_304000_NS8EqualityEEEPlJS6_EEE10hipError_tPvRmT3_T4_T5_T6_T7_T9_mT8_P12ihipStream_tbDpT10_ENKUlT_T0_E_clISt17integral_constantIbLb0EES17_EEDaS12_S13_EUlS12_E_NS1_11comp_targetILNS1_3genE5ELNS1_11target_archE942ELNS1_3gpuE9ELNS1_3repE0EEENS1_30default_config_static_selectorELNS0_4arch9wavefront6targetE0EEEvT1_.private_seg_size, 0
	.set _ZN7rocprim17ROCPRIM_400000_NS6detail17trampoline_kernelINS0_14default_configENS1_25partition_config_selectorILNS1_17partition_subalgoE8EiNS0_10empty_typeEbEEZZNS1_14partition_implILS5_8ELb0ES3_jPKiPS6_PKS6_NS0_5tupleIJPiS6_EEENSE_IJSB_SB_EEENS0_18inequality_wrapperIN6hipcub16HIPCUB_304000_NS8EqualityEEEPlJS6_EEE10hipError_tPvRmT3_T4_T5_T6_T7_T9_mT8_P12ihipStream_tbDpT10_ENKUlT_T0_E_clISt17integral_constantIbLb0EES17_EEDaS12_S13_EUlS12_E_NS1_11comp_targetILNS1_3genE5ELNS1_11target_archE942ELNS1_3gpuE9ELNS1_3repE0EEENS1_30default_config_static_selectorELNS0_4arch9wavefront6targetE0EEEvT1_.uses_vcc, 0
	.set _ZN7rocprim17ROCPRIM_400000_NS6detail17trampoline_kernelINS0_14default_configENS1_25partition_config_selectorILNS1_17partition_subalgoE8EiNS0_10empty_typeEbEEZZNS1_14partition_implILS5_8ELb0ES3_jPKiPS6_PKS6_NS0_5tupleIJPiS6_EEENSE_IJSB_SB_EEENS0_18inequality_wrapperIN6hipcub16HIPCUB_304000_NS8EqualityEEEPlJS6_EEE10hipError_tPvRmT3_T4_T5_T6_T7_T9_mT8_P12ihipStream_tbDpT10_ENKUlT_T0_E_clISt17integral_constantIbLb0EES17_EEDaS12_S13_EUlS12_E_NS1_11comp_targetILNS1_3genE5ELNS1_11target_archE942ELNS1_3gpuE9ELNS1_3repE0EEENS1_30default_config_static_selectorELNS0_4arch9wavefront6targetE0EEEvT1_.uses_flat_scratch, 0
	.set _ZN7rocprim17ROCPRIM_400000_NS6detail17trampoline_kernelINS0_14default_configENS1_25partition_config_selectorILNS1_17partition_subalgoE8EiNS0_10empty_typeEbEEZZNS1_14partition_implILS5_8ELb0ES3_jPKiPS6_PKS6_NS0_5tupleIJPiS6_EEENSE_IJSB_SB_EEENS0_18inequality_wrapperIN6hipcub16HIPCUB_304000_NS8EqualityEEEPlJS6_EEE10hipError_tPvRmT3_T4_T5_T6_T7_T9_mT8_P12ihipStream_tbDpT10_ENKUlT_T0_E_clISt17integral_constantIbLb0EES17_EEDaS12_S13_EUlS12_E_NS1_11comp_targetILNS1_3genE5ELNS1_11target_archE942ELNS1_3gpuE9ELNS1_3repE0EEENS1_30default_config_static_selectorELNS0_4arch9wavefront6targetE0EEEvT1_.has_dyn_sized_stack, 0
	.set _ZN7rocprim17ROCPRIM_400000_NS6detail17trampoline_kernelINS0_14default_configENS1_25partition_config_selectorILNS1_17partition_subalgoE8EiNS0_10empty_typeEbEEZZNS1_14partition_implILS5_8ELb0ES3_jPKiPS6_PKS6_NS0_5tupleIJPiS6_EEENSE_IJSB_SB_EEENS0_18inequality_wrapperIN6hipcub16HIPCUB_304000_NS8EqualityEEEPlJS6_EEE10hipError_tPvRmT3_T4_T5_T6_T7_T9_mT8_P12ihipStream_tbDpT10_ENKUlT_T0_E_clISt17integral_constantIbLb0EES17_EEDaS12_S13_EUlS12_E_NS1_11comp_targetILNS1_3genE5ELNS1_11target_archE942ELNS1_3gpuE9ELNS1_3repE0EEENS1_30default_config_static_selectorELNS0_4arch9wavefront6targetE0EEEvT1_.has_recursion, 0
	.set _ZN7rocprim17ROCPRIM_400000_NS6detail17trampoline_kernelINS0_14default_configENS1_25partition_config_selectorILNS1_17partition_subalgoE8EiNS0_10empty_typeEbEEZZNS1_14partition_implILS5_8ELb0ES3_jPKiPS6_PKS6_NS0_5tupleIJPiS6_EEENSE_IJSB_SB_EEENS0_18inequality_wrapperIN6hipcub16HIPCUB_304000_NS8EqualityEEEPlJS6_EEE10hipError_tPvRmT3_T4_T5_T6_T7_T9_mT8_P12ihipStream_tbDpT10_ENKUlT_T0_E_clISt17integral_constantIbLb0EES17_EEDaS12_S13_EUlS12_E_NS1_11comp_targetILNS1_3genE5ELNS1_11target_archE942ELNS1_3gpuE9ELNS1_3repE0EEENS1_30default_config_static_selectorELNS0_4arch9wavefront6targetE0EEEvT1_.has_indirect_call, 0
	.section	.AMDGPU.csdata,"",@progbits
; Kernel info:
; codeLenInByte = 0
; TotalNumSgprs: 0
; NumVgprs: 0
; ScratchSize: 0
; MemoryBound: 0
; FloatMode: 240
; IeeeMode: 1
; LDSByteSize: 0 bytes/workgroup (compile time only)
; SGPRBlocks: 0
; VGPRBlocks: 0
; NumSGPRsForWavesPerEU: 1
; NumVGPRsForWavesPerEU: 1
; NamedBarCnt: 0
; Occupancy: 16
; WaveLimiterHint : 0
; COMPUTE_PGM_RSRC2:SCRATCH_EN: 0
; COMPUTE_PGM_RSRC2:USER_SGPR: 2
; COMPUTE_PGM_RSRC2:TRAP_HANDLER: 0
; COMPUTE_PGM_RSRC2:TGID_X_EN: 1
; COMPUTE_PGM_RSRC2:TGID_Y_EN: 0
; COMPUTE_PGM_RSRC2:TGID_Z_EN: 0
; COMPUTE_PGM_RSRC2:TIDIG_COMP_CNT: 0
	.section	.text._ZN7rocprim17ROCPRIM_400000_NS6detail17trampoline_kernelINS0_14default_configENS1_25partition_config_selectorILNS1_17partition_subalgoE8EiNS0_10empty_typeEbEEZZNS1_14partition_implILS5_8ELb0ES3_jPKiPS6_PKS6_NS0_5tupleIJPiS6_EEENSE_IJSB_SB_EEENS0_18inequality_wrapperIN6hipcub16HIPCUB_304000_NS8EqualityEEEPlJS6_EEE10hipError_tPvRmT3_T4_T5_T6_T7_T9_mT8_P12ihipStream_tbDpT10_ENKUlT_T0_E_clISt17integral_constantIbLb0EES17_EEDaS12_S13_EUlS12_E_NS1_11comp_targetILNS1_3genE4ELNS1_11target_archE910ELNS1_3gpuE8ELNS1_3repE0EEENS1_30default_config_static_selectorELNS0_4arch9wavefront6targetE0EEEvT1_,"axG",@progbits,_ZN7rocprim17ROCPRIM_400000_NS6detail17trampoline_kernelINS0_14default_configENS1_25partition_config_selectorILNS1_17partition_subalgoE8EiNS0_10empty_typeEbEEZZNS1_14partition_implILS5_8ELb0ES3_jPKiPS6_PKS6_NS0_5tupleIJPiS6_EEENSE_IJSB_SB_EEENS0_18inequality_wrapperIN6hipcub16HIPCUB_304000_NS8EqualityEEEPlJS6_EEE10hipError_tPvRmT3_T4_T5_T6_T7_T9_mT8_P12ihipStream_tbDpT10_ENKUlT_T0_E_clISt17integral_constantIbLb0EES17_EEDaS12_S13_EUlS12_E_NS1_11comp_targetILNS1_3genE4ELNS1_11target_archE910ELNS1_3gpuE8ELNS1_3repE0EEENS1_30default_config_static_selectorELNS0_4arch9wavefront6targetE0EEEvT1_,comdat
	.protected	_ZN7rocprim17ROCPRIM_400000_NS6detail17trampoline_kernelINS0_14default_configENS1_25partition_config_selectorILNS1_17partition_subalgoE8EiNS0_10empty_typeEbEEZZNS1_14partition_implILS5_8ELb0ES3_jPKiPS6_PKS6_NS0_5tupleIJPiS6_EEENSE_IJSB_SB_EEENS0_18inequality_wrapperIN6hipcub16HIPCUB_304000_NS8EqualityEEEPlJS6_EEE10hipError_tPvRmT3_T4_T5_T6_T7_T9_mT8_P12ihipStream_tbDpT10_ENKUlT_T0_E_clISt17integral_constantIbLb0EES17_EEDaS12_S13_EUlS12_E_NS1_11comp_targetILNS1_3genE4ELNS1_11target_archE910ELNS1_3gpuE8ELNS1_3repE0EEENS1_30default_config_static_selectorELNS0_4arch9wavefront6targetE0EEEvT1_ ; -- Begin function _ZN7rocprim17ROCPRIM_400000_NS6detail17trampoline_kernelINS0_14default_configENS1_25partition_config_selectorILNS1_17partition_subalgoE8EiNS0_10empty_typeEbEEZZNS1_14partition_implILS5_8ELb0ES3_jPKiPS6_PKS6_NS0_5tupleIJPiS6_EEENSE_IJSB_SB_EEENS0_18inequality_wrapperIN6hipcub16HIPCUB_304000_NS8EqualityEEEPlJS6_EEE10hipError_tPvRmT3_T4_T5_T6_T7_T9_mT8_P12ihipStream_tbDpT10_ENKUlT_T0_E_clISt17integral_constantIbLb0EES17_EEDaS12_S13_EUlS12_E_NS1_11comp_targetILNS1_3genE4ELNS1_11target_archE910ELNS1_3gpuE8ELNS1_3repE0EEENS1_30default_config_static_selectorELNS0_4arch9wavefront6targetE0EEEvT1_
	.globl	_ZN7rocprim17ROCPRIM_400000_NS6detail17trampoline_kernelINS0_14default_configENS1_25partition_config_selectorILNS1_17partition_subalgoE8EiNS0_10empty_typeEbEEZZNS1_14partition_implILS5_8ELb0ES3_jPKiPS6_PKS6_NS0_5tupleIJPiS6_EEENSE_IJSB_SB_EEENS0_18inequality_wrapperIN6hipcub16HIPCUB_304000_NS8EqualityEEEPlJS6_EEE10hipError_tPvRmT3_T4_T5_T6_T7_T9_mT8_P12ihipStream_tbDpT10_ENKUlT_T0_E_clISt17integral_constantIbLb0EES17_EEDaS12_S13_EUlS12_E_NS1_11comp_targetILNS1_3genE4ELNS1_11target_archE910ELNS1_3gpuE8ELNS1_3repE0EEENS1_30default_config_static_selectorELNS0_4arch9wavefront6targetE0EEEvT1_
	.p2align	8
	.type	_ZN7rocprim17ROCPRIM_400000_NS6detail17trampoline_kernelINS0_14default_configENS1_25partition_config_selectorILNS1_17partition_subalgoE8EiNS0_10empty_typeEbEEZZNS1_14partition_implILS5_8ELb0ES3_jPKiPS6_PKS6_NS0_5tupleIJPiS6_EEENSE_IJSB_SB_EEENS0_18inequality_wrapperIN6hipcub16HIPCUB_304000_NS8EqualityEEEPlJS6_EEE10hipError_tPvRmT3_T4_T5_T6_T7_T9_mT8_P12ihipStream_tbDpT10_ENKUlT_T0_E_clISt17integral_constantIbLb0EES17_EEDaS12_S13_EUlS12_E_NS1_11comp_targetILNS1_3genE4ELNS1_11target_archE910ELNS1_3gpuE8ELNS1_3repE0EEENS1_30default_config_static_selectorELNS0_4arch9wavefront6targetE0EEEvT1_,@function
_ZN7rocprim17ROCPRIM_400000_NS6detail17trampoline_kernelINS0_14default_configENS1_25partition_config_selectorILNS1_17partition_subalgoE8EiNS0_10empty_typeEbEEZZNS1_14partition_implILS5_8ELb0ES3_jPKiPS6_PKS6_NS0_5tupleIJPiS6_EEENSE_IJSB_SB_EEENS0_18inequality_wrapperIN6hipcub16HIPCUB_304000_NS8EqualityEEEPlJS6_EEE10hipError_tPvRmT3_T4_T5_T6_T7_T9_mT8_P12ihipStream_tbDpT10_ENKUlT_T0_E_clISt17integral_constantIbLb0EES17_EEDaS12_S13_EUlS12_E_NS1_11comp_targetILNS1_3genE4ELNS1_11target_archE910ELNS1_3gpuE8ELNS1_3repE0EEENS1_30default_config_static_selectorELNS0_4arch9wavefront6targetE0EEEvT1_: ; @_ZN7rocprim17ROCPRIM_400000_NS6detail17trampoline_kernelINS0_14default_configENS1_25partition_config_selectorILNS1_17partition_subalgoE8EiNS0_10empty_typeEbEEZZNS1_14partition_implILS5_8ELb0ES3_jPKiPS6_PKS6_NS0_5tupleIJPiS6_EEENSE_IJSB_SB_EEENS0_18inequality_wrapperIN6hipcub16HIPCUB_304000_NS8EqualityEEEPlJS6_EEE10hipError_tPvRmT3_T4_T5_T6_T7_T9_mT8_P12ihipStream_tbDpT10_ENKUlT_T0_E_clISt17integral_constantIbLb0EES17_EEDaS12_S13_EUlS12_E_NS1_11comp_targetILNS1_3genE4ELNS1_11target_archE910ELNS1_3gpuE8ELNS1_3repE0EEENS1_30default_config_static_selectorELNS0_4arch9wavefront6targetE0EEEvT1_
; %bb.0:
	.section	.rodata,"a",@progbits
	.p2align	6, 0x0
	.amdhsa_kernel _ZN7rocprim17ROCPRIM_400000_NS6detail17trampoline_kernelINS0_14default_configENS1_25partition_config_selectorILNS1_17partition_subalgoE8EiNS0_10empty_typeEbEEZZNS1_14partition_implILS5_8ELb0ES3_jPKiPS6_PKS6_NS0_5tupleIJPiS6_EEENSE_IJSB_SB_EEENS0_18inequality_wrapperIN6hipcub16HIPCUB_304000_NS8EqualityEEEPlJS6_EEE10hipError_tPvRmT3_T4_T5_T6_T7_T9_mT8_P12ihipStream_tbDpT10_ENKUlT_T0_E_clISt17integral_constantIbLb0EES17_EEDaS12_S13_EUlS12_E_NS1_11comp_targetILNS1_3genE4ELNS1_11target_archE910ELNS1_3gpuE8ELNS1_3repE0EEENS1_30default_config_static_selectorELNS0_4arch9wavefront6targetE0EEEvT1_
		.amdhsa_group_segment_fixed_size 0
		.amdhsa_private_segment_fixed_size 0
		.amdhsa_kernarg_size 112
		.amdhsa_user_sgpr_count 2
		.amdhsa_user_sgpr_dispatch_ptr 0
		.amdhsa_user_sgpr_queue_ptr 0
		.amdhsa_user_sgpr_kernarg_segment_ptr 1
		.amdhsa_user_sgpr_dispatch_id 0
		.amdhsa_user_sgpr_kernarg_preload_length 0
		.amdhsa_user_sgpr_kernarg_preload_offset 0
		.amdhsa_user_sgpr_private_segment_size 0
		.amdhsa_wavefront_size32 1
		.amdhsa_uses_dynamic_stack 0
		.amdhsa_enable_private_segment 0
		.amdhsa_system_sgpr_workgroup_id_x 1
		.amdhsa_system_sgpr_workgroup_id_y 0
		.amdhsa_system_sgpr_workgroup_id_z 0
		.amdhsa_system_sgpr_workgroup_info 0
		.amdhsa_system_vgpr_workitem_id 0
		.amdhsa_next_free_vgpr 1
		.amdhsa_next_free_sgpr 1
		.amdhsa_named_barrier_count 0
		.amdhsa_reserve_vcc 0
		.amdhsa_float_round_mode_32 0
		.amdhsa_float_round_mode_16_64 0
		.amdhsa_float_denorm_mode_32 3
		.amdhsa_float_denorm_mode_16_64 3
		.amdhsa_fp16_overflow 0
		.amdhsa_memory_ordered 1
		.amdhsa_forward_progress 1
		.amdhsa_inst_pref_size 0
		.amdhsa_round_robin_scheduling 0
		.amdhsa_exception_fp_ieee_invalid_op 0
		.amdhsa_exception_fp_denorm_src 0
		.amdhsa_exception_fp_ieee_div_zero 0
		.amdhsa_exception_fp_ieee_overflow 0
		.amdhsa_exception_fp_ieee_underflow 0
		.amdhsa_exception_fp_ieee_inexact 0
		.amdhsa_exception_int_div_zero 0
	.end_amdhsa_kernel
	.section	.text._ZN7rocprim17ROCPRIM_400000_NS6detail17trampoline_kernelINS0_14default_configENS1_25partition_config_selectorILNS1_17partition_subalgoE8EiNS0_10empty_typeEbEEZZNS1_14partition_implILS5_8ELb0ES3_jPKiPS6_PKS6_NS0_5tupleIJPiS6_EEENSE_IJSB_SB_EEENS0_18inequality_wrapperIN6hipcub16HIPCUB_304000_NS8EqualityEEEPlJS6_EEE10hipError_tPvRmT3_T4_T5_T6_T7_T9_mT8_P12ihipStream_tbDpT10_ENKUlT_T0_E_clISt17integral_constantIbLb0EES17_EEDaS12_S13_EUlS12_E_NS1_11comp_targetILNS1_3genE4ELNS1_11target_archE910ELNS1_3gpuE8ELNS1_3repE0EEENS1_30default_config_static_selectorELNS0_4arch9wavefront6targetE0EEEvT1_,"axG",@progbits,_ZN7rocprim17ROCPRIM_400000_NS6detail17trampoline_kernelINS0_14default_configENS1_25partition_config_selectorILNS1_17partition_subalgoE8EiNS0_10empty_typeEbEEZZNS1_14partition_implILS5_8ELb0ES3_jPKiPS6_PKS6_NS0_5tupleIJPiS6_EEENSE_IJSB_SB_EEENS0_18inequality_wrapperIN6hipcub16HIPCUB_304000_NS8EqualityEEEPlJS6_EEE10hipError_tPvRmT3_T4_T5_T6_T7_T9_mT8_P12ihipStream_tbDpT10_ENKUlT_T0_E_clISt17integral_constantIbLb0EES17_EEDaS12_S13_EUlS12_E_NS1_11comp_targetILNS1_3genE4ELNS1_11target_archE910ELNS1_3gpuE8ELNS1_3repE0EEENS1_30default_config_static_selectorELNS0_4arch9wavefront6targetE0EEEvT1_,comdat
.Lfunc_end180:
	.size	_ZN7rocprim17ROCPRIM_400000_NS6detail17trampoline_kernelINS0_14default_configENS1_25partition_config_selectorILNS1_17partition_subalgoE8EiNS0_10empty_typeEbEEZZNS1_14partition_implILS5_8ELb0ES3_jPKiPS6_PKS6_NS0_5tupleIJPiS6_EEENSE_IJSB_SB_EEENS0_18inequality_wrapperIN6hipcub16HIPCUB_304000_NS8EqualityEEEPlJS6_EEE10hipError_tPvRmT3_T4_T5_T6_T7_T9_mT8_P12ihipStream_tbDpT10_ENKUlT_T0_E_clISt17integral_constantIbLb0EES17_EEDaS12_S13_EUlS12_E_NS1_11comp_targetILNS1_3genE4ELNS1_11target_archE910ELNS1_3gpuE8ELNS1_3repE0EEENS1_30default_config_static_selectorELNS0_4arch9wavefront6targetE0EEEvT1_, .Lfunc_end180-_ZN7rocprim17ROCPRIM_400000_NS6detail17trampoline_kernelINS0_14default_configENS1_25partition_config_selectorILNS1_17partition_subalgoE8EiNS0_10empty_typeEbEEZZNS1_14partition_implILS5_8ELb0ES3_jPKiPS6_PKS6_NS0_5tupleIJPiS6_EEENSE_IJSB_SB_EEENS0_18inequality_wrapperIN6hipcub16HIPCUB_304000_NS8EqualityEEEPlJS6_EEE10hipError_tPvRmT3_T4_T5_T6_T7_T9_mT8_P12ihipStream_tbDpT10_ENKUlT_T0_E_clISt17integral_constantIbLb0EES17_EEDaS12_S13_EUlS12_E_NS1_11comp_targetILNS1_3genE4ELNS1_11target_archE910ELNS1_3gpuE8ELNS1_3repE0EEENS1_30default_config_static_selectorELNS0_4arch9wavefront6targetE0EEEvT1_
                                        ; -- End function
	.set _ZN7rocprim17ROCPRIM_400000_NS6detail17trampoline_kernelINS0_14default_configENS1_25partition_config_selectorILNS1_17partition_subalgoE8EiNS0_10empty_typeEbEEZZNS1_14partition_implILS5_8ELb0ES3_jPKiPS6_PKS6_NS0_5tupleIJPiS6_EEENSE_IJSB_SB_EEENS0_18inequality_wrapperIN6hipcub16HIPCUB_304000_NS8EqualityEEEPlJS6_EEE10hipError_tPvRmT3_T4_T5_T6_T7_T9_mT8_P12ihipStream_tbDpT10_ENKUlT_T0_E_clISt17integral_constantIbLb0EES17_EEDaS12_S13_EUlS12_E_NS1_11comp_targetILNS1_3genE4ELNS1_11target_archE910ELNS1_3gpuE8ELNS1_3repE0EEENS1_30default_config_static_selectorELNS0_4arch9wavefront6targetE0EEEvT1_.num_vgpr, 0
	.set _ZN7rocprim17ROCPRIM_400000_NS6detail17trampoline_kernelINS0_14default_configENS1_25partition_config_selectorILNS1_17partition_subalgoE8EiNS0_10empty_typeEbEEZZNS1_14partition_implILS5_8ELb0ES3_jPKiPS6_PKS6_NS0_5tupleIJPiS6_EEENSE_IJSB_SB_EEENS0_18inequality_wrapperIN6hipcub16HIPCUB_304000_NS8EqualityEEEPlJS6_EEE10hipError_tPvRmT3_T4_T5_T6_T7_T9_mT8_P12ihipStream_tbDpT10_ENKUlT_T0_E_clISt17integral_constantIbLb0EES17_EEDaS12_S13_EUlS12_E_NS1_11comp_targetILNS1_3genE4ELNS1_11target_archE910ELNS1_3gpuE8ELNS1_3repE0EEENS1_30default_config_static_selectorELNS0_4arch9wavefront6targetE0EEEvT1_.num_agpr, 0
	.set _ZN7rocprim17ROCPRIM_400000_NS6detail17trampoline_kernelINS0_14default_configENS1_25partition_config_selectorILNS1_17partition_subalgoE8EiNS0_10empty_typeEbEEZZNS1_14partition_implILS5_8ELb0ES3_jPKiPS6_PKS6_NS0_5tupleIJPiS6_EEENSE_IJSB_SB_EEENS0_18inequality_wrapperIN6hipcub16HIPCUB_304000_NS8EqualityEEEPlJS6_EEE10hipError_tPvRmT3_T4_T5_T6_T7_T9_mT8_P12ihipStream_tbDpT10_ENKUlT_T0_E_clISt17integral_constantIbLb0EES17_EEDaS12_S13_EUlS12_E_NS1_11comp_targetILNS1_3genE4ELNS1_11target_archE910ELNS1_3gpuE8ELNS1_3repE0EEENS1_30default_config_static_selectorELNS0_4arch9wavefront6targetE0EEEvT1_.numbered_sgpr, 0
	.set _ZN7rocprim17ROCPRIM_400000_NS6detail17trampoline_kernelINS0_14default_configENS1_25partition_config_selectorILNS1_17partition_subalgoE8EiNS0_10empty_typeEbEEZZNS1_14partition_implILS5_8ELb0ES3_jPKiPS6_PKS6_NS0_5tupleIJPiS6_EEENSE_IJSB_SB_EEENS0_18inequality_wrapperIN6hipcub16HIPCUB_304000_NS8EqualityEEEPlJS6_EEE10hipError_tPvRmT3_T4_T5_T6_T7_T9_mT8_P12ihipStream_tbDpT10_ENKUlT_T0_E_clISt17integral_constantIbLb0EES17_EEDaS12_S13_EUlS12_E_NS1_11comp_targetILNS1_3genE4ELNS1_11target_archE910ELNS1_3gpuE8ELNS1_3repE0EEENS1_30default_config_static_selectorELNS0_4arch9wavefront6targetE0EEEvT1_.num_named_barrier, 0
	.set _ZN7rocprim17ROCPRIM_400000_NS6detail17trampoline_kernelINS0_14default_configENS1_25partition_config_selectorILNS1_17partition_subalgoE8EiNS0_10empty_typeEbEEZZNS1_14partition_implILS5_8ELb0ES3_jPKiPS6_PKS6_NS0_5tupleIJPiS6_EEENSE_IJSB_SB_EEENS0_18inequality_wrapperIN6hipcub16HIPCUB_304000_NS8EqualityEEEPlJS6_EEE10hipError_tPvRmT3_T4_T5_T6_T7_T9_mT8_P12ihipStream_tbDpT10_ENKUlT_T0_E_clISt17integral_constantIbLb0EES17_EEDaS12_S13_EUlS12_E_NS1_11comp_targetILNS1_3genE4ELNS1_11target_archE910ELNS1_3gpuE8ELNS1_3repE0EEENS1_30default_config_static_selectorELNS0_4arch9wavefront6targetE0EEEvT1_.private_seg_size, 0
	.set _ZN7rocprim17ROCPRIM_400000_NS6detail17trampoline_kernelINS0_14default_configENS1_25partition_config_selectorILNS1_17partition_subalgoE8EiNS0_10empty_typeEbEEZZNS1_14partition_implILS5_8ELb0ES3_jPKiPS6_PKS6_NS0_5tupleIJPiS6_EEENSE_IJSB_SB_EEENS0_18inequality_wrapperIN6hipcub16HIPCUB_304000_NS8EqualityEEEPlJS6_EEE10hipError_tPvRmT3_T4_T5_T6_T7_T9_mT8_P12ihipStream_tbDpT10_ENKUlT_T0_E_clISt17integral_constantIbLb0EES17_EEDaS12_S13_EUlS12_E_NS1_11comp_targetILNS1_3genE4ELNS1_11target_archE910ELNS1_3gpuE8ELNS1_3repE0EEENS1_30default_config_static_selectorELNS0_4arch9wavefront6targetE0EEEvT1_.uses_vcc, 0
	.set _ZN7rocprim17ROCPRIM_400000_NS6detail17trampoline_kernelINS0_14default_configENS1_25partition_config_selectorILNS1_17partition_subalgoE8EiNS0_10empty_typeEbEEZZNS1_14partition_implILS5_8ELb0ES3_jPKiPS6_PKS6_NS0_5tupleIJPiS6_EEENSE_IJSB_SB_EEENS0_18inequality_wrapperIN6hipcub16HIPCUB_304000_NS8EqualityEEEPlJS6_EEE10hipError_tPvRmT3_T4_T5_T6_T7_T9_mT8_P12ihipStream_tbDpT10_ENKUlT_T0_E_clISt17integral_constantIbLb0EES17_EEDaS12_S13_EUlS12_E_NS1_11comp_targetILNS1_3genE4ELNS1_11target_archE910ELNS1_3gpuE8ELNS1_3repE0EEENS1_30default_config_static_selectorELNS0_4arch9wavefront6targetE0EEEvT1_.uses_flat_scratch, 0
	.set _ZN7rocprim17ROCPRIM_400000_NS6detail17trampoline_kernelINS0_14default_configENS1_25partition_config_selectorILNS1_17partition_subalgoE8EiNS0_10empty_typeEbEEZZNS1_14partition_implILS5_8ELb0ES3_jPKiPS6_PKS6_NS0_5tupleIJPiS6_EEENSE_IJSB_SB_EEENS0_18inequality_wrapperIN6hipcub16HIPCUB_304000_NS8EqualityEEEPlJS6_EEE10hipError_tPvRmT3_T4_T5_T6_T7_T9_mT8_P12ihipStream_tbDpT10_ENKUlT_T0_E_clISt17integral_constantIbLb0EES17_EEDaS12_S13_EUlS12_E_NS1_11comp_targetILNS1_3genE4ELNS1_11target_archE910ELNS1_3gpuE8ELNS1_3repE0EEENS1_30default_config_static_selectorELNS0_4arch9wavefront6targetE0EEEvT1_.has_dyn_sized_stack, 0
	.set _ZN7rocprim17ROCPRIM_400000_NS6detail17trampoline_kernelINS0_14default_configENS1_25partition_config_selectorILNS1_17partition_subalgoE8EiNS0_10empty_typeEbEEZZNS1_14partition_implILS5_8ELb0ES3_jPKiPS6_PKS6_NS0_5tupleIJPiS6_EEENSE_IJSB_SB_EEENS0_18inequality_wrapperIN6hipcub16HIPCUB_304000_NS8EqualityEEEPlJS6_EEE10hipError_tPvRmT3_T4_T5_T6_T7_T9_mT8_P12ihipStream_tbDpT10_ENKUlT_T0_E_clISt17integral_constantIbLb0EES17_EEDaS12_S13_EUlS12_E_NS1_11comp_targetILNS1_3genE4ELNS1_11target_archE910ELNS1_3gpuE8ELNS1_3repE0EEENS1_30default_config_static_selectorELNS0_4arch9wavefront6targetE0EEEvT1_.has_recursion, 0
	.set _ZN7rocprim17ROCPRIM_400000_NS6detail17trampoline_kernelINS0_14default_configENS1_25partition_config_selectorILNS1_17partition_subalgoE8EiNS0_10empty_typeEbEEZZNS1_14partition_implILS5_8ELb0ES3_jPKiPS6_PKS6_NS0_5tupleIJPiS6_EEENSE_IJSB_SB_EEENS0_18inequality_wrapperIN6hipcub16HIPCUB_304000_NS8EqualityEEEPlJS6_EEE10hipError_tPvRmT3_T4_T5_T6_T7_T9_mT8_P12ihipStream_tbDpT10_ENKUlT_T0_E_clISt17integral_constantIbLb0EES17_EEDaS12_S13_EUlS12_E_NS1_11comp_targetILNS1_3genE4ELNS1_11target_archE910ELNS1_3gpuE8ELNS1_3repE0EEENS1_30default_config_static_selectorELNS0_4arch9wavefront6targetE0EEEvT1_.has_indirect_call, 0
	.section	.AMDGPU.csdata,"",@progbits
; Kernel info:
; codeLenInByte = 0
; TotalNumSgprs: 0
; NumVgprs: 0
; ScratchSize: 0
; MemoryBound: 0
; FloatMode: 240
; IeeeMode: 1
; LDSByteSize: 0 bytes/workgroup (compile time only)
; SGPRBlocks: 0
; VGPRBlocks: 0
; NumSGPRsForWavesPerEU: 1
; NumVGPRsForWavesPerEU: 1
; NamedBarCnt: 0
; Occupancy: 16
; WaveLimiterHint : 0
; COMPUTE_PGM_RSRC2:SCRATCH_EN: 0
; COMPUTE_PGM_RSRC2:USER_SGPR: 2
; COMPUTE_PGM_RSRC2:TRAP_HANDLER: 0
; COMPUTE_PGM_RSRC2:TGID_X_EN: 1
; COMPUTE_PGM_RSRC2:TGID_Y_EN: 0
; COMPUTE_PGM_RSRC2:TGID_Z_EN: 0
; COMPUTE_PGM_RSRC2:TIDIG_COMP_CNT: 0
	.section	.text._ZN7rocprim17ROCPRIM_400000_NS6detail17trampoline_kernelINS0_14default_configENS1_25partition_config_selectorILNS1_17partition_subalgoE8EiNS0_10empty_typeEbEEZZNS1_14partition_implILS5_8ELb0ES3_jPKiPS6_PKS6_NS0_5tupleIJPiS6_EEENSE_IJSB_SB_EEENS0_18inequality_wrapperIN6hipcub16HIPCUB_304000_NS8EqualityEEEPlJS6_EEE10hipError_tPvRmT3_T4_T5_T6_T7_T9_mT8_P12ihipStream_tbDpT10_ENKUlT_T0_E_clISt17integral_constantIbLb0EES17_EEDaS12_S13_EUlS12_E_NS1_11comp_targetILNS1_3genE3ELNS1_11target_archE908ELNS1_3gpuE7ELNS1_3repE0EEENS1_30default_config_static_selectorELNS0_4arch9wavefront6targetE0EEEvT1_,"axG",@progbits,_ZN7rocprim17ROCPRIM_400000_NS6detail17trampoline_kernelINS0_14default_configENS1_25partition_config_selectorILNS1_17partition_subalgoE8EiNS0_10empty_typeEbEEZZNS1_14partition_implILS5_8ELb0ES3_jPKiPS6_PKS6_NS0_5tupleIJPiS6_EEENSE_IJSB_SB_EEENS0_18inequality_wrapperIN6hipcub16HIPCUB_304000_NS8EqualityEEEPlJS6_EEE10hipError_tPvRmT3_T4_T5_T6_T7_T9_mT8_P12ihipStream_tbDpT10_ENKUlT_T0_E_clISt17integral_constantIbLb0EES17_EEDaS12_S13_EUlS12_E_NS1_11comp_targetILNS1_3genE3ELNS1_11target_archE908ELNS1_3gpuE7ELNS1_3repE0EEENS1_30default_config_static_selectorELNS0_4arch9wavefront6targetE0EEEvT1_,comdat
	.protected	_ZN7rocprim17ROCPRIM_400000_NS6detail17trampoline_kernelINS0_14default_configENS1_25partition_config_selectorILNS1_17partition_subalgoE8EiNS0_10empty_typeEbEEZZNS1_14partition_implILS5_8ELb0ES3_jPKiPS6_PKS6_NS0_5tupleIJPiS6_EEENSE_IJSB_SB_EEENS0_18inequality_wrapperIN6hipcub16HIPCUB_304000_NS8EqualityEEEPlJS6_EEE10hipError_tPvRmT3_T4_T5_T6_T7_T9_mT8_P12ihipStream_tbDpT10_ENKUlT_T0_E_clISt17integral_constantIbLb0EES17_EEDaS12_S13_EUlS12_E_NS1_11comp_targetILNS1_3genE3ELNS1_11target_archE908ELNS1_3gpuE7ELNS1_3repE0EEENS1_30default_config_static_selectorELNS0_4arch9wavefront6targetE0EEEvT1_ ; -- Begin function _ZN7rocprim17ROCPRIM_400000_NS6detail17trampoline_kernelINS0_14default_configENS1_25partition_config_selectorILNS1_17partition_subalgoE8EiNS0_10empty_typeEbEEZZNS1_14partition_implILS5_8ELb0ES3_jPKiPS6_PKS6_NS0_5tupleIJPiS6_EEENSE_IJSB_SB_EEENS0_18inequality_wrapperIN6hipcub16HIPCUB_304000_NS8EqualityEEEPlJS6_EEE10hipError_tPvRmT3_T4_T5_T6_T7_T9_mT8_P12ihipStream_tbDpT10_ENKUlT_T0_E_clISt17integral_constantIbLb0EES17_EEDaS12_S13_EUlS12_E_NS1_11comp_targetILNS1_3genE3ELNS1_11target_archE908ELNS1_3gpuE7ELNS1_3repE0EEENS1_30default_config_static_selectorELNS0_4arch9wavefront6targetE0EEEvT1_
	.globl	_ZN7rocprim17ROCPRIM_400000_NS6detail17trampoline_kernelINS0_14default_configENS1_25partition_config_selectorILNS1_17partition_subalgoE8EiNS0_10empty_typeEbEEZZNS1_14partition_implILS5_8ELb0ES3_jPKiPS6_PKS6_NS0_5tupleIJPiS6_EEENSE_IJSB_SB_EEENS0_18inequality_wrapperIN6hipcub16HIPCUB_304000_NS8EqualityEEEPlJS6_EEE10hipError_tPvRmT3_T4_T5_T6_T7_T9_mT8_P12ihipStream_tbDpT10_ENKUlT_T0_E_clISt17integral_constantIbLb0EES17_EEDaS12_S13_EUlS12_E_NS1_11comp_targetILNS1_3genE3ELNS1_11target_archE908ELNS1_3gpuE7ELNS1_3repE0EEENS1_30default_config_static_selectorELNS0_4arch9wavefront6targetE0EEEvT1_
	.p2align	8
	.type	_ZN7rocprim17ROCPRIM_400000_NS6detail17trampoline_kernelINS0_14default_configENS1_25partition_config_selectorILNS1_17partition_subalgoE8EiNS0_10empty_typeEbEEZZNS1_14partition_implILS5_8ELb0ES3_jPKiPS6_PKS6_NS0_5tupleIJPiS6_EEENSE_IJSB_SB_EEENS0_18inequality_wrapperIN6hipcub16HIPCUB_304000_NS8EqualityEEEPlJS6_EEE10hipError_tPvRmT3_T4_T5_T6_T7_T9_mT8_P12ihipStream_tbDpT10_ENKUlT_T0_E_clISt17integral_constantIbLb0EES17_EEDaS12_S13_EUlS12_E_NS1_11comp_targetILNS1_3genE3ELNS1_11target_archE908ELNS1_3gpuE7ELNS1_3repE0EEENS1_30default_config_static_selectorELNS0_4arch9wavefront6targetE0EEEvT1_,@function
_ZN7rocprim17ROCPRIM_400000_NS6detail17trampoline_kernelINS0_14default_configENS1_25partition_config_selectorILNS1_17partition_subalgoE8EiNS0_10empty_typeEbEEZZNS1_14partition_implILS5_8ELb0ES3_jPKiPS6_PKS6_NS0_5tupleIJPiS6_EEENSE_IJSB_SB_EEENS0_18inequality_wrapperIN6hipcub16HIPCUB_304000_NS8EqualityEEEPlJS6_EEE10hipError_tPvRmT3_T4_T5_T6_T7_T9_mT8_P12ihipStream_tbDpT10_ENKUlT_T0_E_clISt17integral_constantIbLb0EES17_EEDaS12_S13_EUlS12_E_NS1_11comp_targetILNS1_3genE3ELNS1_11target_archE908ELNS1_3gpuE7ELNS1_3repE0EEENS1_30default_config_static_selectorELNS0_4arch9wavefront6targetE0EEEvT1_: ; @_ZN7rocprim17ROCPRIM_400000_NS6detail17trampoline_kernelINS0_14default_configENS1_25partition_config_selectorILNS1_17partition_subalgoE8EiNS0_10empty_typeEbEEZZNS1_14partition_implILS5_8ELb0ES3_jPKiPS6_PKS6_NS0_5tupleIJPiS6_EEENSE_IJSB_SB_EEENS0_18inequality_wrapperIN6hipcub16HIPCUB_304000_NS8EqualityEEEPlJS6_EEE10hipError_tPvRmT3_T4_T5_T6_T7_T9_mT8_P12ihipStream_tbDpT10_ENKUlT_T0_E_clISt17integral_constantIbLb0EES17_EEDaS12_S13_EUlS12_E_NS1_11comp_targetILNS1_3genE3ELNS1_11target_archE908ELNS1_3gpuE7ELNS1_3repE0EEENS1_30default_config_static_selectorELNS0_4arch9wavefront6targetE0EEEvT1_
; %bb.0:
	.section	.rodata,"a",@progbits
	.p2align	6, 0x0
	.amdhsa_kernel _ZN7rocprim17ROCPRIM_400000_NS6detail17trampoline_kernelINS0_14default_configENS1_25partition_config_selectorILNS1_17partition_subalgoE8EiNS0_10empty_typeEbEEZZNS1_14partition_implILS5_8ELb0ES3_jPKiPS6_PKS6_NS0_5tupleIJPiS6_EEENSE_IJSB_SB_EEENS0_18inequality_wrapperIN6hipcub16HIPCUB_304000_NS8EqualityEEEPlJS6_EEE10hipError_tPvRmT3_T4_T5_T6_T7_T9_mT8_P12ihipStream_tbDpT10_ENKUlT_T0_E_clISt17integral_constantIbLb0EES17_EEDaS12_S13_EUlS12_E_NS1_11comp_targetILNS1_3genE3ELNS1_11target_archE908ELNS1_3gpuE7ELNS1_3repE0EEENS1_30default_config_static_selectorELNS0_4arch9wavefront6targetE0EEEvT1_
		.amdhsa_group_segment_fixed_size 0
		.amdhsa_private_segment_fixed_size 0
		.amdhsa_kernarg_size 112
		.amdhsa_user_sgpr_count 2
		.amdhsa_user_sgpr_dispatch_ptr 0
		.amdhsa_user_sgpr_queue_ptr 0
		.amdhsa_user_sgpr_kernarg_segment_ptr 1
		.amdhsa_user_sgpr_dispatch_id 0
		.amdhsa_user_sgpr_kernarg_preload_length 0
		.amdhsa_user_sgpr_kernarg_preload_offset 0
		.amdhsa_user_sgpr_private_segment_size 0
		.amdhsa_wavefront_size32 1
		.amdhsa_uses_dynamic_stack 0
		.amdhsa_enable_private_segment 0
		.amdhsa_system_sgpr_workgroup_id_x 1
		.amdhsa_system_sgpr_workgroup_id_y 0
		.amdhsa_system_sgpr_workgroup_id_z 0
		.amdhsa_system_sgpr_workgroup_info 0
		.amdhsa_system_vgpr_workitem_id 0
		.amdhsa_next_free_vgpr 1
		.amdhsa_next_free_sgpr 1
		.amdhsa_named_barrier_count 0
		.amdhsa_reserve_vcc 0
		.amdhsa_float_round_mode_32 0
		.amdhsa_float_round_mode_16_64 0
		.amdhsa_float_denorm_mode_32 3
		.amdhsa_float_denorm_mode_16_64 3
		.amdhsa_fp16_overflow 0
		.amdhsa_memory_ordered 1
		.amdhsa_forward_progress 1
		.amdhsa_inst_pref_size 0
		.amdhsa_round_robin_scheduling 0
		.amdhsa_exception_fp_ieee_invalid_op 0
		.amdhsa_exception_fp_denorm_src 0
		.amdhsa_exception_fp_ieee_div_zero 0
		.amdhsa_exception_fp_ieee_overflow 0
		.amdhsa_exception_fp_ieee_underflow 0
		.amdhsa_exception_fp_ieee_inexact 0
		.amdhsa_exception_int_div_zero 0
	.end_amdhsa_kernel
	.section	.text._ZN7rocprim17ROCPRIM_400000_NS6detail17trampoline_kernelINS0_14default_configENS1_25partition_config_selectorILNS1_17partition_subalgoE8EiNS0_10empty_typeEbEEZZNS1_14partition_implILS5_8ELb0ES3_jPKiPS6_PKS6_NS0_5tupleIJPiS6_EEENSE_IJSB_SB_EEENS0_18inequality_wrapperIN6hipcub16HIPCUB_304000_NS8EqualityEEEPlJS6_EEE10hipError_tPvRmT3_T4_T5_T6_T7_T9_mT8_P12ihipStream_tbDpT10_ENKUlT_T0_E_clISt17integral_constantIbLb0EES17_EEDaS12_S13_EUlS12_E_NS1_11comp_targetILNS1_3genE3ELNS1_11target_archE908ELNS1_3gpuE7ELNS1_3repE0EEENS1_30default_config_static_selectorELNS0_4arch9wavefront6targetE0EEEvT1_,"axG",@progbits,_ZN7rocprim17ROCPRIM_400000_NS6detail17trampoline_kernelINS0_14default_configENS1_25partition_config_selectorILNS1_17partition_subalgoE8EiNS0_10empty_typeEbEEZZNS1_14partition_implILS5_8ELb0ES3_jPKiPS6_PKS6_NS0_5tupleIJPiS6_EEENSE_IJSB_SB_EEENS0_18inequality_wrapperIN6hipcub16HIPCUB_304000_NS8EqualityEEEPlJS6_EEE10hipError_tPvRmT3_T4_T5_T6_T7_T9_mT8_P12ihipStream_tbDpT10_ENKUlT_T0_E_clISt17integral_constantIbLb0EES17_EEDaS12_S13_EUlS12_E_NS1_11comp_targetILNS1_3genE3ELNS1_11target_archE908ELNS1_3gpuE7ELNS1_3repE0EEENS1_30default_config_static_selectorELNS0_4arch9wavefront6targetE0EEEvT1_,comdat
.Lfunc_end181:
	.size	_ZN7rocprim17ROCPRIM_400000_NS6detail17trampoline_kernelINS0_14default_configENS1_25partition_config_selectorILNS1_17partition_subalgoE8EiNS0_10empty_typeEbEEZZNS1_14partition_implILS5_8ELb0ES3_jPKiPS6_PKS6_NS0_5tupleIJPiS6_EEENSE_IJSB_SB_EEENS0_18inequality_wrapperIN6hipcub16HIPCUB_304000_NS8EqualityEEEPlJS6_EEE10hipError_tPvRmT3_T4_T5_T6_T7_T9_mT8_P12ihipStream_tbDpT10_ENKUlT_T0_E_clISt17integral_constantIbLb0EES17_EEDaS12_S13_EUlS12_E_NS1_11comp_targetILNS1_3genE3ELNS1_11target_archE908ELNS1_3gpuE7ELNS1_3repE0EEENS1_30default_config_static_selectorELNS0_4arch9wavefront6targetE0EEEvT1_, .Lfunc_end181-_ZN7rocprim17ROCPRIM_400000_NS6detail17trampoline_kernelINS0_14default_configENS1_25partition_config_selectorILNS1_17partition_subalgoE8EiNS0_10empty_typeEbEEZZNS1_14partition_implILS5_8ELb0ES3_jPKiPS6_PKS6_NS0_5tupleIJPiS6_EEENSE_IJSB_SB_EEENS0_18inequality_wrapperIN6hipcub16HIPCUB_304000_NS8EqualityEEEPlJS6_EEE10hipError_tPvRmT3_T4_T5_T6_T7_T9_mT8_P12ihipStream_tbDpT10_ENKUlT_T0_E_clISt17integral_constantIbLb0EES17_EEDaS12_S13_EUlS12_E_NS1_11comp_targetILNS1_3genE3ELNS1_11target_archE908ELNS1_3gpuE7ELNS1_3repE0EEENS1_30default_config_static_selectorELNS0_4arch9wavefront6targetE0EEEvT1_
                                        ; -- End function
	.set _ZN7rocprim17ROCPRIM_400000_NS6detail17trampoline_kernelINS0_14default_configENS1_25partition_config_selectorILNS1_17partition_subalgoE8EiNS0_10empty_typeEbEEZZNS1_14partition_implILS5_8ELb0ES3_jPKiPS6_PKS6_NS0_5tupleIJPiS6_EEENSE_IJSB_SB_EEENS0_18inequality_wrapperIN6hipcub16HIPCUB_304000_NS8EqualityEEEPlJS6_EEE10hipError_tPvRmT3_T4_T5_T6_T7_T9_mT8_P12ihipStream_tbDpT10_ENKUlT_T0_E_clISt17integral_constantIbLb0EES17_EEDaS12_S13_EUlS12_E_NS1_11comp_targetILNS1_3genE3ELNS1_11target_archE908ELNS1_3gpuE7ELNS1_3repE0EEENS1_30default_config_static_selectorELNS0_4arch9wavefront6targetE0EEEvT1_.num_vgpr, 0
	.set _ZN7rocprim17ROCPRIM_400000_NS6detail17trampoline_kernelINS0_14default_configENS1_25partition_config_selectorILNS1_17partition_subalgoE8EiNS0_10empty_typeEbEEZZNS1_14partition_implILS5_8ELb0ES3_jPKiPS6_PKS6_NS0_5tupleIJPiS6_EEENSE_IJSB_SB_EEENS0_18inequality_wrapperIN6hipcub16HIPCUB_304000_NS8EqualityEEEPlJS6_EEE10hipError_tPvRmT3_T4_T5_T6_T7_T9_mT8_P12ihipStream_tbDpT10_ENKUlT_T0_E_clISt17integral_constantIbLb0EES17_EEDaS12_S13_EUlS12_E_NS1_11comp_targetILNS1_3genE3ELNS1_11target_archE908ELNS1_3gpuE7ELNS1_3repE0EEENS1_30default_config_static_selectorELNS0_4arch9wavefront6targetE0EEEvT1_.num_agpr, 0
	.set _ZN7rocprim17ROCPRIM_400000_NS6detail17trampoline_kernelINS0_14default_configENS1_25partition_config_selectorILNS1_17partition_subalgoE8EiNS0_10empty_typeEbEEZZNS1_14partition_implILS5_8ELb0ES3_jPKiPS6_PKS6_NS0_5tupleIJPiS6_EEENSE_IJSB_SB_EEENS0_18inequality_wrapperIN6hipcub16HIPCUB_304000_NS8EqualityEEEPlJS6_EEE10hipError_tPvRmT3_T4_T5_T6_T7_T9_mT8_P12ihipStream_tbDpT10_ENKUlT_T0_E_clISt17integral_constantIbLb0EES17_EEDaS12_S13_EUlS12_E_NS1_11comp_targetILNS1_3genE3ELNS1_11target_archE908ELNS1_3gpuE7ELNS1_3repE0EEENS1_30default_config_static_selectorELNS0_4arch9wavefront6targetE0EEEvT1_.numbered_sgpr, 0
	.set _ZN7rocprim17ROCPRIM_400000_NS6detail17trampoline_kernelINS0_14default_configENS1_25partition_config_selectorILNS1_17partition_subalgoE8EiNS0_10empty_typeEbEEZZNS1_14partition_implILS5_8ELb0ES3_jPKiPS6_PKS6_NS0_5tupleIJPiS6_EEENSE_IJSB_SB_EEENS0_18inequality_wrapperIN6hipcub16HIPCUB_304000_NS8EqualityEEEPlJS6_EEE10hipError_tPvRmT3_T4_T5_T6_T7_T9_mT8_P12ihipStream_tbDpT10_ENKUlT_T0_E_clISt17integral_constantIbLb0EES17_EEDaS12_S13_EUlS12_E_NS1_11comp_targetILNS1_3genE3ELNS1_11target_archE908ELNS1_3gpuE7ELNS1_3repE0EEENS1_30default_config_static_selectorELNS0_4arch9wavefront6targetE0EEEvT1_.num_named_barrier, 0
	.set _ZN7rocprim17ROCPRIM_400000_NS6detail17trampoline_kernelINS0_14default_configENS1_25partition_config_selectorILNS1_17partition_subalgoE8EiNS0_10empty_typeEbEEZZNS1_14partition_implILS5_8ELb0ES3_jPKiPS6_PKS6_NS0_5tupleIJPiS6_EEENSE_IJSB_SB_EEENS0_18inequality_wrapperIN6hipcub16HIPCUB_304000_NS8EqualityEEEPlJS6_EEE10hipError_tPvRmT3_T4_T5_T6_T7_T9_mT8_P12ihipStream_tbDpT10_ENKUlT_T0_E_clISt17integral_constantIbLb0EES17_EEDaS12_S13_EUlS12_E_NS1_11comp_targetILNS1_3genE3ELNS1_11target_archE908ELNS1_3gpuE7ELNS1_3repE0EEENS1_30default_config_static_selectorELNS0_4arch9wavefront6targetE0EEEvT1_.private_seg_size, 0
	.set _ZN7rocprim17ROCPRIM_400000_NS6detail17trampoline_kernelINS0_14default_configENS1_25partition_config_selectorILNS1_17partition_subalgoE8EiNS0_10empty_typeEbEEZZNS1_14partition_implILS5_8ELb0ES3_jPKiPS6_PKS6_NS0_5tupleIJPiS6_EEENSE_IJSB_SB_EEENS0_18inequality_wrapperIN6hipcub16HIPCUB_304000_NS8EqualityEEEPlJS6_EEE10hipError_tPvRmT3_T4_T5_T6_T7_T9_mT8_P12ihipStream_tbDpT10_ENKUlT_T0_E_clISt17integral_constantIbLb0EES17_EEDaS12_S13_EUlS12_E_NS1_11comp_targetILNS1_3genE3ELNS1_11target_archE908ELNS1_3gpuE7ELNS1_3repE0EEENS1_30default_config_static_selectorELNS0_4arch9wavefront6targetE0EEEvT1_.uses_vcc, 0
	.set _ZN7rocprim17ROCPRIM_400000_NS6detail17trampoline_kernelINS0_14default_configENS1_25partition_config_selectorILNS1_17partition_subalgoE8EiNS0_10empty_typeEbEEZZNS1_14partition_implILS5_8ELb0ES3_jPKiPS6_PKS6_NS0_5tupleIJPiS6_EEENSE_IJSB_SB_EEENS0_18inequality_wrapperIN6hipcub16HIPCUB_304000_NS8EqualityEEEPlJS6_EEE10hipError_tPvRmT3_T4_T5_T6_T7_T9_mT8_P12ihipStream_tbDpT10_ENKUlT_T0_E_clISt17integral_constantIbLb0EES17_EEDaS12_S13_EUlS12_E_NS1_11comp_targetILNS1_3genE3ELNS1_11target_archE908ELNS1_3gpuE7ELNS1_3repE0EEENS1_30default_config_static_selectorELNS0_4arch9wavefront6targetE0EEEvT1_.uses_flat_scratch, 0
	.set _ZN7rocprim17ROCPRIM_400000_NS6detail17trampoline_kernelINS0_14default_configENS1_25partition_config_selectorILNS1_17partition_subalgoE8EiNS0_10empty_typeEbEEZZNS1_14partition_implILS5_8ELb0ES3_jPKiPS6_PKS6_NS0_5tupleIJPiS6_EEENSE_IJSB_SB_EEENS0_18inequality_wrapperIN6hipcub16HIPCUB_304000_NS8EqualityEEEPlJS6_EEE10hipError_tPvRmT3_T4_T5_T6_T7_T9_mT8_P12ihipStream_tbDpT10_ENKUlT_T0_E_clISt17integral_constantIbLb0EES17_EEDaS12_S13_EUlS12_E_NS1_11comp_targetILNS1_3genE3ELNS1_11target_archE908ELNS1_3gpuE7ELNS1_3repE0EEENS1_30default_config_static_selectorELNS0_4arch9wavefront6targetE0EEEvT1_.has_dyn_sized_stack, 0
	.set _ZN7rocprim17ROCPRIM_400000_NS6detail17trampoline_kernelINS0_14default_configENS1_25partition_config_selectorILNS1_17partition_subalgoE8EiNS0_10empty_typeEbEEZZNS1_14partition_implILS5_8ELb0ES3_jPKiPS6_PKS6_NS0_5tupleIJPiS6_EEENSE_IJSB_SB_EEENS0_18inequality_wrapperIN6hipcub16HIPCUB_304000_NS8EqualityEEEPlJS6_EEE10hipError_tPvRmT3_T4_T5_T6_T7_T9_mT8_P12ihipStream_tbDpT10_ENKUlT_T0_E_clISt17integral_constantIbLb0EES17_EEDaS12_S13_EUlS12_E_NS1_11comp_targetILNS1_3genE3ELNS1_11target_archE908ELNS1_3gpuE7ELNS1_3repE0EEENS1_30default_config_static_selectorELNS0_4arch9wavefront6targetE0EEEvT1_.has_recursion, 0
	.set _ZN7rocprim17ROCPRIM_400000_NS6detail17trampoline_kernelINS0_14default_configENS1_25partition_config_selectorILNS1_17partition_subalgoE8EiNS0_10empty_typeEbEEZZNS1_14partition_implILS5_8ELb0ES3_jPKiPS6_PKS6_NS0_5tupleIJPiS6_EEENSE_IJSB_SB_EEENS0_18inequality_wrapperIN6hipcub16HIPCUB_304000_NS8EqualityEEEPlJS6_EEE10hipError_tPvRmT3_T4_T5_T6_T7_T9_mT8_P12ihipStream_tbDpT10_ENKUlT_T0_E_clISt17integral_constantIbLb0EES17_EEDaS12_S13_EUlS12_E_NS1_11comp_targetILNS1_3genE3ELNS1_11target_archE908ELNS1_3gpuE7ELNS1_3repE0EEENS1_30default_config_static_selectorELNS0_4arch9wavefront6targetE0EEEvT1_.has_indirect_call, 0
	.section	.AMDGPU.csdata,"",@progbits
; Kernel info:
; codeLenInByte = 0
; TotalNumSgprs: 0
; NumVgprs: 0
; ScratchSize: 0
; MemoryBound: 0
; FloatMode: 240
; IeeeMode: 1
; LDSByteSize: 0 bytes/workgroup (compile time only)
; SGPRBlocks: 0
; VGPRBlocks: 0
; NumSGPRsForWavesPerEU: 1
; NumVGPRsForWavesPerEU: 1
; NamedBarCnt: 0
; Occupancy: 16
; WaveLimiterHint : 0
; COMPUTE_PGM_RSRC2:SCRATCH_EN: 0
; COMPUTE_PGM_RSRC2:USER_SGPR: 2
; COMPUTE_PGM_RSRC2:TRAP_HANDLER: 0
; COMPUTE_PGM_RSRC2:TGID_X_EN: 1
; COMPUTE_PGM_RSRC2:TGID_Y_EN: 0
; COMPUTE_PGM_RSRC2:TGID_Z_EN: 0
; COMPUTE_PGM_RSRC2:TIDIG_COMP_CNT: 0
	.section	.text._ZN7rocprim17ROCPRIM_400000_NS6detail17trampoline_kernelINS0_14default_configENS1_25partition_config_selectorILNS1_17partition_subalgoE8EiNS0_10empty_typeEbEEZZNS1_14partition_implILS5_8ELb0ES3_jPKiPS6_PKS6_NS0_5tupleIJPiS6_EEENSE_IJSB_SB_EEENS0_18inequality_wrapperIN6hipcub16HIPCUB_304000_NS8EqualityEEEPlJS6_EEE10hipError_tPvRmT3_T4_T5_T6_T7_T9_mT8_P12ihipStream_tbDpT10_ENKUlT_T0_E_clISt17integral_constantIbLb0EES17_EEDaS12_S13_EUlS12_E_NS1_11comp_targetILNS1_3genE2ELNS1_11target_archE906ELNS1_3gpuE6ELNS1_3repE0EEENS1_30default_config_static_selectorELNS0_4arch9wavefront6targetE0EEEvT1_,"axG",@progbits,_ZN7rocprim17ROCPRIM_400000_NS6detail17trampoline_kernelINS0_14default_configENS1_25partition_config_selectorILNS1_17partition_subalgoE8EiNS0_10empty_typeEbEEZZNS1_14partition_implILS5_8ELb0ES3_jPKiPS6_PKS6_NS0_5tupleIJPiS6_EEENSE_IJSB_SB_EEENS0_18inequality_wrapperIN6hipcub16HIPCUB_304000_NS8EqualityEEEPlJS6_EEE10hipError_tPvRmT3_T4_T5_T6_T7_T9_mT8_P12ihipStream_tbDpT10_ENKUlT_T0_E_clISt17integral_constantIbLb0EES17_EEDaS12_S13_EUlS12_E_NS1_11comp_targetILNS1_3genE2ELNS1_11target_archE906ELNS1_3gpuE6ELNS1_3repE0EEENS1_30default_config_static_selectorELNS0_4arch9wavefront6targetE0EEEvT1_,comdat
	.protected	_ZN7rocprim17ROCPRIM_400000_NS6detail17trampoline_kernelINS0_14default_configENS1_25partition_config_selectorILNS1_17partition_subalgoE8EiNS0_10empty_typeEbEEZZNS1_14partition_implILS5_8ELb0ES3_jPKiPS6_PKS6_NS0_5tupleIJPiS6_EEENSE_IJSB_SB_EEENS0_18inequality_wrapperIN6hipcub16HIPCUB_304000_NS8EqualityEEEPlJS6_EEE10hipError_tPvRmT3_T4_T5_T6_T7_T9_mT8_P12ihipStream_tbDpT10_ENKUlT_T0_E_clISt17integral_constantIbLb0EES17_EEDaS12_S13_EUlS12_E_NS1_11comp_targetILNS1_3genE2ELNS1_11target_archE906ELNS1_3gpuE6ELNS1_3repE0EEENS1_30default_config_static_selectorELNS0_4arch9wavefront6targetE0EEEvT1_ ; -- Begin function _ZN7rocprim17ROCPRIM_400000_NS6detail17trampoline_kernelINS0_14default_configENS1_25partition_config_selectorILNS1_17partition_subalgoE8EiNS0_10empty_typeEbEEZZNS1_14partition_implILS5_8ELb0ES3_jPKiPS6_PKS6_NS0_5tupleIJPiS6_EEENSE_IJSB_SB_EEENS0_18inequality_wrapperIN6hipcub16HIPCUB_304000_NS8EqualityEEEPlJS6_EEE10hipError_tPvRmT3_T4_T5_T6_T7_T9_mT8_P12ihipStream_tbDpT10_ENKUlT_T0_E_clISt17integral_constantIbLb0EES17_EEDaS12_S13_EUlS12_E_NS1_11comp_targetILNS1_3genE2ELNS1_11target_archE906ELNS1_3gpuE6ELNS1_3repE0EEENS1_30default_config_static_selectorELNS0_4arch9wavefront6targetE0EEEvT1_
	.globl	_ZN7rocprim17ROCPRIM_400000_NS6detail17trampoline_kernelINS0_14default_configENS1_25partition_config_selectorILNS1_17partition_subalgoE8EiNS0_10empty_typeEbEEZZNS1_14partition_implILS5_8ELb0ES3_jPKiPS6_PKS6_NS0_5tupleIJPiS6_EEENSE_IJSB_SB_EEENS0_18inequality_wrapperIN6hipcub16HIPCUB_304000_NS8EqualityEEEPlJS6_EEE10hipError_tPvRmT3_T4_T5_T6_T7_T9_mT8_P12ihipStream_tbDpT10_ENKUlT_T0_E_clISt17integral_constantIbLb0EES17_EEDaS12_S13_EUlS12_E_NS1_11comp_targetILNS1_3genE2ELNS1_11target_archE906ELNS1_3gpuE6ELNS1_3repE0EEENS1_30default_config_static_selectorELNS0_4arch9wavefront6targetE0EEEvT1_
	.p2align	8
	.type	_ZN7rocprim17ROCPRIM_400000_NS6detail17trampoline_kernelINS0_14default_configENS1_25partition_config_selectorILNS1_17partition_subalgoE8EiNS0_10empty_typeEbEEZZNS1_14partition_implILS5_8ELb0ES3_jPKiPS6_PKS6_NS0_5tupleIJPiS6_EEENSE_IJSB_SB_EEENS0_18inequality_wrapperIN6hipcub16HIPCUB_304000_NS8EqualityEEEPlJS6_EEE10hipError_tPvRmT3_T4_T5_T6_T7_T9_mT8_P12ihipStream_tbDpT10_ENKUlT_T0_E_clISt17integral_constantIbLb0EES17_EEDaS12_S13_EUlS12_E_NS1_11comp_targetILNS1_3genE2ELNS1_11target_archE906ELNS1_3gpuE6ELNS1_3repE0EEENS1_30default_config_static_selectorELNS0_4arch9wavefront6targetE0EEEvT1_,@function
_ZN7rocprim17ROCPRIM_400000_NS6detail17trampoline_kernelINS0_14default_configENS1_25partition_config_selectorILNS1_17partition_subalgoE8EiNS0_10empty_typeEbEEZZNS1_14partition_implILS5_8ELb0ES3_jPKiPS6_PKS6_NS0_5tupleIJPiS6_EEENSE_IJSB_SB_EEENS0_18inequality_wrapperIN6hipcub16HIPCUB_304000_NS8EqualityEEEPlJS6_EEE10hipError_tPvRmT3_T4_T5_T6_T7_T9_mT8_P12ihipStream_tbDpT10_ENKUlT_T0_E_clISt17integral_constantIbLb0EES17_EEDaS12_S13_EUlS12_E_NS1_11comp_targetILNS1_3genE2ELNS1_11target_archE906ELNS1_3gpuE6ELNS1_3repE0EEENS1_30default_config_static_selectorELNS0_4arch9wavefront6targetE0EEEvT1_: ; @_ZN7rocprim17ROCPRIM_400000_NS6detail17trampoline_kernelINS0_14default_configENS1_25partition_config_selectorILNS1_17partition_subalgoE8EiNS0_10empty_typeEbEEZZNS1_14partition_implILS5_8ELb0ES3_jPKiPS6_PKS6_NS0_5tupleIJPiS6_EEENSE_IJSB_SB_EEENS0_18inequality_wrapperIN6hipcub16HIPCUB_304000_NS8EqualityEEEPlJS6_EEE10hipError_tPvRmT3_T4_T5_T6_T7_T9_mT8_P12ihipStream_tbDpT10_ENKUlT_T0_E_clISt17integral_constantIbLb0EES17_EEDaS12_S13_EUlS12_E_NS1_11comp_targetILNS1_3genE2ELNS1_11target_archE906ELNS1_3gpuE6ELNS1_3repE0EEENS1_30default_config_static_selectorELNS0_4arch9wavefront6targetE0EEEvT1_
; %bb.0:
	.section	.rodata,"a",@progbits
	.p2align	6, 0x0
	.amdhsa_kernel _ZN7rocprim17ROCPRIM_400000_NS6detail17trampoline_kernelINS0_14default_configENS1_25partition_config_selectorILNS1_17partition_subalgoE8EiNS0_10empty_typeEbEEZZNS1_14partition_implILS5_8ELb0ES3_jPKiPS6_PKS6_NS0_5tupleIJPiS6_EEENSE_IJSB_SB_EEENS0_18inequality_wrapperIN6hipcub16HIPCUB_304000_NS8EqualityEEEPlJS6_EEE10hipError_tPvRmT3_T4_T5_T6_T7_T9_mT8_P12ihipStream_tbDpT10_ENKUlT_T0_E_clISt17integral_constantIbLb0EES17_EEDaS12_S13_EUlS12_E_NS1_11comp_targetILNS1_3genE2ELNS1_11target_archE906ELNS1_3gpuE6ELNS1_3repE0EEENS1_30default_config_static_selectorELNS0_4arch9wavefront6targetE0EEEvT1_
		.amdhsa_group_segment_fixed_size 0
		.amdhsa_private_segment_fixed_size 0
		.amdhsa_kernarg_size 112
		.amdhsa_user_sgpr_count 2
		.amdhsa_user_sgpr_dispatch_ptr 0
		.amdhsa_user_sgpr_queue_ptr 0
		.amdhsa_user_sgpr_kernarg_segment_ptr 1
		.amdhsa_user_sgpr_dispatch_id 0
		.amdhsa_user_sgpr_kernarg_preload_length 0
		.amdhsa_user_sgpr_kernarg_preload_offset 0
		.amdhsa_user_sgpr_private_segment_size 0
		.amdhsa_wavefront_size32 1
		.amdhsa_uses_dynamic_stack 0
		.amdhsa_enable_private_segment 0
		.amdhsa_system_sgpr_workgroup_id_x 1
		.amdhsa_system_sgpr_workgroup_id_y 0
		.amdhsa_system_sgpr_workgroup_id_z 0
		.amdhsa_system_sgpr_workgroup_info 0
		.amdhsa_system_vgpr_workitem_id 0
		.amdhsa_next_free_vgpr 1
		.amdhsa_next_free_sgpr 1
		.amdhsa_named_barrier_count 0
		.amdhsa_reserve_vcc 0
		.amdhsa_float_round_mode_32 0
		.amdhsa_float_round_mode_16_64 0
		.amdhsa_float_denorm_mode_32 3
		.amdhsa_float_denorm_mode_16_64 3
		.amdhsa_fp16_overflow 0
		.amdhsa_memory_ordered 1
		.amdhsa_forward_progress 1
		.amdhsa_inst_pref_size 0
		.amdhsa_round_robin_scheduling 0
		.amdhsa_exception_fp_ieee_invalid_op 0
		.amdhsa_exception_fp_denorm_src 0
		.amdhsa_exception_fp_ieee_div_zero 0
		.amdhsa_exception_fp_ieee_overflow 0
		.amdhsa_exception_fp_ieee_underflow 0
		.amdhsa_exception_fp_ieee_inexact 0
		.amdhsa_exception_int_div_zero 0
	.end_amdhsa_kernel
	.section	.text._ZN7rocprim17ROCPRIM_400000_NS6detail17trampoline_kernelINS0_14default_configENS1_25partition_config_selectorILNS1_17partition_subalgoE8EiNS0_10empty_typeEbEEZZNS1_14partition_implILS5_8ELb0ES3_jPKiPS6_PKS6_NS0_5tupleIJPiS6_EEENSE_IJSB_SB_EEENS0_18inequality_wrapperIN6hipcub16HIPCUB_304000_NS8EqualityEEEPlJS6_EEE10hipError_tPvRmT3_T4_T5_T6_T7_T9_mT8_P12ihipStream_tbDpT10_ENKUlT_T0_E_clISt17integral_constantIbLb0EES17_EEDaS12_S13_EUlS12_E_NS1_11comp_targetILNS1_3genE2ELNS1_11target_archE906ELNS1_3gpuE6ELNS1_3repE0EEENS1_30default_config_static_selectorELNS0_4arch9wavefront6targetE0EEEvT1_,"axG",@progbits,_ZN7rocprim17ROCPRIM_400000_NS6detail17trampoline_kernelINS0_14default_configENS1_25partition_config_selectorILNS1_17partition_subalgoE8EiNS0_10empty_typeEbEEZZNS1_14partition_implILS5_8ELb0ES3_jPKiPS6_PKS6_NS0_5tupleIJPiS6_EEENSE_IJSB_SB_EEENS0_18inequality_wrapperIN6hipcub16HIPCUB_304000_NS8EqualityEEEPlJS6_EEE10hipError_tPvRmT3_T4_T5_T6_T7_T9_mT8_P12ihipStream_tbDpT10_ENKUlT_T0_E_clISt17integral_constantIbLb0EES17_EEDaS12_S13_EUlS12_E_NS1_11comp_targetILNS1_3genE2ELNS1_11target_archE906ELNS1_3gpuE6ELNS1_3repE0EEENS1_30default_config_static_selectorELNS0_4arch9wavefront6targetE0EEEvT1_,comdat
.Lfunc_end182:
	.size	_ZN7rocprim17ROCPRIM_400000_NS6detail17trampoline_kernelINS0_14default_configENS1_25partition_config_selectorILNS1_17partition_subalgoE8EiNS0_10empty_typeEbEEZZNS1_14partition_implILS5_8ELb0ES3_jPKiPS6_PKS6_NS0_5tupleIJPiS6_EEENSE_IJSB_SB_EEENS0_18inequality_wrapperIN6hipcub16HIPCUB_304000_NS8EqualityEEEPlJS6_EEE10hipError_tPvRmT3_T4_T5_T6_T7_T9_mT8_P12ihipStream_tbDpT10_ENKUlT_T0_E_clISt17integral_constantIbLb0EES17_EEDaS12_S13_EUlS12_E_NS1_11comp_targetILNS1_3genE2ELNS1_11target_archE906ELNS1_3gpuE6ELNS1_3repE0EEENS1_30default_config_static_selectorELNS0_4arch9wavefront6targetE0EEEvT1_, .Lfunc_end182-_ZN7rocprim17ROCPRIM_400000_NS6detail17trampoline_kernelINS0_14default_configENS1_25partition_config_selectorILNS1_17partition_subalgoE8EiNS0_10empty_typeEbEEZZNS1_14partition_implILS5_8ELb0ES3_jPKiPS6_PKS6_NS0_5tupleIJPiS6_EEENSE_IJSB_SB_EEENS0_18inequality_wrapperIN6hipcub16HIPCUB_304000_NS8EqualityEEEPlJS6_EEE10hipError_tPvRmT3_T4_T5_T6_T7_T9_mT8_P12ihipStream_tbDpT10_ENKUlT_T0_E_clISt17integral_constantIbLb0EES17_EEDaS12_S13_EUlS12_E_NS1_11comp_targetILNS1_3genE2ELNS1_11target_archE906ELNS1_3gpuE6ELNS1_3repE0EEENS1_30default_config_static_selectorELNS0_4arch9wavefront6targetE0EEEvT1_
                                        ; -- End function
	.set _ZN7rocprim17ROCPRIM_400000_NS6detail17trampoline_kernelINS0_14default_configENS1_25partition_config_selectorILNS1_17partition_subalgoE8EiNS0_10empty_typeEbEEZZNS1_14partition_implILS5_8ELb0ES3_jPKiPS6_PKS6_NS0_5tupleIJPiS6_EEENSE_IJSB_SB_EEENS0_18inequality_wrapperIN6hipcub16HIPCUB_304000_NS8EqualityEEEPlJS6_EEE10hipError_tPvRmT3_T4_T5_T6_T7_T9_mT8_P12ihipStream_tbDpT10_ENKUlT_T0_E_clISt17integral_constantIbLb0EES17_EEDaS12_S13_EUlS12_E_NS1_11comp_targetILNS1_3genE2ELNS1_11target_archE906ELNS1_3gpuE6ELNS1_3repE0EEENS1_30default_config_static_selectorELNS0_4arch9wavefront6targetE0EEEvT1_.num_vgpr, 0
	.set _ZN7rocprim17ROCPRIM_400000_NS6detail17trampoline_kernelINS0_14default_configENS1_25partition_config_selectorILNS1_17partition_subalgoE8EiNS0_10empty_typeEbEEZZNS1_14partition_implILS5_8ELb0ES3_jPKiPS6_PKS6_NS0_5tupleIJPiS6_EEENSE_IJSB_SB_EEENS0_18inequality_wrapperIN6hipcub16HIPCUB_304000_NS8EqualityEEEPlJS6_EEE10hipError_tPvRmT3_T4_T5_T6_T7_T9_mT8_P12ihipStream_tbDpT10_ENKUlT_T0_E_clISt17integral_constantIbLb0EES17_EEDaS12_S13_EUlS12_E_NS1_11comp_targetILNS1_3genE2ELNS1_11target_archE906ELNS1_3gpuE6ELNS1_3repE0EEENS1_30default_config_static_selectorELNS0_4arch9wavefront6targetE0EEEvT1_.num_agpr, 0
	.set _ZN7rocprim17ROCPRIM_400000_NS6detail17trampoline_kernelINS0_14default_configENS1_25partition_config_selectorILNS1_17partition_subalgoE8EiNS0_10empty_typeEbEEZZNS1_14partition_implILS5_8ELb0ES3_jPKiPS6_PKS6_NS0_5tupleIJPiS6_EEENSE_IJSB_SB_EEENS0_18inequality_wrapperIN6hipcub16HIPCUB_304000_NS8EqualityEEEPlJS6_EEE10hipError_tPvRmT3_T4_T5_T6_T7_T9_mT8_P12ihipStream_tbDpT10_ENKUlT_T0_E_clISt17integral_constantIbLb0EES17_EEDaS12_S13_EUlS12_E_NS1_11comp_targetILNS1_3genE2ELNS1_11target_archE906ELNS1_3gpuE6ELNS1_3repE0EEENS1_30default_config_static_selectorELNS0_4arch9wavefront6targetE0EEEvT1_.numbered_sgpr, 0
	.set _ZN7rocprim17ROCPRIM_400000_NS6detail17trampoline_kernelINS0_14default_configENS1_25partition_config_selectorILNS1_17partition_subalgoE8EiNS0_10empty_typeEbEEZZNS1_14partition_implILS5_8ELb0ES3_jPKiPS6_PKS6_NS0_5tupleIJPiS6_EEENSE_IJSB_SB_EEENS0_18inequality_wrapperIN6hipcub16HIPCUB_304000_NS8EqualityEEEPlJS6_EEE10hipError_tPvRmT3_T4_T5_T6_T7_T9_mT8_P12ihipStream_tbDpT10_ENKUlT_T0_E_clISt17integral_constantIbLb0EES17_EEDaS12_S13_EUlS12_E_NS1_11comp_targetILNS1_3genE2ELNS1_11target_archE906ELNS1_3gpuE6ELNS1_3repE0EEENS1_30default_config_static_selectorELNS0_4arch9wavefront6targetE0EEEvT1_.num_named_barrier, 0
	.set _ZN7rocprim17ROCPRIM_400000_NS6detail17trampoline_kernelINS0_14default_configENS1_25partition_config_selectorILNS1_17partition_subalgoE8EiNS0_10empty_typeEbEEZZNS1_14partition_implILS5_8ELb0ES3_jPKiPS6_PKS6_NS0_5tupleIJPiS6_EEENSE_IJSB_SB_EEENS0_18inequality_wrapperIN6hipcub16HIPCUB_304000_NS8EqualityEEEPlJS6_EEE10hipError_tPvRmT3_T4_T5_T6_T7_T9_mT8_P12ihipStream_tbDpT10_ENKUlT_T0_E_clISt17integral_constantIbLb0EES17_EEDaS12_S13_EUlS12_E_NS1_11comp_targetILNS1_3genE2ELNS1_11target_archE906ELNS1_3gpuE6ELNS1_3repE0EEENS1_30default_config_static_selectorELNS0_4arch9wavefront6targetE0EEEvT1_.private_seg_size, 0
	.set _ZN7rocprim17ROCPRIM_400000_NS6detail17trampoline_kernelINS0_14default_configENS1_25partition_config_selectorILNS1_17partition_subalgoE8EiNS0_10empty_typeEbEEZZNS1_14partition_implILS5_8ELb0ES3_jPKiPS6_PKS6_NS0_5tupleIJPiS6_EEENSE_IJSB_SB_EEENS0_18inequality_wrapperIN6hipcub16HIPCUB_304000_NS8EqualityEEEPlJS6_EEE10hipError_tPvRmT3_T4_T5_T6_T7_T9_mT8_P12ihipStream_tbDpT10_ENKUlT_T0_E_clISt17integral_constantIbLb0EES17_EEDaS12_S13_EUlS12_E_NS1_11comp_targetILNS1_3genE2ELNS1_11target_archE906ELNS1_3gpuE6ELNS1_3repE0EEENS1_30default_config_static_selectorELNS0_4arch9wavefront6targetE0EEEvT1_.uses_vcc, 0
	.set _ZN7rocprim17ROCPRIM_400000_NS6detail17trampoline_kernelINS0_14default_configENS1_25partition_config_selectorILNS1_17partition_subalgoE8EiNS0_10empty_typeEbEEZZNS1_14partition_implILS5_8ELb0ES3_jPKiPS6_PKS6_NS0_5tupleIJPiS6_EEENSE_IJSB_SB_EEENS0_18inequality_wrapperIN6hipcub16HIPCUB_304000_NS8EqualityEEEPlJS6_EEE10hipError_tPvRmT3_T4_T5_T6_T7_T9_mT8_P12ihipStream_tbDpT10_ENKUlT_T0_E_clISt17integral_constantIbLb0EES17_EEDaS12_S13_EUlS12_E_NS1_11comp_targetILNS1_3genE2ELNS1_11target_archE906ELNS1_3gpuE6ELNS1_3repE0EEENS1_30default_config_static_selectorELNS0_4arch9wavefront6targetE0EEEvT1_.uses_flat_scratch, 0
	.set _ZN7rocprim17ROCPRIM_400000_NS6detail17trampoline_kernelINS0_14default_configENS1_25partition_config_selectorILNS1_17partition_subalgoE8EiNS0_10empty_typeEbEEZZNS1_14partition_implILS5_8ELb0ES3_jPKiPS6_PKS6_NS0_5tupleIJPiS6_EEENSE_IJSB_SB_EEENS0_18inequality_wrapperIN6hipcub16HIPCUB_304000_NS8EqualityEEEPlJS6_EEE10hipError_tPvRmT3_T4_T5_T6_T7_T9_mT8_P12ihipStream_tbDpT10_ENKUlT_T0_E_clISt17integral_constantIbLb0EES17_EEDaS12_S13_EUlS12_E_NS1_11comp_targetILNS1_3genE2ELNS1_11target_archE906ELNS1_3gpuE6ELNS1_3repE0EEENS1_30default_config_static_selectorELNS0_4arch9wavefront6targetE0EEEvT1_.has_dyn_sized_stack, 0
	.set _ZN7rocprim17ROCPRIM_400000_NS6detail17trampoline_kernelINS0_14default_configENS1_25partition_config_selectorILNS1_17partition_subalgoE8EiNS0_10empty_typeEbEEZZNS1_14partition_implILS5_8ELb0ES3_jPKiPS6_PKS6_NS0_5tupleIJPiS6_EEENSE_IJSB_SB_EEENS0_18inequality_wrapperIN6hipcub16HIPCUB_304000_NS8EqualityEEEPlJS6_EEE10hipError_tPvRmT3_T4_T5_T6_T7_T9_mT8_P12ihipStream_tbDpT10_ENKUlT_T0_E_clISt17integral_constantIbLb0EES17_EEDaS12_S13_EUlS12_E_NS1_11comp_targetILNS1_3genE2ELNS1_11target_archE906ELNS1_3gpuE6ELNS1_3repE0EEENS1_30default_config_static_selectorELNS0_4arch9wavefront6targetE0EEEvT1_.has_recursion, 0
	.set _ZN7rocprim17ROCPRIM_400000_NS6detail17trampoline_kernelINS0_14default_configENS1_25partition_config_selectorILNS1_17partition_subalgoE8EiNS0_10empty_typeEbEEZZNS1_14partition_implILS5_8ELb0ES3_jPKiPS6_PKS6_NS0_5tupleIJPiS6_EEENSE_IJSB_SB_EEENS0_18inequality_wrapperIN6hipcub16HIPCUB_304000_NS8EqualityEEEPlJS6_EEE10hipError_tPvRmT3_T4_T5_T6_T7_T9_mT8_P12ihipStream_tbDpT10_ENKUlT_T0_E_clISt17integral_constantIbLb0EES17_EEDaS12_S13_EUlS12_E_NS1_11comp_targetILNS1_3genE2ELNS1_11target_archE906ELNS1_3gpuE6ELNS1_3repE0EEENS1_30default_config_static_selectorELNS0_4arch9wavefront6targetE0EEEvT1_.has_indirect_call, 0
	.section	.AMDGPU.csdata,"",@progbits
; Kernel info:
; codeLenInByte = 0
; TotalNumSgprs: 0
; NumVgprs: 0
; ScratchSize: 0
; MemoryBound: 0
; FloatMode: 240
; IeeeMode: 1
; LDSByteSize: 0 bytes/workgroup (compile time only)
; SGPRBlocks: 0
; VGPRBlocks: 0
; NumSGPRsForWavesPerEU: 1
; NumVGPRsForWavesPerEU: 1
; NamedBarCnt: 0
; Occupancy: 16
; WaveLimiterHint : 0
; COMPUTE_PGM_RSRC2:SCRATCH_EN: 0
; COMPUTE_PGM_RSRC2:USER_SGPR: 2
; COMPUTE_PGM_RSRC2:TRAP_HANDLER: 0
; COMPUTE_PGM_RSRC2:TGID_X_EN: 1
; COMPUTE_PGM_RSRC2:TGID_Y_EN: 0
; COMPUTE_PGM_RSRC2:TGID_Z_EN: 0
; COMPUTE_PGM_RSRC2:TIDIG_COMP_CNT: 0
	.section	.text._ZN7rocprim17ROCPRIM_400000_NS6detail17trampoline_kernelINS0_14default_configENS1_25partition_config_selectorILNS1_17partition_subalgoE8EiNS0_10empty_typeEbEEZZNS1_14partition_implILS5_8ELb0ES3_jPKiPS6_PKS6_NS0_5tupleIJPiS6_EEENSE_IJSB_SB_EEENS0_18inequality_wrapperIN6hipcub16HIPCUB_304000_NS8EqualityEEEPlJS6_EEE10hipError_tPvRmT3_T4_T5_T6_T7_T9_mT8_P12ihipStream_tbDpT10_ENKUlT_T0_E_clISt17integral_constantIbLb0EES17_EEDaS12_S13_EUlS12_E_NS1_11comp_targetILNS1_3genE10ELNS1_11target_archE1200ELNS1_3gpuE4ELNS1_3repE0EEENS1_30default_config_static_selectorELNS0_4arch9wavefront6targetE0EEEvT1_,"axG",@progbits,_ZN7rocprim17ROCPRIM_400000_NS6detail17trampoline_kernelINS0_14default_configENS1_25partition_config_selectorILNS1_17partition_subalgoE8EiNS0_10empty_typeEbEEZZNS1_14partition_implILS5_8ELb0ES3_jPKiPS6_PKS6_NS0_5tupleIJPiS6_EEENSE_IJSB_SB_EEENS0_18inequality_wrapperIN6hipcub16HIPCUB_304000_NS8EqualityEEEPlJS6_EEE10hipError_tPvRmT3_T4_T5_T6_T7_T9_mT8_P12ihipStream_tbDpT10_ENKUlT_T0_E_clISt17integral_constantIbLb0EES17_EEDaS12_S13_EUlS12_E_NS1_11comp_targetILNS1_3genE10ELNS1_11target_archE1200ELNS1_3gpuE4ELNS1_3repE0EEENS1_30default_config_static_selectorELNS0_4arch9wavefront6targetE0EEEvT1_,comdat
	.protected	_ZN7rocprim17ROCPRIM_400000_NS6detail17trampoline_kernelINS0_14default_configENS1_25partition_config_selectorILNS1_17partition_subalgoE8EiNS0_10empty_typeEbEEZZNS1_14partition_implILS5_8ELb0ES3_jPKiPS6_PKS6_NS0_5tupleIJPiS6_EEENSE_IJSB_SB_EEENS0_18inequality_wrapperIN6hipcub16HIPCUB_304000_NS8EqualityEEEPlJS6_EEE10hipError_tPvRmT3_T4_T5_T6_T7_T9_mT8_P12ihipStream_tbDpT10_ENKUlT_T0_E_clISt17integral_constantIbLb0EES17_EEDaS12_S13_EUlS12_E_NS1_11comp_targetILNS1_3genE10ELNS1_11target_archE1200ELNS1_3gpuE4ELNS1_3repE0EEENS1_30default_config_static_selectorELNS0_4arch9wavefront6targetE0EEEvT1_ ; -- Begin function _ZN7rocprim17ROCPRIM_400000_NS6detail17trampoline_kernelINS0_14default_configENS1_25partition_config_selectorILNS1_17partition_subalgoE8EiNS0_10empty_typeEbEEZZNS1_14partition_implILS5_8ELb0ES3_jPKiPS6_PKS6_NS0_5tupleIJPiS6_EEENSE_IJSB_SB_EEENS0_18inequality_wrapperIN6hipcub16HIPCUB_304000_NS8EqualityEEEPlJS6_EEE10hipError_tPvRmT3_T4_T5_T6_T7_T9_mT8_P12ihipStream_tbDpT10_ENKUlT_T0_E_clISt17integral_constantIbLb0EES17_EEDaS12_S13_EUlS12_E_NS1_11comp_targetILNS1_3genE10ELNS1_11target_archE1200ELNS1_3gpuE4ELNS1_3repE0EEENS1_30default_config_static_selectorELNS0_4arch9wavefront6targetE0EEEvT1_
	.globl	_ZN7rocprim17ROCPRIM_400000_NS6detail17trampoline_kernelINS0_14default_configENS1_25partition_config_selectorILNS1_17partition_subalgoE8EiNS0_10empty_typeEbEEZZNS1_14partition_implILS5_8ELb0ES3_jPKiPS6_PKS6_NS0_5tupleIJPiS6_EEENSE_IJSB_SB_EEENS0_18inequality_wrapperIN6hipcub16HIPCUB_304000_NS8EqualityEEEPlJS6_EEE10hipError_tPvRmT3_T4_T5_T6_T7_T9_mT8_P12ihipStream_tbDpT10_ENKUlT_T0_E_clISt17integral_constantIbLb0EES17_EEDaS12_S13_EUlS12_E_NS1_11comp_targetILNS1_3genE10ELNS1_11target_archE1200ELNS1_3gpuE4ELNS1_3repE0EEENS1_30default_config_static_selectorELNS0_4arch9wavefront6targetE0EEEvT1_
	.p2align	8
	.type	_ZN7rocprim17ROCPRIM_400000_NS6detail17trampoline_kernelINS0_14default_configENS1_25partition_config_selectorILNS1_17partition_subalgoE8EiNS0_10empty_typeEbEEZZNS1_14partition_implILS5_8ELb0ES3_jPKiPS6_PKS6_NS0_5tupleIJPiS6_EEENSE_IJSB_SB_EEENS0_18inequality_wrapperIN6hipcub16HIPCUB_304000_NS8EqualityEEEPlJS6_EEE10hipError_tPvRmT3_T4_T5_T6_T7_T9_mT8_P12ihipStream_tbDpT10_ENKUlT_T0_E_clISt17integral_constantIbLb0EES17_EEDaS12_S13_EUlS12_E_NS1_11comp_targetILNS1_3genE10ELNS1_11target_archE1200ELNS1_3gpuE4ELNS1_3repE0EEENS1_30default_config_static_selectorELNS0_4arch9wavefront6targetE0EEEvT1_,@function
_ZN7rocprim17ROCPRIM_400000_NS6detail17trampoline_kernelINS0_14default_configENS1_25partition_config_selectorILNS1_17partition_subalgoE8EiNS0_10empty_typeEbEEZZNS1_14partition_implILS5_8ELb0ES3_jPKiPS6_PKS6_NS0_5tupleIJPiS6_EEENSE_IJSB_SB_EEENS0_18inequality_wrapperIN6hipcub16HIPCUB_304000_NS8EqualityEEEPlJS6_EEE10hipError_tPvRmT3_T4_T5_T6_T7_T9_mT8_P12ihipStream_tbDpT10_ENKUlT_T0_E_clISt17integral_constantIbLb0EES17_EEDaS12_S13_EUlS12_E_NS1_11comp_targetILNS1_3genE10ELNS1_11target_archE1200ELNS1_3gpuE4ELNS1_3repE0EEENS1_30default_config_static_selectorELNS0_4arch9wavefront6targetE0EEEvT1_: ; @_ZN7rocprim17ROCPRIM_400000_NS6detail17trampoline_kernelINS0_14default_configENS1_25partition_config_selectorILNS1_17partition_subalgoE8EiNS0_10empty_typeEbEEZZNS1_14partition_implILS5_8ELb0ES3_jPKiPS6_PKS6_NS0_5tupleIJPiS6_EEENSE_IJSB_SB_EEENS0_18inequality_wrapperIN6hipcub16HIPCUB_304000_NS8EqualityEEEPlJS6_EEE10hipError_tPvRmT3_T4_T5_T6_T7_T9_mT8_P12ihipStream_tbDpT10_ENKUlT_T0_E_clISt17integral_constantIbLb0EES17_EEDaS12_S13_EUlS12_E_NS1_11comp_targetILNS1_3genE10ELNS1_11target_archE1200ELNS1_3gpuE4ELNS1_3repE0EEENS1_30default_config_static_selectorELNS0_4arch9wavefront6targetE0EEEvT1_
; %bb.0:
	.section	.rodata,"a",@progbits
	.p2align	6, 0x0
	.amdhsa_kernel _ZN7rocprim17ROCPRIM_400000_NS6detail17trampoline_kernelINS0_14default_configENS1_25partition_config_selectorILNS1_17partition_subalgoE8EiNS0_10empty_typeEbEEZZNS1_14partition_implILS5_8ELb0ES3_jPKiPS6_PKS6_NS0_5tupleIJPiS6_EEENSE_IJSB_SB_EEENS0_18inequality_wrapperIN6hipcub16HIPCUB_304000_NS8EqualityEEEPlJS6_EEE10hipError_tPvRmT3_T4_T5_T6_T7_T9_mT8_P12ihipStream_tbDpT10_ENKUlT_T0_E_clISt17integral_constantIbLb0EES17_EEDaS12_S13_EUlS12_E_NS1_11comp_targetILNS1_3genE10ELNS1_11target_archE1200ELNS1_3gpuE4ELNS1_3repE0EEENS1_30default_config_static_selectorELNS0_4arch9wavefront6targetE0EEEvT1_
		.amdhsa_group_segment_fixed_size 0
		.amdhsa_private_segment_fixed_size 0
		.amdhsa_kernarg_size 112
		.amdhsa_user_sgpr_count 2
		.amdhsa_user_sgpr_dispatch_ptr 0
		.amdhsa_user_sgpr_queue_ptr 0
		.amdhsa_user_sgpr_kernarg_segment_ptr 1
		.amdhsa_user_sgpr_dispatch_id 0
		.amdhsa_user_sgpr_kernarg_preload_length 0
		.amdhsa_user_sgpr_kernarg_preload_offset 0
		.amdhsa_user_sgpr_private_segment_size 0
		.amdhsa_wavefront_size32 1
		.amdhsa_uses_dynamic_stack 0
		.amdhsa_enable_private_segment 0
		.amdhsa_system_sgpr_workgroup_id_x 1
		.amdhsa_system_sgpr_workgroup_id_y 0
		.amdhsa_system_sgpr_workgroup_id_z 0
		.amdhsa_system_sgpr_workgroup_info 0
		.amdhsa_system_vgpr_workitem_id 0
		.amdhsa_next_free_vgpr 1
		.amdhsa_next_free_sgpr 1
		.amdhsa_named_barrier_count 0
		.amdhsa_reserve_vcc 0
		.amdhsa_float_round_mode_32 0
		.amdhsa_float_round_mode_16_64 0
		.amdhsa_float_denorm_mode_32 3
		.amdhsa_float_denorm_mode_16_64 3
		.amdhsa_fp16_overflow 0
		.amdhsa_memory_ordered 1
		.amdhsa_forward_progress 1
		.amdhsa_inst_pref_size 0
		.amdhsa_round_robin_scheduling 0
		.amdhsa_exception_fp_ieee_invalid_op 0
		.amdhsa_exception_fp_denorm_src 0
		.amdhsa_exception_fp_ieee_div_zero 0
		.amdhsa_exception_fp_ieee_overflow 0
		.amdhsa_exception_fp_ieee_underflow 0
		.amdhsa_exception_fp_ieee_inexact 0
		.amdhsa_exception_int_div_zero 0
	.end_amdhsa_kernel
	.section	.text._ZN7rocprim17ROCPRIM_400000_NS6detail17trampoline_kernelINS0_14default_configENS1_25partition_config_selectorILNS1_17partition_subalgoE8EiNS0_10empty_typeEbEEZZNS1_14partition_implILS5_8ELb0ES3_jPKiPS6_PKS6_NS0_5tupleIJPiS6_EEENSE_IJSB_SB_EEENS0_18inequality_wrapperIN6hipcub16HIPCUB_304000_NS8EqualityEEEPlJS6_EEE10hipError_tPvRmT3_T4_T5_T6_T7_T9_mT8_P12ihipStream_tbDpT10_ENKUlT_T0_E_clISt17integral_constantIbLb0EES17_EEDaS12_S13_EUlS12_E_NS1_11comp_targetILNS1_3genE10ELNS1_11target_archE1200ELNS1_3gpuE4ELNS1_3repE0EEENS1_30default_config_static_selectorELNS0_4arch9wavefront6targetE0EEEvT1_,"axG",@progbits,_ZN7rocprim17ROCPRIM_400000_NS6detail17trampoline_kernelINS0_14default_configENS1_25partition_config_selectorILNS1_17partition_subalgoE8EiNS0_10empty_typeEbEEZZNS1_14partition_implILS5_8ELb0ES3_jPKiPS6_PKS6_NS0_5tupleIJPiS6_EEENSE_IJSB_SB_EEENS0_18inequality_wrapperIN6hipcub16HIPCUB_304000_NS8EqualityEEEPlJS6_EEE10hipError_tPvRmT3_T4_T5_T6_T7_T9_mT8_P12ihipStream_tbDpT10_ENKUlT_T0_E_clISt17integral_constantIbLb0EES17_EEDaS12_S13_EUlS12_E_NS1_11comp_targetILNS1_3genE10ELNS1_11target_archE1200ELNS1_3gpuE4ELNS1_3repE0EEENS1_30default_config_static_selectorELNS0_4arch9wavefront6targetE0EEEvT1_,comdat
.Lfunc_end183:
	.size	_ZN7rocprim17ROCPRIM_400000_NS6detail17trampoline_kernelINS0_14default_configENS1_25partition_config_selectorILNS1_17partition_subalgoE8EiNS0_10empty_typeEbEEZZNS1_14partition_implILS5_8ELb0ES3_jPKiPS6_PKS6_NS0_5tupleIJPiS6_EEENSE_IJSB_SB_EEENS0_18inequality_wrapperIN6hipcub16HIPCUB_304000_NS8EqualityEEEPlJS6_EEE10hipError_tPvRmT3_T4_T5_T6_T7_T9_mT8_P12ihipStream_tbDpT10_ENKUlT_T0_E_clISt17integral_constantIbLb0EES17_EEDaS12_S13_EUlS12_E_NS1_11comp_targetILNS1_3genE10ELNS1_11target_archE1200ELNS1_3gpuE4ELNS1_3repE0EEENS1_30default_config_static_selectorELNS0_4arch9wavefront6targetE0EEEvT1_, .Lfunc_end183-_ZN7rocprim17ROCPRIM_400000_NS6detail17trampoline_kernelINS0_14default_configENS1_25partition_config_selectorILNS1_17partition_subalgoE8EiNS0_10empty_typeEbEEZZNS1_14partition_implILS5_8ELb0ES3_jPKiPS6_PKS6_NS0_5tupleIJPiS6_EEENSE_IJSB_SB_EEENS0_18inequality_wrapperIN6hipcub16HIPCUB_304000_NS8EqualityEEEPlJS6_EEE10hipError_tPvRmT3_T4_T5_T6_T7_T9_mT8_P12ihipStream_tbDpT10_ENKUlT_T0_E_clISt17integral_constantIbLb0EES17_EEDaS12_S13_EUlS12_E_NS1_11comp_targetILNS1_3genE10ELNS1_11target_archE1200ELNS1_3gpuE4ELNS1_3repE0EEENS1_30default_config_static_selectorELNS0_4arch9wavefront6targetE0EEEvT1_
                                        ; -- End function
	.set _ZN7rocprim17ROCPRIM_400000_NS6detail17trampoline_kernelINS0_14default_configENS1_25partition_config_selectorILNS1_17partition_subalgoE8EiNS0_10empty_typeEbEEZZNS1_14partition_implILS5_8ELb0ES3_jPKiPS6_PKS6_NS0_5tupleIJPiS6_EEENSE_IJSB_SB_EEENS0_18inequality_wrapperIN6hipcub16HIPCUB_304000_NS8EqualityEEEPlJS6_EEE10hipError_tPvRmT3_T4_T5_T6_T7_T9_mT8_P12ihipStream_tbDpT10_ENKUlT_T0_E_clISt17integral_constantIbLb0EES17_EEDaS12_S13_EUlS12_E_NS1_11comp_targetILNS1_3genE10ELNS1_11target_archE1200ELNS1_3gpuE4ELNS1_3repE0EEENS1_30default_config_static_selectorELNS0_4arch9wavefront6targetE0EEEvT1_.num_vgpr, 0
	.set _ZN7rocprim17ROCPRIM_400000_NS6detail17trampoline_kernelINS0_14default_configENS1_25partition_config_selectorILNS1_17partition_subalgoE8EiNS0_10empty_typeEbEEZZNS1_14partition_implILS5_8ELb0ES3_jPKiPS6_PKS6_NS0_5tupleIJPiS6_EEENSE_IJSB_SB_EEENS0_18inequality_wrapperIN6hipcub16HIPCUB_304000_NS8EqualityEEEPlJS6_EEE10hipError_tPvRmT3_T4_T5_T6_T7_T9_mT8_P12ihipStream_tbDpT10_ENKUlT_T0_E_clISt17integral_constantIbLb0EES17_EEDaS12_S13_EUlS12_E_NS1_11comp_targetILNS1_3genE10ELNS1_11target_archE1200ELNS1_3gpuE4ELNS1_3repE0EEENS1_30default_config_static_selectorELNS0_4arch9wavefront6targetE0EEEvT1_.num_agpr, 0
	.set _ZN7rocprim17ROCPRIM_400000_NS6detail17trampoline_kernelINS0_14default_configENS1_25partition_config_selectorILNS1_17partition_subalgoE8EiNS0_10empty_typeEbEEZZNS1_14partition_implILS5_8ELb0ES3_jPKiPS6_PKS6_NS0_5tupleIJPiS6_EEENSE_IJSB_SB_EEENS0_18inequality_wrapperIN6hipcub16HIPCUB_304000_NS8EqualityEEEPlJS6_EEE10hipError_tPvRmT3_T4_T5_T6_T7_T9_mT8_P12ihipStream_tbDpT10_ENKUlT_T0_E_clISt17integral_constantIbLb0EES17_EEDaS12_S13_EUlS12_E_NS1_11comp_targetILNS1_3genE10ELNS1_11target_archE1200ELNS1_3gpuE4ELNS1_3repE0EEENS1_30default_config_static_selectorELNS0_4arch9wavefront6targetE0EEEvT1_.numbered_sgpr, 0
	.set _ZN7rocprim17ROCPRIM_400000_NS6detail17trampoline_kernelINS0_14default_configENS1_25partition_config_selectorILNS1_17partition_subalgoE8EiNS0_10empty_typeEbEEZZNS1_14partition_implILS5_8ELb0ES3_jPKiPS6_PKS6_NS0_5tupleIJPiS6_EEENSE_IJSB_SB_EEENS0_18inequality_wrapperIN6hipcub16HIPCUB_304000_NS8EqualityEEEPlJS6_EEE10hipError_tPvRmT3_T4_T5_T6_T7_T9_mT8_P12ihipStream_tbDpT10_ENKUlT_T0_E_clISt17integral_constantIbLb0EES17_EEDaS12_S13_EUlS12_E_NS1_11comp_targetILNS1_3genE10ELNS1_11target_archE1200ELNS1_3gpuE4ELNS1_3repE0EEENS1_30default_config_static_selectorELNS0_4arch9wavefront6targetE0EEEvT1_.num_named_barrier, 0
	.set _ZN7rocprim17ROCPRIM_400000_NS6detail17trampoline_kernelINS0_14default_configENS1_25partition_config_selectorILNS1_17partition_subalgoE8EiNS0_10empty_typeEbEEZZNS1_14partition_implILS5_8ELb0ES3_jPKiPS6_PKS6_NS0_5tupleIJPiS6_EEENSE_IJSB_SB_EEENS0_18inequality_wrapperIN6hipcub16HIPCUB_304000_NS8EqualityEEEPlJS6_EEE10hipError_tPvRmT3_T4_T5_T6_T7_T9_mT8_P12ihipStream_tbDpT10_ENKUlT_T0_E_clISt17integral_constantIbLb0EES17_EEDaS12_S13_EUlS12_E_NS1_11comp_targetILNS1_3genE10ELNS1_11target_archE1200ELNS1_3gpuE4ELNS1_3repE0EEENS1_30default_config_static_selectorELNS0_4arch9wavefront6targetE0EEEvT1_.private_seg_size, 0
	.set _ZN7rocprim17ROCPRIM_400000_NS6detail17trampoline_kernelINS0_14default_configENS1_25partition_config_selectorILNS1_17partition_subalgoE8EiNS0_10empty_typeEbEEZZNS1_14partition_implILS5_8ELb0ES3_jPKiPS6_PKS6_NS0_5tupleIJPiS6_EEENSE_IJSB_SB_EEENS0_18inequality_wrapperIN6hipcub16HIPCUB_304000_NS8EqualityEEEPlJS6_EEE10hipError_tPvRmT3_T4_T5_T6_T7_T9_mT8_P12ihipStream_tbDpT10_ENKUlT_T0_E_clISt17integral_constantIbLb0EES17_EEDaS12_S13_EUlS12_E_NS1_11comp_targetILNS1_3genE10ELNS1_11target_archE1200ELNS1_3gpuE4ELNS1_3repE0EEENS1_30default_config_static_selectorELNS0_4arch9wavefront6targetE0EEEvT1_.uses_vcc, 0
	.set _ZN7rocprim17ROCPRIM_400000_NS6detail17trampoline_kernelINS0_14default_configENS1_25partition_config_selectorILNS1_17partition_subalgoE8EiNS0_10empty_typeEbEEZZNS1_14partition_implILS5_8ELb0ES3_jPKiPS6_PKS6_NS0_5tupleIJPiS6_EEENSE_IJSB_SB_EEENS0_18inequality_wrapperIN6hipcub16HIPCUB_304000_NS8EqualityEEEPlJS6_EEE10hipError_tPvRmT3_T4_T5_T6_T7_T9_mT8_P12ihipStream_tbDpT10_ENKUlT_T0_E_clISt17integral_constantIbLb0EES17_EEDaS12_S13_EUlS12_E_NS1_11comp_targetILNS1_3genE10ELNS1_11target_archE1200ELNS1_3gpuE4ELNS1_3repE0EEENS1_30default_config_static_selectorELNS0_4arch9wavefront6targetE0EEEvT1_.uses_flat_scratch, 0
	.set _ZN7rocprim17ROCPRIM_400000_NS6detail17trampoline_kernelINS0_14default_configENS1_25partition_config_selectorILNS1_17partition_subalgoE8EiNS0_10empty_typeEbEEZZNS1_14partition_implILS5_8ELb0ES3_jPKiPS6_PKS6_NS0_5tupleIJPiS6_EEENSE_IJSB_SB_EEENS0_18inequality_wrapperIN6hipcub16HIPCUB_304000_NS8EqualityEEEPlJS6_EEE10hipError_tPvRmT3_T4_T5_T6_T7_T9_mT8_P12ihipStream_tbDpT10_ENKUlT_T0_E_clISt17integral_constantIbLb0EES17_EEDaS12_S13_EUlS12_E_NS1_11comp_targetILNS1_3genE10ELNS1_11target_archE1200ELNS1_3gpuE4ELNS1_3repE0EEENS1_30default_config_static_selectorELNS0_4arch9wavefront6targetE0EEEvT1_.has_dyn_sized_stack, 0
	.set _ZN7rocprim17ROCPRIM_400000_NS6detail17trampoline_kernelINS0_14default_configENS1_25partition_config_selectorILNS1_17partition_subalgoE8EiNS0_10empty_typeEbEEZZNS1_14partition_implILS5_8ELb0ES3_jPKiPS6_PKS6_NS0_5tupleIJPiS6_EEENSE_IJSB_SB_EEENS0_18inequality_wrapperIN6hipcub16HIPCUB_304000_NS8EqualityEEEPlJS6_EEE10hipError_tPvRmT3_T4_T5_T6_T7_T9_mT8_P12ihipStream_tbDpT10_ENKUlT_T0_E_clISt17integral_constantIbLb0EES17_EEDaS12_S13_EUlS12_E_NS1_11comp_targetILNS1_3genE10ELNS1_11target_archE1200ELNS1_3gpuE4ELNS1_3repE0EEENS1_30default_config_static_selectorELNS0_4arch9wavefront6targetE0EEEvT1_.has_recursion, 0
	.set _ZN7rocprim17ROCPRIM_400000_NS6detail17trampoline_kernelINS0_14default_configENS1_25partition_config_selectorILNS1_17partition_subalgoE8EiNS0_10empty_typeEbEEZZNS1_14partition_implILS5_8ELb0ES3_jPKiPS6_PKS6_NS0_5tupleIJPiS6_EEENSE_IJSB_SB_EEENS0_18inequality_wrapperIN6hipcub16HIPCUB_304000_NS8EqualityEEEPlJS6_EEE10hipError_tPvRmT3_T4_T5_T6_T7_T9_mT8_P12ihipStream_tbDpT10_ENKUlT_T0_E_clISt17integral_constantIbLb0EES17_EEDaS12_S13_EUlS12_E_NS1_11comp_targetILNS1_3genE10ELNS1_11target_archE1200ELNS1_3gpuE4ELNS1_3repE0EEENS1_30default_config_static_selectorELNS0_4arch9wavefront6targetE0EEEvT1_.has_indirect_call, 0
	.section	.AMDGPU.csdata,"",@progbits
; Kernel info:
; codeLenInByte = 0
; TotalNumSgprs: 0
; NumVgprs: 0
; ScratchSize: 0
; MemoryBound: 0
; FloatMode: 240
; IeeeMode: 1
; LDSByteSize: 0 bytes/workgroup (compile time only)
; SGPRBlocks: 0
; VGPRBlocks: 0
; NumSGPRsForWavesPerEU: 1
; NumVGPRsForWavesPerEU: 1
; NamedBarCnt: 0
; Occupancy: 16
; WaveLimiterHint : 0
; COMPUTE_PGM_RSRC2:SCRATCH_EN: 0
; COMPUTE_PGM_RSRC2:USER_SGPR: 2
; COMPUTE_PGM_RSRC2:TRAP_HANDLER: 0
; COMPUTE_PGM_RSRC2:TGID_X_EN: 1
; COMPUTE_PGM_RSRC2:TGID_Y_EN: 0
; COMPUTE_PGM_RSRC2:TGID_Z_EN: 0
; COMPUTE_PGM_RSRC2:TIDIG_COMP_CNT: 0
	.section	.text._ZN7rocprim17ROCPRIM_400000_NS6detail17trampoline_kernelINS0_14default_configENS1_25partition_config_selectorILNS1_17partition_subalgoE8EiNS0_10empty_typeEbEEZZNS1_14partition_implILS5_8ELb0ES3_jPKiPS6_PKS6_NS0_5tupleIJPiS6_EEENSE_IJSB_SB_EEENS0_18inequality_wrapperIN6hipcub16HIPCUB_304000_NS8EqualityEEEPlJS6_EEE10hipError_tPvRmT3_T4_T5_T6_T7_T9_mT8_P12ihipStream_tbDpT10_ENKUlT_T0_E_clISt17integral_constantIbLb0EES17_EEDaS12_S13_EUlS12_E_NS1_11comp_targetILNS1_3genE9ELNS1_11target_archE1100ELNS1_3gpuE3ELNS1_3repE0EEENS1_30default_config_static_selectorELNS0_4arch9wavefront6targetE0EEEvT1_,"axG",@progbits,_ZN7rocprim17ROCPRIM_400000_NS6detail17trampoline_kernelINS0_14default_configENS1_25partition_config_selectorILNS1_17partition_subalgoE8EiNS0_10empty_typeEbEEZZNS1_14partition_implILS5_8ELb0ES3_jPKiPS6_PKS6_NS0_5tupleIJPiS6_EEENSE_IJSB_SB_EEENS0_18inequality_wrapperIN6hipcub16HIPCUB_304000_NS8EqualityEEEPlJS6_EEE10hipError_tPvRmT3_T4_T5_T6_T7_T9_mT8_P12ihipStream_tbDpT10_ENKUlT_T0_E_clISt17integral_constantIbLb0EES17_EEDaS12_S13_EUlS12_E_NS1_11comp_targetILNS1_3genE9ELNS1_11target_archE1100ELNS1_3gpuE3ELNS1_3repE0EEENS1_30default_config_static_selectorELNS0_4arch9wavefront6targetE0EEEvT1_,comdat
	.protected	_ZN7rocprim17ROCPRIM_400000_NS6detail17trampoline_kernelINS0_14default_configENS1_25partition_config_selectorILNS1_17partition_subalgoE8EiNS0_10empty_typeEbEEZZNS1_14partition_implILS5_8ELb0ES3_jPKiPS6_PKS6_NS0_5tupleIJPiS6_EEENSE_IJSB_SB_EEENS0_18inequality_wrapperIN6hipcub16HIPCUB_304000_NS8EqualityEEEPlJS6_EEE10hipError_tPvRmT3_T4_T5_T6_T7_T9_mT8_P12ihipStream_tbDpT10_ENKUlT_T0_E_clISt17integral_constantIbLb0EES17_EEDaS12_S13_EUlS12_E_NS1_11comp_targetILNS1_3genE9ELNS1_11target_archE1100ELNS1_3gpuE3ELNS1_3repE0EEENS1_30default_config_static_selectorELNS0_4arch9wavefront6targetE0EEEvT1_ ; -- Begin function _ZN7rocprim17ROCPRIM_400000_NS6detail17trampoline_kernelINS0_14default_configENS1_25partition_config_selectorILNS1_17partition_subalgoE8EiNS0_10empty_typeEbEEZZNS1_14partition_implILS5_8ELb0ES3_jPKiPS6_PKS6_NS0_5tupleIJPiS6_EEENSE_IJSB_SB_EEENS0_18inequality_wrapperIN6hipcub16HIPCUB_304000_NS8EqualityEEEPlJS6_EEE10hipError_tPvRmT3_T4_T5_T6_T7_T9_mT8_P12ihipStream_tbDpT10_ENKUlT_T0_E_clISt17integral_constantIbLb0EES17_EEDaS12_S13_EUlS12_E_NS1_11comp_targetILNS1_3genE9ELNS1_11target_archE1100ELNS1_3gpuE3ELNS1_3repE0EEENS1_30default_config_static_selectorELNS0_4arch9wavefront6targetE0EEEvT1_
	.globl	_ZN7rocprim17ROCPRIM_400000_NS6detail17trampoline_kernelINS0_14default_configENS1_25partition_config_selectorILNS1_17partition_subalgoE8EiNS0_10empty_typeEbEEZZNS1_14partition_implILS5_8ELb0ES3_jPKiPS6_PKS6_NS0_5tupleIJPiS6_EEENSE_IJSB_SB_EEENS0_18inequality_wrapperIN6hipcub16HIPCUB_304000_NS8EqualityEEEPlJS6_EEE10hipError_tPvRmT3_T4_T5_T6_T7_T9_mT8_P12ihipStream_tbDpT10_ENKUlT_T0_E_clISt17integral_constantIbLb0EES17_EEDaS12_S13_EUlS12_E_NS1_11comp_targetILNS1_3genE9ELNS1_11target_archE1100ELNS1_3gpuE3ELNS1_3repE0EEENS1_30default_config_static_selectorELNS0_4arch9wavefront6targetE0EEEvT1_
	.p2align	8
	.type	_ZN7rocprim17ROCPRIM_400000_NS6detail17trampoline_kernelINS0_14default_configENS1_25partition_config_selectorILNS1_17partition_subalgoE8EiNS0_10empty_typeEbEEZZNS1_14partition_implILS5_8ELb0ES3_jPKiPS6_PKS6_NS0_5tupleIJPiS6_EEENSE_IJSB_SB_EEENS0_18inequality_wrapperIN6hipcub16HIPCUB_304000_NS8EqualityEEEPlJS6_EEE10hipError_tPvRmT3_T4_T5_T6_T7_T9_mT8_P12ihipStream_tbDpT10_ENKUlT_T0_E_clISt17integral_constantIbLb0EES17_EEDaS12_S13_EUlS12_E_NS1_11comp_targetILNS1_3genE9ELNS1_11target_archE1100ELNS1_3gpuE3ELNS1_3repE0EEENS1_30default_config_static_selectorELNS0_4arch9wavefront6targetE0EEEvT1_,@function
_ZN7rocprim17ROCPRIM_400000_NS6detail17trampoline_kernelINS0_14default_configENS1_25partition_config_selectorILNS1_17partition_subalgoE8EiNS0_10empty_typeEbEEZZNS1_14partition_implILS5_8ELb0ES3_jPKiPS6_PKS6_NS0_5tupleIJPiS6_EEENSE_IJSB_SB_EEENS0_18inequality_wrapperIN6hipcub16HIPCUB_304000_NS8EqualityEEEPlJS6_EEE10hipError_tPvRmT3_T4_T5_T6_T7_T9_mT8_P12ihipStream_tbDpT10_ENKUlT_T0_E_clISt17integral_constantIbLb0EES17_EEDaS12_S13_EUlS12_E_NS1_11comp_targetILNS1_3genE9ELNS1_11target_archE1100ELNS1_3gpuE3ELNS1_3repE0EEENS1_30default_config_static_selectorELNS0_4arch9wavefront6targetE0EEEvT1_: ; @_ZN7rocprim17ROCPRIM_400000_NS6detail17trampoline_kernelINS0_14default_configENS1_25partition_config_selectorILNS1_17partition_subalgoE8EiNS0_10empty_typeEbEEZZNS1_14partition_implILS5_8ELb0ES3_jPKiPS6_PKS6_NS0_5tupleIJPiS6_EEENSE_IJSB_SB_EEENS0_18inequality_wrapperIN6hipcub16HIPCUB_304000_NS8EqualityEEEPlJS6_EEE10hipError_tPvRmT3_T4_T5_T6_T7_T9_mT8_P12ihipStream_tbDpT10_ENKUlT_T0_E_clISt17integral_constantIbLb0EES17_EEDaS12_S13_EUlS12_E_NS1_11comp_targetILNS1_3genE9ELNS1_11target_archE1100ELNS1_3gpuE3ELNS1_3repE0EEENS1_30default_config_static_selectorELNS0_4arch9wavefront6targetE0EEEvT1_
; %bb.0:
	.section	.rodata,"a",@progbits
	.p2align	6, 0x0
	.amdhsa_kernel _ZN7rocprim17ROCPRIM_400000_NS6detail17trampoline_kernelINS0_14default_configENS1_25partition_config_selectorILNS1_17partition_subalgoE8EiNS0_10empty_typeEbEEZZNS1_14partition_implILS5_8ELb0ES3_jPKiPS6_PKS6_NS0_5tupleIJPiS6_EEENSE_IJSB_SB_EEENS0_18inequality_wrapperIN6hipcub16HIPCUB_304000_NS8EqualityEEEPlJS6_EEE10hipError_tPvRmT3_T4_T5_T6_T7_T9_mT8_P12ihipStream_tbDpT10_ENKUlT_T0_E_clISt17integral_constantIbLb0EES17_EEDaS12_S13_EUlS12_E_NS1_11comp_targetILNS1_3genE9ELNS1_11target_archE1100ELNS1_3gpuE3ELNS1_3repE0EEENS1_30default_config_static_selectorELNS0_4arch9wavefront6targetE0EEEvT1_
		.amdhsa_group_segment_fixed_size 0
		.amdhsa_private_segment_fixed_size 0
		.amdhsa_kernarg_size 112
		.amdhsa_user_sgpr_count 2
		.amdhsa_user_sgpr_dispatch_ptr 0
		.amdhsa_user_sgpr_queue_ptr 0
		.amdhsa_user_sgpr_kernarg_segment_ptr 1
		.amdhsa_user_sgpr_dispatch_id 0
		.amdhsa_user_sgpr_kernarg_preload_length 0
		.amdhsa_user_sgpr_kernarg_preload_offset 0
		.amdhsa_user_sgpr_private_segment_size 0
		.amdhsa_wavefront_size32 1
		.amdhsa_uses_dynamic_stack 0
		.amdhsa_enable_private_segment 0
		.amdhsa_system_sgpr_workgroup_id_x 1
		.amdhsa_system_sgpr_workgroup_id_y 0
		.amdhsa_system_sgpr_workgroup_id_z 0
		.amdhsa_system_sgpr_workgroup_info 0
		.amdhsa_system_vgpr_workitem_id 0
		.amdhsa_next_free_vgpr 1
		.amdhsa_next_free_sgpr 1
		.amdhsa_named_barrier_count 0
		.amdhsa_reserve_vcc 0
		.amdhsa_float_round_mode_32 0
		.amdhsa_float_round_mode_16_64 0
		.amdhsa_float_denorm_mode_32 3
		.amdhsa_float_denorm_mode_16_64 3
		.amdhsa_fp16_overflow 0
		.amdhsa_memory_ordered 1
		.amdhsa_forward_progress 1
		.amdhsa_inst_pref_size 0
		.amdhsa_round_robin_scheduling 0
		.amdhsa_exception_fp_ieee_invalid_op 0
		.amdhsa_exception_fp_denorm_src 0
		.amdhsa_exception_fp_ieee_div_zero 0
		.amdhsa_exception_fp_ieee_overflow 0
		.amdhsa_exception_fp_ieee_underflow 0
		.amdhsa_exception_fp_ieee_inexact 0
		.amdhsa_exception_int_div_zero 0
	.end_amdhsa_kernel
	.section	.text._ZN7rocprim17ROCPRIM_400000_NS6detail17trampoline_kernelINS0_14default_configENS1_25partition_config_selectorILNS1_17partition_subalgoE8EiNS0_10empty_typeEbEEZZNS1_14partition_implILS5_8ELb0ES3_jPKiPS6_PKS6_NS0_5tupleIJPiS6_EEENSE_IJSB_SB_EEENS0_18inequality_wrapperIN6hipcub16HIPCUB_304000_NS8EqualityEEEPlJS6_EEE10hipError_tPvRmT3_T4_T5_T6_T7_T9_mT8_P12ihipStream_tbDpT10_ENKUlT_T0_E_clISt17integral_constantIbLb0EES17_EEDaS12_S13_EUlS12_E_NS1_11comp_targetILNS1_3genE9ELNS1_11target_archE1100ELNS1_3gpuE3ELNS1_3repE0EEENS1_30default_config_static_selectorELNS0_4arch9wavefront6targetE0EEEvT1_,"axG",@progbits,_ZN7rocprim17ROCPRIM_400000_NS6detail17trampoline_kernelINS0_14default_configENS1_25partition_config_selectorILNS1_17partition_subalgoE8EiNS0_10empty_typeEbEEZZNS1_14partition_implILS5_8ELb0ES3_jPKiPS6_PKS6_NS0_5tupleIJPiS6_EEENSE_IJSB_SB_EEENS0_18inequality_wrapperIN6hipcub16HIPCUB_304000_NS8EqualityEEEPlJS6_EEE10hipError_tPvRmT3_T4_T5_T6_T7_T9_mT8_P12ihipStream_tbDpT10_ENKUlT_T0_E_clISt17integral_constantIbLb0EES17_EEDaS12_S13_EUlS12_E_NS1_11comp_targetILNS1_3genE9ELNS1_11target_archE1100ELNS1_3gpuE3ELNS1_3repE0EEENS1_30default_config_static_selectorELNS0_4arch9wavefront6targetE0EEEvT1_,comdat
.Lfunc_end184:
	.size	_ZN7rocprim17ROCPRIM_400000_NS6detail17trampoline_kernelINS0_14default_configENS1_25partition_config_selectorILNS1_17partition_subalgoE8EiNS0_10empty_typeEbEEZZNS1_14partition_implILS5_8ELb0ES3_jPKiPS6_PKS6_NS0_5tupleIJPiS6_EEENSE_IJSB_SB_EEENS0_18inequality_wrapperIN6hipcub16HIPCUB_304000_NS8EqualityEEEPlJS6_EEE10hipError_tPvRmT3_T4_T5_T6_T7_T9_mT8_P12ihipStream_tbDpT10_ENKUlT_T0_E_clISt17integral_constantIbLb0EES17_EEDaS12_S13_EUlS12_E_NS1_11comp_targetILNS1_3genE9ELNS1_11target_archE1100ELNS1_3gpuE3ELNS1_3repE0EEENS1_30default_config_static_selectorELNS0_4arch9wavefront6targetE0EEEvT1_, .Lfunc_end184-_ZN7rocprim17ROCPRIM_400000_NS6detail17trampoline_kernelINS0_14default_configENS1_25partition_config_selectorILNS1_17partition_subalgoE8EiNS0_10empty_typeEbEEZZNS1_14partition_implILS5_8ELb0ES3_jPKiPS6_PKS6_NS0_5tupleIJPiS6_EEENSE_IJSB_SB_EEENS0_18inequality_wrapperIN6hipcub16HIPCUB_304000_NS8EqualityEEEPlJS6_EEE10hipError_tPvRmT3_T4_T5_T6_T7_T9_mT8_P12ihipStream_tbDpT10_ENKUlT_T0_E_clISt17integral_constantIbLb0EES17_EEDaS12_S13_EUlS12_E_NS1_11comp_targetILNS1_3genE9ELNS1_11target_archE1100ELNS1_3gpuE3ELNS1_3repE0EEENS1_30default_config_static_selectorELNS0_4arch9wavefront6targetE0EEEvT1_
                                        ; -- End function
	.set _ZN7rocprim17ROCPRIM_400000_NS6detail17trampoline_kernelINS0_14default_configENS1_25partition_config_selectorILNS1_17partition_subalgoE8EiNS0_10empty_typeEbEEZZNS1_14partition_implILS5_8ELb0ES3_jPKiPS6_PKS6_NS0_5tupleIJPiS6_EEENSE_IJSB_SB_EEENS0_18inequality_wrapperIN6hipcub16HIPCUB_304000_NS8EqualityEEEPlJS6_EEE10hipError_tPvRmT3_T4_T5_T6_T7_T9_mT8_P12ihipStream_tbDpT10_ENKUlT_T0_E_clISt17integral_constantIbLb0EES17_EEDaS12_S13_EUlS12_E_NS1_11comp_targetILNS1_3genE9ELNS1_11target_archE1100ELNS1_3gpuE3ELNS1_3repE0EEENS1_30default_config_static_selectorELNS0_4arch9wavefront6targetE0EEEvT1_.num_vgpr, 0
	.set _ZN7rocprim17ROCPRIM_400000_NS6detail17trampoline_kernelINS0_14default_configENS1_25partition_config_selectorILNS1_17partition_subalgoE8EiNS0_10empty_typeEbEEZZNS1_14partition_implILS5_8ELb0ES3_jPKiPS6_PKS6_NS0_5tupleIJPiS6_EEENSE_IJSB_SB_EEENS0_18inequality_wrapperIN6hipcub16HIPCUB_304000_NS8EqualityEEEPlJS6_EEE10hipError_tPvRmT3_T4_T5_T6_T7_T9_mT8_P12ihipStream_tbDpT10_ENKUlT_T0_E_clISt17integral_constantIbLb0EES17_EEDaS12_S13_EUlS12_E_NS1_11comp_targetILNS1_3genE9ELNS1_11target_archE1100ELNS1_3gpuE3ELNS1_3repE0EEENS1_30default_config_static_selectorELNS0_4arch9wavefront6targetE0EEEvT1_.num_agpr, 0
	.set _ZN7rocprim17ROCPRIM_400000_NS6detail17trampoline_kernelINS0_14default_configENS1_25partition_config_selectorILNS1_17partition_subalgoE8EiNS0_10empty_typeEbEEZZNS1_14partition_implILS5_8ELb0ES3_jPKiPS6_PKS6_NS0_5tupleIJPiS6_EEENSE_IJSB_SB_EEENS0_18inequality_wrapperIN6hipcub16HIPCUB_304000_NS8EqualityEEEPlJS6_EEE10hipError_tPvRmT3_T4_T5_T6_T7_T9_mT8_P12ihipStream_tbDpT10_ENKUlT_T0_E_clISt17integral_constantIbLb0EES17_EEDaS12_S13_EUlS12_E_NS1_11comp_targetILNS1_3genE9ELNS1_11target_archE1100ELNS1_3gpuE3ELNS1_3repE0EEENS1_30default_config_static_selectorELNS0_4arch9wavefront6targetE0EEEvT1_.numbered_sgpr, 0
	.set _ZN7rocprim17ROCPRIM_400000_NS6detail17trampoline_kernelINS0_14default_configENS1_25partition_config_selectorILNS1_17partition_subalgoE8EiNS0_10empty_typeEbEEZZNS1_14partition_implILS5_8ELb0ES3_jPKiPS6_PKS6_NS0_5tupleIJPiS6_EEENSE_IJSB_SB_EEENS0_18inequality_wrapperIN6hipcub16HIPCUB_304000_NS8EqualityEEEPlJS6_EEE10hipError_tPvRmT3_T4_T5_T6_T7_T9_mT8_P12ihipStream_tbDpT10_ENKUlT_T0_E_clISt17integral_constantIbLb0EES17_EEDaS12_S13_EUlS12_E_NS1_11comp_targetILNS1_3genE9ELNS1_11target_archE1100ELNS1_3gpuE3ELNS1_3repE0EEENS1_30default_config_static_selectorELNS0_4arch9wavefront6targetE0EEEvT1_.num_named_barrier, 0
	.set _ZN7rocprim17ROCPRIM_400000_NS6detail17trampoline_kernelINS0_14default_configENS1_25partition_config_selectorILNS1_17partition_subalgoE8EiNS0_10empty_typeEbEEZZNS1_14partition_implILS5_8ELb0ES3_jPKiPS6_PKS6_NS0_5tupleIJPiS6_EEENSE_IJSB_SB_EEENS0_18inequality_wrapperIN6hipcub16HIPCUB_304000_NS8EqualityEEEPlJS6_EEE10hipError_tPvRmT3_T4_T5_T6_T7_T9_mT8_P12ihipStream_tbDpT10_ENKUlT_T0_E_clISt17integral_constantIbLb0EES17_EEDaS12_S13_EUlS12_E_NS1_11comp_targetILNS1_3genE9ELNS1_11target_archE1100ELNS1_3gpuE3ELNS1_3repE0EEENS1_30default_config_static_selectorELNS0_4arch9wavefront6targetE0EEEvT1_.private_seg_size, 0
	.set _ZN7rocprim17ROCPRIM_400000_NS6detail17trampoline_kernelINS0_14default_configENS1_25partition_config_selectorILNS1_17partition_subalgoE8EiNS0_10empty_typeEbEEZZNS1_14partition_implILS5_8ELb0ES3_jPKiPS6_PKS6_NS0_5tupleIJPiS6_EEENSE_IJSB_SB_EEENS0_18inequality_wrapperIN6hipcub16HIPCUB_304000_NS8EqualityEEEPlJS6_EEE10hipError_tPvRmT3_T4_T5_T6_T7_T9_mT8_P12ihipStream_tbDpT10_ENKUlT_T0_E_clISt17integral_constantIbLb0EES17_EEDaS12_S13_EUlS12_E_NS1_11comp_targetILNS1_3genE9ELNS1_11target_archE1100ELNS1_3gpuE3ELNS1_3repE0EEENS1_30default_config_static_selectorELNS0_4arch9wavefront6targetE0EEEvT1_.uses_vcc, 0
	.set _ZN7rocprim17ROCPRIM_400000_NS6detail17trampoline_kernelINS0_14default_configENS1_25partition_config_selectorILNS1_17partition_subalgoE8EiNS0_10empty_typeEbEEZZNS1_14partition_implILS5_8ELb0ES3_jPKiPS6_PKS6_NS0_5tupleIJPiS6_EEENSE_IJSB_SB_EEENS0_18inequality_wrapperIN6hipcub16HIPCUB_304000_NS8EqualityEEEPlJS6_EEE10hipError_tPvRmT3_T4_T5_T6_T7_T9_mT8_P12ihipStream_tbDpT10_ENKUlT_T0_E_clISt17integral_constantIbLb0EES17_EEDaS12_S13_EUlS12_E_NS1_11comp_targetILNS1_3genE9ELNS1_11target_archE1100ELNS1_3gpuE3ELNS1_3repE0EEENS1_30default_config_static_selectorELNS0_4arch9wavefront6targetE0EEEvT1_.uses_flat_scratch, 0
	.set _ZN7rocprim17ROCPRIM_400000_NS6detail17trampoline_kernelINS0_14default_configENS1_25partition_config_selectorILNS1_17partition_subalgoE8EiNS0_10empty_typeEbEEZZNS1_14partition_implILS5_8ELb0ES3_jPKiPS6_PKS6_NS0_5tupleIJPiS6_EEENSE_IJSB_SB_EEENS0_18inequality_wrapperIN6hipcub16HIPCUB_304000_NS8EqualityEEEPlJS6_EEE10hipError_tPvRmT3_T4_T5_T6_T7_T9_mT8_P12ihipStream_tbDpT10_ENKUlT_T0_E_clISt17integral_constantIbLb0EES17_EEDaS12_S13_EUlS12_E_NS1_11comp_targetILNS1_3genE9ELNS1_11target_archE1100ELNS1_3gpuE3ELNS1_3repE0EEENS1_30default_config_static_selectorELNS0_4arch9wavefront6targetE0EEEvT1_.has_dyn_sized_stack, 0
	.set _ZN7rocprim17ROCPRIM_400000_NS6detail17trampoline_kernelINS0_14default_configENS1_25partition_config_selectorILNS1_17partition_subalgoE8EiNS0_10empty_typeEbEEZZNS1_14partition_implILS5_8ELb0ES3_jPKiPS6_PKS6_NS0_5tupleIJPiS6_EEENSE_IJSB_SB_EEENS0_18inequality_wrapperIN6hipcub16HIPCUB_304000_NS8EqualityEEEPlJS6_EEE10hipError_tPvRmT3_T4_T5_T6_T7_T9_mT8_P12ihipStream_tbDpT10_ENKUlT_T0_E_clISt17integral_constantIbLb0EES17_EEDaS12_S13_EUlS12_E_NS1_11comp_targetILNS1_3genE9ELNS1_11target_archE1100ELNS1_3gpuE3ELNS1_3repE0EEENS1_30default_config_static_selectorELNS0_4arch9wavefront6targetE0EEEvT1_.has_recursion, 0
	.set _ZN7rocprim17ROCPRIM_400000_NS6detail17trampoline_kernelINS0_14default_configENS1_25partition_config_selectorILNS1_17partition_subalgoE8EiNS0_10empty_typeEbEEZZNS1_14partition_implILS5_8ELb0ES3_jPKiPS6_PKS6_NS0_5tupleIJPiS6_EEENSE_IJSB_SB_EEENS0_18inequality_wrapperIN6hipcub16HIPCUB_304000_NS8EqualityEEEPlJS6_EEE10hipError_tPvRmT3_T4_T5_T6_T7_T9_mT8_P12ihipStream_tbDpT10_ENKUlT_T0_E_clISt17integral_constantIbLb0EES17_EEDaS12_S13_EUlS12_E_NS1_11comp_targetILNS1_3genE9ELNS1_11target_archE1100ELNS1_3gpuE3ELNS1_3repE0EEENS1_30default_config_static_selectorELNS0_4arch9wavefront6targetE0EEEvT1_.has_indirect_call, 0
	.section	.AMDGPU.csdata,"",@progbits
; Kernel info:
; codeLenInByte = 0
; TotalNumSgprs: 0
; NumVgprs: 0
; ScratchSize: 0
; MemoryBound: 0
; FloatMode: 240
; IeeeMode: 1
; LDSByteSize: 0 bytes/workgroup (compile time only)
; SGPRBlocks: 0
; VGPRBlocks: 0
; NumSGPRsForWavesPerEU: 1
; NumVGPRsForWavesPerEU: 1
; NamedBarCnt: 0
; Occupancy: 16
; WaveLimiterHint : 0
; COMPUTE_PGM_RSRC2:SCRATCH_EN: 0
; COMPUTE_PGM_RSRC2:USER_SGPR: 2
; COMPUTE_PGM_RSRC2:TRAP_HANDLER: 0
; COMPUTE_PGM_RSRC2:TGID_X_EN: 1
; COMPUTE_PGM_RSRC2:TGID_Y_EN: 0
; COMPUTE_PGM_RSRC2:TGID_Z_EN: 0
; COMPUTE_PGM_RSRC2:TIDIG_COMP_CNT: 0
	.section	.text._ZN7rocprim17ROCPRIM_400000_NS6detail17trampoline_kernelINS0_14default_configENS1_25partition_config_selectorILNS1_17partition_subalgoE8EiNS0_10empty_typeEbEEZZNS1_14partition_implILS5_8ELb0ES3_jPKiPS6_PKS6_NS0_5tupleIJPiS6_EEENSE_IJSB_SB_EEENS0_18inequality_wrapperIN6hipcub16HIPCUB_304000_NS8EqualityEEEPlJS6_EEE10hipError_tPvRmT3_T4_T5_T6_T7_T9_mT8_P12ihipStream_tbDpT10_ENKUlT_T0_E_clISt17integral_constantIbLb0EES17_EEDaS12_S13_EUlS12_E_NS1_11comp_targetILNS1_3genE8ELNS1_11target_archE1030ELNS1_3gpuE2ELNS1_3repE0EEENS1_30default_config_static_selectorELNS0_4arch9wavefront6targetE0EEEvT1_,"axG",@progbits,_ZN7rocprim17ROCPRIM_400000_NS6detail17trampoline_kernelINS0_14default_configENS1_25partition_config_selectorILNS1_17partition_subalgoE8EiNS0_10empty_typeEbEEZZNS1_14partition_implILS5_8ELb0ES3_jPKiPS6_PKS6_NS0_5tupleIJPiS6_EEENSE_IJSB_SB_EEENS0_18inequality_wrapperIN6hipcub16HIPCUB_304000_NS8EqualityEEEPlJS6_EEE10hipError_tPvRmT3_T4_T5_T6_T7_T9_mT8_P12ihipStream_tbDpT10_ENKUlT_T0_E_clISt17integral_constantIbLb0EES17_EEDaS12_S13_EUlS12_E_NS1_11comp_targetILNS1_3genE8ELNS1_11target_archE1030ELNS1_3gpuE2ELNS1_3repE0EEENS1_30default_config_static_selectorELNS0_4arch9wavefront6targetE0EEEvT1_,comdat
	.protected	_ZN7rocprim17ROCPRIM_400000_NS6detail17trampoline_kernelINS0_14default_configENS1_25partition_config_selectorILNS1_17partition_subalgoE8EiNS0_10empty_typeEbEEZZNS1_14partition_implILS5_8ELb0ES3_jPKiPS6_PKS6_NS0_5tupleIJPiS6_EEENSE_IJSB_SB_EEENS0_18inequality_wrapperIN6hipcub16HIPCUB_304000_NS8EqualityEEEPlJS6_EEE10hipError_tPvRmT3_T4_T5_T6_T7_T9_mT8_P12ihipStream_tbDpT10_ENKUlT_T0_E_clISt17integral_constantIbLb0EES17_EEDaS12_S13_EUlS12_E_NS1_11comp_targetILNS1_3genE8ELNS1_11target_archE1030ELNS1_3gpuE2ELNS1_3repE0EEENS1_30default_config_static_selectorELNS0_4arch9wavefront6targetE0EEEvT1_ ; -- Begin function _ZN7rocprim17ROCPRIM_400000_NS6detail17trampoline_kernelINS0_14default_configENS1_25partition_config_selectorILNS1_17partition_subalgoE8EiNS0_10empty_typeEbEEZZNS1_14partition_implILS5_8ELb0ES3_jPKiPS6_PKS6_NS0_5tupleIJPiS6_EEENSE_IJSB_SB_EEENS0_18inequality_wrapperIN6hipcub16HIPCUB_304000_NS8EqualityEEEPlJS6_EEE10hipError_tPvRmT3_T4_T5_T6_T7_T9_mT8_P12ihipStream_tbDpT10_ENKUlT_T0_E_clISt17integral_constantIbLb0EES17_EEDaS12_S13_EUlS12_E_NS1_11comp_targetILNS1_3genE8ELNS1_11target_archE1030ELNS1_3gpuE2ELNS1_3repE0EEENS1_30default_config_static_selectorELNS0_4arch9wavefront6targetE0EEEvT1_
	.globl	_ZN7rocprim17ROCPRIM_400000_NS6detail17trampoline_kernelINS0_14default_configENS1_25partition_config_selectorILNS1_17partition_subalgoE8EiNS0_10empty_typeEbEEZZNS1_14partition_implILS5_8ELb0ES3_jPKiPS6_PKS6_NS0_5tupleIJPiS6_EEENSE_IJSB_SB_EEENS0_18inequality_wrapperIN6hipcub16HIPCUB_304000_NS8EqualityEEEPlJS6_EEE10hipError_tPvRmT3_T4_T5_T6_T7_T9_mT8_P12ihipStream_tbDpT10_ENKUlT_T0_E_clISt17integral_constantIbLb0EES17_EEDaS12_S13_EUlS12_E_NS1_11comp_targetILNS1_3genE8ELNS1_11target_archE1030ELNS1_3gpuE2ELNS1_3repE0EEENS1_30default_config_static_selectorELNS0_4arch9wavefront6targetE0EEEvT1_
	.p2align	8
	.type	_ZN7rocprim17ROCPRIM_400000_NS6detail17trampoline_kernelINS0_14default_configENS1_25partition_config_selectorILNS1_17partition_subalgoE8EiNS0_10empty_typeEbEEZZNS1_14partition_implILS5_8ELb0ES3_jPKiPS6_PKS6_NS0_5tupleIJPiS6_EEENSE_IJSB_SB_EEENS0_18inequality_wrapperIN6hipcub16HIPCUB_304000_NS8EqualityEEEPlJS6_EEE10hipError_tPvRmT3_T4_T5_T6_T7_T9_mT8_P12ihipStream_tbDpT10_ENKUlT_T0_E_clISt17integral_constantIbLb0EES17_EEDaS12_S13_EUlS12_E_NS1_11comp_targetILNS1_3genE8ELNS1_11target_archE1030ELNS1_3gpuE2ELNS1_3repE0EEENS1_30default_config_static_selectorELNS0_4arch9wavefront6targetE0EEEvT1_,@function
_ZN7rocprim17ROCPRIM_400000_NS6detail17trampoline_kernelINS0_14default_configENS1_25partition_config_selectorILNS1_17partition_subalgoE8EiNS0_10empty_typeEbEEZZNS1_14partition_implILS5_8ELb0ES3_jPKiPS6_PKS6_NS0_5tupleIJPiS6_EEENSE_IJSB_SB_EEENS0_18inequality_wrapperIN6hipcub16HIPCUB_304000_NS8EqualityEEEPlJS6_EEE10hipError_tPvRmT3_T4_T5_T6_T7_T9_mT8_P12ihipStream_tbDpT10_ENKUlT_T0_E_clISt17integral_constantIbLb0EES17_EEDaS12_S13_EUlS12_E_NS1_11comp_targetILNS1_3genE8ELNS1_11target_archE1030ELNS1_3gpuE2ELNS1_3repE0EEENS1_30default_config_static_selectorELNS0_4arch9wavefront6targetE0EEEvT1_: ; @_ZN7rocprim17ROCPRIM_400000_NS6detail17trampoline_kernelINS0_14default_configENS1_25partition_config_selectorILNS1_17partition_subalgoE8EiNS0_10empty_typeEbEEZZNS1_14partition_implILS5_8ELb0ES3_jPKiPS6_PKS6_NS0_5tupleIJPiS6_EEENSE_IJSB_SB_EEENS0_18inequality_wrapperIN6hipcub16HIPCUB_304000_NS8EqualityEEEPlJS6_EEE10hipError_tPvRmT3_T4_T5_T6_T7_T9_mT8_P12ihipStream_tbDpT10_ENKUlT_T0_E_clISt17integral_constantIbLb0EES17_EEDaS12_S13_EUlS12_E_NS1_11comp_targetILNS1_3genE8ELNS1_11target_archE1030ELNS1_3gpuE2ELNS1_3repE0EEENS1_30default_config_static_selectorELNS0_4arch9wavefront6targetE0EEEvT1_
; %bb.0:
	.section	.rodata,"a",@progbits
	.p2align	6, 0x0
	.amdhsa_kernel _ZN7rocprim17ROCPRIM_400000_NS6detail17trampoline_kernelINS0_14default_configENS1_25partition_config_selectorILNS1_17partition_subalgoE8EiNS0_10empty_typeEbEEZZNS1_14partition_implILS5_8ELb0ES3_jPKiPS6_PKS6_NS0_5tupleIJPiS6_EEENSE_IJSB_SB_EEENS0_18inequality_wrapperIN6hipcub16HIPCUB_304000_NS8EqualityEEEPlJS6_EEE10hipError_tPvRmT3_T4_T5_T6_T7_T9_mT8_P12ihipStream_tbDpT10_ENKUlT_T0_E_clISt17integral_constantIbLb0EES17_EEDaS12_S13_EUlS12_E_NS1_11comp_targetILNS1_3genE8ELNS1_11target_archE1030ELNS1_3gpuE2ELNS1_3repE0EEENS1_30default_config_static_selectorELNS0_4arch9wavefront6targetE0EEEvT1_
		.amdhsa_group_segment_fixed_size 0
		.amdhsa_private_segment_fixed_size 0
		.amdhsa_kernarg_size 112
		.amdhsa_user_sgpr_count 2
		.amdhsa_user_sgpr_dispatch_ptr 0
		.amdhsa_user_sgpr_queue_ptr 0
		.amdhsa_user_sgpr_kernarg_segment_ptr 1
		.amdhsa_user_sgpr_dispatch_id 0
		.amdhsa_user_sgpr_kernarg_preload_length 0
		.amdhsa_user_sgpr_kernarg_preload_offset 0
		.amdhsa_user_sgpr_private_segment_size 0
		.amdhsa_wavefront_size32 1
		.amdhsa_uses_dynamic_stack 0
		.amdhsa_enable_private_segment 0
		.amdhsa_system_sgpr_workgroup_id_x 1
		.amdhsa_system_sgpr_workgroup_id_y 0
		.amdhsa_system_sgpr_workgroup_id_z 0
		.amdhsa_system_sgpr_workgroup_info 0
		.amdhsa_system_vgpr_workitem_id 0
		.amdhsa_next_free_vgpr 1
		.amdhsa_next_free_sgpr 1
		.amdhsa_named_barrier_count 0
		.amdhsa_reserve_vcc 0
		.amdhsa_float_round_mode_32 0
		.amdhsa_float_round_mode_16_64 0
		.amdhsa_float_denorm_mode_32 3
		.amdhsa_float_denorm_mode_16_64 3
		.amdhsa_fp16_overflow 0
		.amdhsa_memory_ordered 1
		.amdhsa_forward_progress 1
		.amdhsa_inst_pref_size 0
		.amdhsa_round_robin_scheduling 0
		.amdhsa_exception_fp_ieee_invalid_op 0
		.amdhsa_exception_fp_denorm_src 0
		.amdhsa_exception_fp_ieee_div_zero 0
		.amdhsa_exception_fp_ieee_overflow 0
		.amdhsa_exception_fp_ieee_underflow 0
		.amdhsa_exception_fp_ieee_inexact 0
		.amdhsa_exception_int_div_zero 0
	.end_amdhsa_kernel
	.section	.text._ZN7rocprim17ROCPRIM_400000_NS6detail17trampoline_kernelINS0_14default_configENS1_25partition_config_selectorILNS1_17partition_subalgoE8EiNS0_10empty_typeEbEEZZNS1_14partition_implILS5_8ELb0ES3_jPKiPS6_PKS6_NS0_5tupleIJPiS6_EEENSE_IJSB_SB_EEENS0_18inequality_wrapperIN6hipcub16HIPCUB_304000_NS8EqualityEEEPlJS6_EEE10hipError_tPvRmT3_T4_T5_T6_T7_T9_mT8_P12ihipStream_tbDpT10_ENKUlT_T0_E_clISt17integral_constantIbLb0EES17_EEDaS12_S13_EUlS12_E_NS1_11comp_targetILNS1_3genE8ELNS1_11target_archE1030ELNS1_3gpuE2ELNS1_3repE0EEENS1_30default_config_static_selectorELNS0_4arch9wavefront6targetE0EEEvT1_,"axG",@progbits,_ZN7rocprim17ROCPRIM_400000_NS6detail17trampoline_kernelINS0_14default_configENS1_25partition_config_selectorILNS1_17partition_subalgoE8EiNS0_10empty_typeEbEEZZNS1_14partition_implILS5_8ELb0ES3_jPKiPS6_PKS6_NS0_5tupleIJPiS6_EEENSE_IJSB_SB_EEENS0_18inequality_wrapperIN6hipcub16HIPCUB_304000_NS8EqualityEEEPlJS6_EEE10hipError_tPvRmT3_T4_T5_T6_T7_T9_mT8_P12ihipStream_tbDpT10_ENKUlT_T0_E_clISt17integral_constantIbLb0EES17_EEDaS12_S13_EUlS12_E_NS1_11comp_targetILNS1_3genE8ELNS1_11target_archE1030ELNS1_3gpuE2ELNS1_3repE0EEENS1_30default_config_static_selectorELNS0_4arch9wavefront6targetE0EEEvT1_,comdat
.Lfunc_end185:
	.size	_ZN7rocprim17ROCPRIM_400000_NS6detail17trampoline_kernelINS0_14default_configENS1_25partition_config_selectorILNS1_17partition_subalgoE8EiNS0_10empty_typeEbEEZZNS1_14partition_implILS5_8ELb0ES3_jPKiPS6_PKS6_NS0_5tupleIJPiS6_EEENSE_IJSB_SB_EEENS0_18inequality_wrapperIN6hipcub16HIPCUB_304000_NS8EqualityEEEPlJS6_EEE10hipError_tPvRmT3_T4_T5_T6_T7_T9_mT8_P12ihipStream_tbDpT10_ENKUlT_T0_E_clISt17integral_constantIbLb0EES17_EEDaS12_S13_EUlS12_E_NS1_11comp_targetILNS1_3genE8ELNS1_11target_archE1030ELNS1_3gpuE2ELNS1_3repE0EEENS1_30default_config_static_selectorELNS0_4arch9wavefront6targetE0EEEvT1_, .Lfunc_end185-_ZN7rocprim17ROCPRIM_400000_NS6detail17trampoline_kernelINS0_14default_configENS1_25partition_config_selectorILNS1_17partition_subalgoE8EiNS0_10empty_typeEbEEZZNS1_14partition_implILS5_8ELb0ES3_jPKiPS6_PKS6_NS0_5tupleIJPiS6_EEENSE_IJSB_SB_EEENS0_18inequality_wrapperIN6hipcub16HIPCUB_304000_NS8EqualityEEEPlJS6_EEE10hipError_tPvRmT3_T4_T5_T6_T7_T9_mT8_P12ihipStream_tbDpT10_ENKUlT_T0_E_clISt17integral_constantIbLb0EES17_EEDaS12_S13_EUlS12_E_NS1_11comp_targetILNS1_3genE8ELNS1_11target_archE1030ELNS1_3gpuE2ELNS1_3repE0EEENS1_30default_config_static_selectorELNS0_4arch9wavefront6targetE0EEEvT1_
                                        ; -- End function
	.set _ZN7rocprim17ROCPRIM_400000_NS6detail17trampoline_kernelINS0_14default_configENS1_25partition_config_selectorILNS1_17partition_subalgoE8EiNS0_10empty_typeEbEEZZNS1_14partition_implILS5_8ELb0ES3_jPKiPS6_PKS6_NS0_5tupleIJPiS6_EEENSE_IJSB_SB_EEENS0_18inequality_wrapperIN6hipcub16HIPCUB_304000_NS8EqualityEEEPlJS6_EEE10hipError_tPvRmT3_T4_T5_T6_T7_T9_mT8_P12ihipStream_tbDpT10_ENKUlT_T0_E_clISt17integral_constantIbLb0EES17_EEDaS12_S13_EUlS12_E_NS1_11comp_targetILNS1_3genE8ELNS1_11target_archE1030ELNS1_3gpuE2ELNS1_3repE0EEENS1_30default_config_static_selectorELNS0_4arch9wavefront6targetE0EEEvT1_.num_vgpr, 0
	.set _ZN7rocprim17ROCPRIM_400000_NS6detail17trampoline_kernelINS0_14default_configENS1_25partition_config_selectorILNS1_17partition_subalgoE8EiNS0_10empty_typeEbEEZZNS1_14partition_implILS5_8ELb0ES3_jPKiPS6_PKS6_NS0_5tupleIJPiS6_EEENSE_IJSB_SB_EEENS0_18inequality_wrapperIN6hipcub16HIPCUB_304000_NS8EqualityEEEPlJS6_EEE10hipError_tPvRmT3_T4_T5_T6_T7_T9_mT8_P12ihipStream_tbDpT10_ENKUlT_T0_E_clISt17integral_constantIbLb0EES17_EEDaS12_S13_EUlS12_E_NS1_11comp_targetILNS1_3genE8ELNS1_11target_archE1030ELNS1_3gpuE2ELNS1_3repE0EEENS1_30default_config_static_selectorELNS0_4arch9wavefront6targetE0EEEvT1_.num_agpr, 0
	.set _ZN7rocprim17ROCPRIM_400000_NS6detail17trampoline_kernelINS0_14default_configENS1_25partition_config_selectorILNS1_17partition_subalgoE8EiNS0_10empty_typeEbEEZZNS1_14partition_implILS5_8ELb0ES3_jPKiPS6_PKS6_NS0_5tupleIJPiS6_EEENSE_IJSB_SB_EEENS0_18inequality_wrapperIN6hipcub16HIPCUB_304000_NS8EqualityEEEPlJS6_EEE10hipError_tPvRmT3_T4_T5_T6_T7_T9_mT8_P12ihipStream_tbDpT10_ENKUlT_T0_E_clISt17integral_constantIbLb0EES17_EEDaS12_S13_EUlS12_E_NS1_11comp_targetILNS1_3genE8ELNS1_11target_archE1030ELNS1_3gpuE2ELNS1_3repE0EEENS1_30default_config_static_selectorELNS0_4arch9wavefront6targetE0EEEvT1_.numbered_sgpr, 0
	.set _ZN7rocprim17ROCPRIM_400000_NS6detail17trampoline_kernelINS0_14default_configENS1_25partition_config_selectorILNS1_17partition_subalgoE8EiNS0_10empty_typeEbEEZZNS1_14partition_implILS5_8ELb0ES3_jPKiPS6_PKS6_NS0_5tupleIJPiS6_EEENSE_IJSB_SB_EEENS0_18inequality_wrapperIN6hipcub16HIPCUB_304000_NS8EqualityEEEPlJS6_EEE10hipError_tPvRmT3_T4_T5_T6_T7_T9_mT8_P12ihipStream_tbDpT10_ENKUlT_T0_E_clISt17integral_constantIbLb0EES17_EEDaS12_S13_EUlS12_E_NS1_11comp_targetILNS1_3genE8ELNS1_11target_archE1030ELNS1_3gpuE2ELNS1_3repE0EEENS1_30default_config_static_selectorELNS0_4arch9wavefront6targetE0EEEvT1_.num_named_barrier, 0
	.set _ZN7rocprim17ROCPRIM_400000_NS6detail17trampoline_kernelINS0_14default_configENS1_25partition_config_selectorILNS1_17partition_subalgoE8EiNS0_10empty_typeEbEEZZNS1_14partition_implILS5_8ELb0ES3_jPKiPS6_PKS6_NS0_5tupleIJPiS6_EEENSE_IJSB_SB_EEENS0_18inequality_wrapperIN6hipcub16HIPCUB_304000_NS8EqualityEEEPlJS6_EEE10hipError_tPvRmT3_T4_T5_T6_T7_T9_mT8_P12ihipStream_tbDpT10_ENKUlT_T0_E_clISt17integral_constantIbLb0EES17_EEDaS12_S13_EUlS12_E_NS1_11comp_targetILNS1_3genE8ELNS1_11target_archE1030ELNS1_3gpuE2ELNS1_3repE0EEENS1_30default_config_static_selectorELNS0_4arch9wavefront6targetE0EEEvT1_.private_seg_size, 0
	.set _ZN7rocprim17ROCPRIM_400000_NS6detail17trampoline_kernelINS0_14default_configENS1_25partition_config_selectorILNS1_17partition_subalgoE8EiNS0_10empty_typeEbEEZZNS1_14partition_implILS5_8ELb0ES3_jPKiPS6_PKS6_NS0_5tupleIJPiS6_EEENSE_IJSB_SB_EEENS0_18inequality_wrapperIN6hipcub16HIPCUB_304000_NS8EqualityEEEPlJS6_EEE10hipError_tPvRmT3_T4_T5_T6_T7_T9_mT8_P12ihipStream_tbDpT10_ENKUlT_T0_E_clISt17integral_constantIbLb0EES17_EEDaS12_S13_EUlS12_E_NS1_11comp_targetILNS1_3genE8ELNS1_11target_archE1030ELNS1_3gpuE2ELNS1_3repE0EEENS1_30default_config_static_selectorELNS0_4arch9wavefront6targetE0EEEvT1_.uses_vcc, 0
	.set _ZN7rocprim17ROCPRIM_400000_NS6detail17trampoline_kernelINS0_14default_configENS1_25partition_config_selectorILNS1_17partition_subalgoE8EiNS0_10empty_typeEbEEZZNS1_14partition_implILS5_8ELb0ES3_jPKiPS6_PKS6_NS0_5tupleIJPiS6_EEENSE_IJSB_SB_EEENS0_18inequality_wrapperIN6hipcub16HIPCUB_304000_NS8EqualityEEEPlJS6_EEE10hipError_tPvRmT3_T4_T5_T6_T7_T9_mT8_P12ihipStream_tbDpT10_ENKUlT_T0_E_clISt17integral_constantIbLb0EES17_EEDaS12_S13_EUlS12_E_NS1_11comp_targetILNS1_3genE8ELNS1_11target_archE1030ELNS1_3gpuE2ELNS1_3repE0EEENS1_30default_config_static_selectorELNS0_4arch9wavefront6targetE0EEEvT1_.uses_flat_scratch, 0
	.set _ZN7rocprim17ROCPRIM_400000_NS6detail17trampoline_kernelINS0_14default_configENS1_25partition_config_selectorILNS1_17partition_subalgoE8EiNS0_10empty_typeEbEEZZNS1_14partition_implILS5_8ELb0ES3_jPKiPS6_PKS6_NS0_5tupleIJPiS6_EEENSE_IJSB_SB_EEENS0_18inequality_wrapperIN6hipcub16HIPCUB_304000_NS8EqualityEEEPlJS6_EEE10hipError_tPvRmT3_T4_T5_T6_T7_T9_mT8_P12ihipStream_tbDpT10_ENKUlT_T0_E_clISt17integral_constantIbLb0EES17_EEDaS12_S13_EUlS12_E_NS1_11comp_targetILNS1_3genE8ELNS1_11target_archE1030ELNS1_3gpuE2ELNS1_3repE0EEENS1_30default_config_static_selectorELNS0_4arch9wavefront6targetE0EEEvT1_.has_dyn_sized_stack, 0
	.set _ZN7rocprim17ROCPRIM_400000_NS6detail17trampoline_kernelINS0_14default_configENS1_25partition_config_selectorILNS1_17partition_subalgoE8EiNS0_10empty_typeEbEEZZNS1_14partition_implILS5_8ELb0ES3_jPKiPS6_PKS6_NS0_5tupleIJPiS6_EEENSE_IJSB_SB_EEENS0_18inequality_wrapperIN6hipcub16HIPCUB_304000_NS8EqualityEEEPlJS6_EEE10hipError_tPvRmT3_T4_T5_T6_T7_T9_mT8_P12ihipStream_tbDpT10_ENKUlT_T0_E_clISt17integral_constantIbLb0EES17_EEDaS12_S13_EUlS12_E_NS1_11comp_targetILNS1_3genE8ELNS1_11target_archE1030ELNS1_3gpuE2ELNS1_3repE0EEENS1_30default_config_static_selectorELNS0_4arch9wavefront6targetE0EEEvT1_.has_recursion, 0
	.set _ZN7rocprim17ROCPRIM_400000_NS6detail17trampoline_kernelINS0_14default_configENS1_25partition_config_selectorILNS1_17partition_subalgoE8EiNS0_10empty_typeEbEEZZNS1_14partition_implILS5_8ELb0ES3_jPKiPS6_PKS6_NS0_5tupleIJPiS6_EEENSE_IJSB_SB_EEENS0_18inequality_wrapperIN6hipcub16HIPCUB_304000_NS8EqualityEEEPlJS6_EEE10hipError_tPvRmT3_T4_T5_T6_T7_T9_mT8_P12ihipStream_tbDpT10_ENKUlT_T0_E_clISt17integral_constantIbLb0EES17_EEDaS12_S13_EUlS12_E_NS1_11comp_targetILNS1_3genE8ELNS1_11target_archE1030ELNS1_3gpuE2ELNS1_3repE0EEENS1_30default_config_static_selectorELNS0_4arch9wavefront6targetE0EEEvT1_.has_indirect_call, 0
	.section	.AMDGPU.csdata,"",@progbits
; Kernel info:
; codeLenInByte = 0
; TotalNumSgprs: 0
; NumVgprs: 0
; ScratchSize: 0
; MemoryBound: 0
; FloatMode: 240
; IeeeMode: 1
; LDSByteSize: 0 bytes/workgroup (compile time only)
; SGPRBlocks: 0
; VGPRBlocks: 0
; NumSGPRsForWavesPerEU: 1
; NumVGPRsForWavesPerEU: 1
; NamedBarCnt: 0
; Occupancy: 16
; WaveLimiterHint : 0
; COMPUTE_PGM_RSRC2:SCRATCH_EN: 0
; COMPUTE_PGM_RSRC2:USER_SGPR: 2
; COMPUTE_PGM_RSRC2:TRAP_HANDLER: 0
; COMPUTE_PGM_RSRC2:TGID_X_EN: 1
; COMPUTE_PGM_RSRC2:TGID_Y_EN: 0
; COMPUTE_PGM_RSRC2:TGID_Z_EN: 0
; COMPUTE_PGM_RSRC2:TIDIG_COMP_CNT: 0
	.section	.text._ZN7rocprim17ROCPRIM_400000_NS6detail17trampoline_kernelINS0_14default_configENS1_25transform_config_selectorImLb1EEEZNS1_14transform_implILb1ES3_S5_PmPlNS0_8identityIvEEEE10hipError_tT2_T3_mT4_P12ihipStream_tbEUlT_E_NS1_11comp_targetILNS1_3genE0ELNS1_11target_archE4294967295ELNS1_3gpuE0ELNS1_3repE0EEENS1_30default_config_static_selectorELNS0_4arch9wavefront6targetE0EEEvT1_,"axG",@progbits,_ZN7rocprim17ROCPRIM_400000_NS6detail17trampoline_kernelINS0_14default_configENS1_25transform_config_selectorImLb1EEEZNS1_14transform_implILb1ES3_S5_PmPlNS0_8identityIvEEEE10hipError_tT2_T3_mT4_P12ihipStream_tbEUlT_E_NS1_11comp_targetILNS1_3genE0ELNS1_11target_archE4294967295ELNS1_3gpuE0ELNS1_3repE0EEENS1_30default_config_static_selectorELNS0_4arch9wavefront6targetE0EEEvT1_,comdat
	.protected	_ZN7rocprim17ROCPRIM_400000_NS6detail17trampoline_kernelINS0_14default_configENS1_25transform_config_selectorImLb1EEEZNS1_14transform_implILb1ES3_S5_PmPlNS0_8identityIvEEEE10hipError_tT2_T3_mT4_P12ihipStream_tbEUlT_E_NS1_11comp_targetILNS1_3genE0ELNS1_11target_archE4294967295ELNS1_3gpuE0ELNS1_3repE0EEENS1_30default_config_static_selectorELNS0_4arch9wavefront6targetE0EEEvT1_ ; -- Begin function _ZN7rocprim17ROCPRIM_400000_NS6detail17trampoline_kernelINS0_14default_configENS1_25transform_config_selectorImLb1EEEZNS1_14transform_implILb1ES3_S5_PmPlNS0_8identityIvEEEE10hipError_tT2_T3_mT4_P12ihipStream_tbEUlT_E_NS1_11comp_targetILNS1_3genE0ELNS1_11target_archE4294967295ELNS1_3gpuE0ELNS1_3repE0EEENS1_30default_config_static_selectorELNS0_4arch9wavefront6targetE0EEEvT1_
	.globl	_ZN7rocprim17ROCPRIM_400000_NS6detail17trampoline_kernelINS0_14default_configENS1_25transform_config_selectorImLb1EEEZNS1_14transform_implILb1ES3_S5_PmPlNS0_8identityIvEEEE10hipError_tT2_T3_mT4_P12ihipStream_tbEUlT_E_NS1_11comp_targetILNS1_3genE0ELNS1_11target_archE4294967295ELNS1_3gpuE0ELNS1_3repE0EEENS1_30default_config_static_selectorELNS0_4arch9wavefront6targetE0EEEvT1_
	.p2align	8
	.type	_ZN7rocprim17ROCPRIM_400000_NS6detail17trampoline_kernelINS0_14default_configENS1_25transform_config_selectorImLb1EEEZNS1_14transform_implILb1ES3_S5_PmPlNS0_8identityIvEEEE10hipError_tT2_T3_mT4_P12ihipStream_tbEUlT_E_NS1_11comp_targetILNS1_3genE0ELNS1_11target_archE4294967295ELNS1_3gpuE0ELNS1_3repE0EEENS1_30default_config_static_selectorELNS0_4arch9wavefront6targetE0EEEvT1_,@function
_ZN7rocprim17ROCPRIM_400000_NS6detail17trampoline_kernelINS0_14default_configENS1_25transform_config_selectorImLb1EEEZNS1_14transform_implILb1ES3_S5_PmPlNS0_8identityIvEEEE10hipError_tT2_T3_mT4_P12ihipStream_tbEUlT_E_NS1_11comp_targetILNS1_3genE0ELNS1_11target_archE4294967295ELNS1_3gpuE0ELNS1_3repE0EEENS1_30default_config_static_selectorELNS0_4arch9wavefront6targetE0EEEvT1_: ; @_ZN7rocprim17ROCPRIM_400000_NS6detail17trampoline_kernelINS0_14default_configENS1_25transform_config_selectorImLb1EEEZNS1_14transform_implILb1ES3_S5_PmPlNS0_8identityIvEEEE10hipError_tT2_T3_mT4_P12ihipStream_tbEUlT_E_NS1_11comp_targetILNS1_3genE0ELNS1_11target_archE4294967295ELNS1_3gpuE0ELNS1_3repE0EEENS1_30default_config_static_selectorELNS0_4arch9wavefront6targetE0EEEvT1_
; %bb.0:
	s_clause 0x1
	s_load_b32 s2, s[0:1], 0x28
	s_load_b32 s3, s[0:1], 0x10
	s_bfe_u32 s4, ttmp6, 0x4000c
	s_and_b32 s5, ttmp6, 15
	s_add_co_i32 s4, s4, 1
	s_getreg_b32 s6, hwreg(HW_REG_IB_STS2, 6, 4)
	s_mul_i32 s4, ttmp9, s4
	s_delay_alu instid0(SALU_CYCLE_1)
	s_add_co_i32 s5, s5, s4
	s_cmp_eq_u32 s6, 0
	s_cselect_b32 s4, ttmp9, s5
	s_wait_kmcnt 0x0
	s_add_co_i32 s5, s2, -1
	s_lshl_b32 s2, s4, 7
	s_cmp_lg_u32 s4, s5
	s_cselect_b32 s4, -1, 0
	s_sub_co_i32 s3, s3, s2
	s_delay_alu instid0(SALU_CYCLE_1) | instskip(SKIP_2) | instid1(SALU_CYCLE_1)
	v_cmp_gt_u32_e32 vcc_lo, s3, v0
	s_mov_b32 s3, 0
	s_or_b32 s4, vcc_lo, s4
	s_and_saveexec_b32 s5, s4
	s_cbranch_execz .LBB186_2
; %bb.1:
	s_clause 0x1
	s_load_b128 s[4:7], s[0:1], 0x0
	s_load_b64 s[8:9], s[0:1], 0x18
	s_lshl_b64 s[2:3], s[2:3], 3
	s_wait_kmcnt 0x0
	s_lshl_b64 s[0:1], s[6:7], 3
	s_delay_alu instid0(SALU_CYCLE_1)
	s_add_nc_u64 s[4:5], s[4:5], s[0:1]
	s_add_nc_u64 s[0:1], s[8:9], s[0:1]
	;; [unrolled: 1-line block ×4, first 2 shown]
	global_load_b64 v[2:3], v0, s[4:5] scale_offset
	s_wait_loadcnt 0x0
	global_store_b64 v0, v[2:3], s[0:1] scale_offset
.LBB186_2:
	s_endpgm
	.section	.rodata,"a",@progbits
	.p2align	6, 0x0
	.amdhsa_kernel _ZN7rocprim17ROCPRIM_400000_NS6detail17trampoline_kernelINS0_14default_configENS1_25transform_config_selectorImLb1EEEZNS1_14transform_implILb1ES3_S5_PmPlNS0_8identityIvEEEE10hipError_tT2_T3_mT4_P12ihipStream_tbEUlT_E_NS1_11comp_targetILNS1_3genE0ELNS1_11target_archE4294967295ELNS1_3gpuE0ELNS1_3repE0EEENS1_30default_config_static_selectorELNS0_4arch9wavefront6targetE0EEEvT1_
		.amdhsa_group_segment_fixed_size 0
		.amdhsa_private_segment_fixed_size 0
		.amdhsa_kernarg_size 296
		.amdhsa_user_sgpr_count 2
		.amdhsa_user_sgpr_dispatch_ptr 0
		.amdhsa_user_sgpr_queue_ptr 0
		.amdhsa_user_sgpr_kernarg_segment_ptr 1
		.amdhsa_user_sgpr_dispatch_id 0
		.amdhsa_user_sgpr_kernarg_preload_length 0
		.amdhsa_user_sgpr_kernarg_preload_offset 0
		.amdhsa_user_sgpr_private_segment_size 0
		.amdhsa_wavefront_size32 1
		.amdhsa_uses_dynamic_stack 0
		.amdhsa_enable_private_segment 0
		.amdhsa_system_sgpr_workgroup_id_x 1
		.amdhsa_system_sgpr_workgroup_id_y 0
		.amdhsa_system_sgpr_workgroup_id_z 0
		.amdhsa_system_sgpr_workgroup_info 0
		.amdhsa_system_vgpr_workitem_id 0
		.amdhsa_next_free_vgpr 4
		.amdhsa_next_free_sgpr 10
		.amdhsa_named_barrier_count 0
		.amdhsa_reserve_vcc 1
		.amdhsa_float_round_mode_32 0
		.amdhsa_float_round_mode_16_64 0
		.amdhsa_float_denorm_mode_32 3
		.amdhsa_float_denorm_mode_16_64 3
		.amdhsa_fp16_overflow 0
		.amdhsa_memory_ordered 1
		.amdhsa_forward_progress 1
		.amdhsa_inst_pref_size 2
		.amdhsa_round_robin_scheduling 0
		.amdhsa_exception_fp_ieee_invalid_op 0
		.amdhsa_exception_fp_denorm_src 0
		.amdhsa_exception_fp_ieee_div_zero 0
		.amdhsa_exception_fp_ieee_overflow 0
		.amdhsa_exception_fp_ieee_underflow 0
		.amdhsa_exception_fp_ieee_inexact 0
		.amdhsa_exception_int_div_zero 0
	.end_amdhsa_kernel
	.section	.text._ZN7rocprim17ROCPRIM_400000_NS6detail17trampoline_kernelINS0_14default_configENS1_25transform_config_selectorImLb1EEEZNS1_14transform_implILb1ES3_S5_PmPlNS0_8identityIvEEEE10hipError_tT2_T3_mT4_P12ihipStream_tbEUlT_E_NS1_11comp_targetILNS1_3genE0ELNS1_11target_archE4294967295ELNS1_3gpuE0ELNS1_3repE0EEENS1_30default_config_static_selectorELNS0_4arch9wavefront6targetE0EEEvT1_,"axG",@progbits,_ZN7rocprim17ROCPRIM_400000_NS6detail17trampoline_kernelINS0_14default_configENS1_25transform_config_selectorImLb1EEEZNS1_14transform_implILb1ES3_S5_PmPlNS0_8identityIvEEEE10hipError_tT2_T3_mT4_P12ihipStream_tbEUlT_E_NS1_11comp_targetILNS1_3genE0ELNS1_11target_archE4294967295ELNS1_3gpuE0ELNS1_3repE0EEENS1_30default_config_static_selectorELNS0_4arch9wavefront6targetE0EEEvT1_,comdat
.Lfunc_end186:
	.size	_ZN7rocprim17ROCPRIM_400000_NS6detail17trampoline_kernelINS0_14default_configENS1_25transform_config_selectorImLb1EEEZNS1_14transform_implILb1ES3_S5_PmPlNS0_8identityIvEEEE10hipError_tT2_T3_mT4_P12ihipStream_tbEUlT_E_NS1_11comp_targetILNS1_3genE0ELNS1_11target_archE4294967295ELNS1_3gpuE0ELNS1_3repE0EEENS1_30default_config_static_selectorELNS0_4arch9wavefront6targetE0EEEvT1_, .Lfunc_end186-_ZN7rocprim17ROCPRIM_400000_NS6detail17trampoline_kernelINS0_14default_configENS1_25transform_config_selectorImLb1EEEZNS1_14transform_implILb1ES3_S5_PmPlNS0_8identityIvEEEE10hipError_tT2_T3_mT4_P12ihipStream_tbEUlT_E_NS1_11comp_targetILNS1_3genE0ELNS1_11target_archE4294967295ELNS1_3gpuE0ELNS1_3repE0EEENS1_30default_config_static_selectorELNS0_4arch9wavefront6targetE0EEEvT1_
                                        ; -- End function
	.set _ZN7rocprim17ROCPRIM_400000_NS6detail17trampoline_kernelINS0_14default_configENS1_25transform_config_selectorImLb1EEEZNS1_14transform_implILb1ES3_S5_PmPlNS0_8identityIvEEEE10hipError_tT2_T3_mT4_P12ihipStream_tbEUlT_E_NS1_11comp_targetILNS1_3genE0ELNS1_11target_archE4294967295ELNS1_3gpuE0ELNS1_3repE0EEENS1_30default_config_static_selectorELNS0_4arch9wavefront6targetE0EEEvT1_.num_vgpr, 4
	.set _ZN7rocprim17ROCPRIM_400000_NS6detail17trampoline_kernelINS0_14default_configENS1_25transform_config_selectorImLb1EEEZNS1_14transform_implILb1ES3_S5_PmPlNS0_8identityIvEEEE10hipError_tT2_T3_mT4_P12ihipStream_tbEUlT_E_NS1_11comp_targetILNS1_3genE0ELNS1_11target_archE4294967295ELNS1_3gpuE0ELNS1_3repE0EEENS1_30default_config_static_selectorELNS0_4arch9wavefront6targetE0EEEvT1_.num_agpr, 0
	.set _ZN7rocprim17ROCPRIM_400000_NS6detail17trampoline_kernelINS0_14default_configENS1_25transform_config_selectorImLb1EEEZNS1_14transform_implILb1ES3_S5_PmPlNS0_8identityIvEEEE10hipError_tT2_T3_mT4_P12ihipStream_tbEUlT_E_NS1_11comp_targetILNS1_3genE0ELNS1_11target_archE4294967295ELNS1_3gpuE0ELNS1_3repE0EEENS1_30default_config_static_selectorELNS0_4arch9wavefront6targetE0EEEvT1_.numbered_sgpr, 10
	.set _ZN7rocprim17ROCPRIM_400000_NS6detail17trampoline_kernelINS0_14default_configENS1_25transform_config_selectorImLb1EEEZNS1_14transform_implILb1ES3_S5_PmPlNS0_8identityIvEEEE10hipError_tT2_T3_mT4_P12ihipStream_tbEUlT_E_NS1_11comp_targetILNS1_3genE0ELNS1_11target_archE4294967295ELNS1_3gpuE0ELNS1_3repE0EEENS1_30default_config_static_selectorELNS0_4arch9wavefront6targetE0EEEvT1_.num_named_barrier, 0
	.set _ZN7rocprim17ROCPRIM_400000_NS6detail17trampoline_kernelINS0_14default_configENS1_25transform_config_selectorImLb1EEEZNS1_14transform_implILb1ES3_S5_PmPlNS0_8identityIvEEEE10hipError_tT2_T3_mT4_P12ihipStream_tbEUlT_E_NS1_11comp_targetILNS1_3genE0ELNS1_11target_archE4294967295ELNS1_3gpuE0ELNS1_3repE0EEENS1_30default_config_static_selectorELNS0_4arch9wavefront6targetE0EEEvT1_.private_seg_size, 0
	.set _ZN7rocprim17ROCPRIM_400000_NS6detail17trampoline_kernelINS0_14default_configENS1_25transform_config_selectorImLb1EEEZNS1_14transform_implILb1ES3_S5_PmPlNS0_8identityIvEEEE10hipError_tT2_T3_mT4_P12ihipStream_tbEUlT_E_NS1_11comp_targetILNS1_3genE0ELNS1_11target_archE4294967295ELNS1_3gpuE0ELNS1_3repE0EEENS1_30default_config_static_selectorELNS0_4arch9wavefront6targetE0EEEvT1_.uses_vcc, 1
	.set _ZN7rocprim17ROCPRIM_400000_NS6detail17trampoline_kernelINS0_14default_configENS1_25transform_config_selectorImLb1EEEZNS1_14transform_implILb1ES3_S5_PmPlNS0_8identityIvEEEE10hipError_tT2_T3_mT4_P12ihipStream_tbEUlT_E_NS1_11comp_targetILNS1_3genE0ELNS1_11target_archE4294967295ELNS1_3gpuE0ELNS1_3repE0EEENS1_30default_config_static_selectorELNS0_4arch9wavefront6targetE0EEEvT1_.uses_flat_scratch, 0
	.set _ZN7rocprim17ROCPRIM_400000_NS6detail17trampoline_kernelINS0_14default_configENS1_25transform_config_selectorImLb1EEEZNS1_14transform_implILb1ES3_S5_PmPlNS0_8identityIvEEEE10hipError_tT2_T3_mT4_P12ihipStream_tbEUlT_E_NS1_11comp_targetILNS1_3genE0ELNS1_11target_archE4294967295ELNS1_3gpuE0ELNS1_3repE0EEENS1_30default_config_static_selectorELNS0_4arch9wavefront6targetE0EEEvT1_.has_dyn_sized_stack, 0
	.set _ZN7rocprim17ROCPRIM_400000_NS6detail17trampoline_kernelINS0_14default_configENS1_25transform_config_selectorImLb1EEEZNS1_14transform_implILb1ES3_S5_PmPlNS0_8identityIvEEEE10hipError_tT2_T3_mT4_P12ihipStream_tbEUlT_E_NS1_11comp_targetILNS1_3genE0ELNS1_11target_archE4294967295ELNS1_3gpuE0ELNS1_3repE0EEENS1_30default_config_static_selectorELNS0_4arch9wavefront6targetE0EEEvT1_.has_recursion, 0
	.set _ZN7rocprim17ROCPRIM_400000_NS6detail17trampoline_kernelINS0_14default_configENS1_25transform_config_selectorImLb1EEEZNS1_14transform_implILb1ES3_S5_PmPlNS0_8identityIvEEEE10hipError_tT2_T3_mT4_P12ihipStream_tbEUlT_E_NS1_11comp_targetILNS1_3genE0ELNS1_11target_archE4294967295ELNS1_3gpuE0ELNS1_3repE0EEENS1_30default_config_static_selectorELNS0_4arch9wavefront6targetE0EEEvT1_.has_indirect_call, 0
	.section	.AMDGPU.csdata,"",@progbits
; Kernel info:
; codeLenInByte = 192
; TotalNumSgprs: 12
; NumVgprs: 4
; ScratchSize: 0
; MemoryBound: 0
; FloatMode: 240
; IeeeMode: 1
; LDSByteSize: 0 bytes/workgroup (compile time only)
; SGPRBlocks: 0
; VGPRBlocks: 0
; NumSGPRsForWavesPerEU: 12
; NumVGPRsForWavesPerEU: 4
; NamedBarCnt: 0
; Occupancy: 16
; WaveLimiterHint : 0
; COMPUTE_PGM_RSRC2:SCRATCH_EN: 0
; COMPUTE_PGM_RSRC2:USER_SGPR: 2
; COMPUTE_PGM_RSRC2:TRAP_HANDLER: 0
; COMPUTE_PGM_RSRC2:TGID_X_EN: 1
; COMPUTE_PGM_RSRC2:TGID_Y_EN: 0
; COMPUTE_PGM_RSRC2:TGID_Z_EN: 0
; COMPUTE_PGM_RSRC2:TIDIG_COMP_CNT: 0
	.section	.text._ZN7rocprim17ROCPRIM_400000_NS6detail17trampoline_kernelINS0_14default_configENS1_25transform_config_selectorImLb1EEEZNS1_14transform_implILb1ES3_S5_PmPlNS0_8identityIvEEEE10hipError_tT2_T3_mT4_P12ihipStream_tbEUlT_E_NS1_11comp_targetILNS1_3genE10ELNS1_11target_archE1201ELNS1_3gpuE5ELNS1_3repE0EEENS1_30default_config_static_selectorELNS0_4arch9wavefront6targetE0EEEvT1_,"axG",@progbits,_ZN7rocprim17ROCPRIM_400000_NS6detail17trampoline_kernelINS0_14default_configENS1_25transform_config_selectorImLb1EEEZNS1_14transform_implILb1ES3_S5_PmPlNS0_8identityIvEEEE10hipError_tT2_T3_mT4_P12ihipStream_tbEUlT_E_NS1_11comp_targetILNS1_3genE10ELNS1_11target_archE1201ELNS1_3gpuE5ELNS1_3repE0EEENS1_30default_config_static_selectorELNS0_4arch9wavefront6targetE0EEEvT1_,comdat
	.protected	_ZN7rocprim17ROCPRIM_400000_NS6detail17trampoline_kernelINS0_14default_configENS1_25transform_config_selectorImLb1EEEZNS1_14transform_implILb1ES3_S5_PmPlNS0_8identityIvEEEE10hipError_tT2_T3_mT4_P12ihipStream_tbEUlT_E_NS1_11comp_targetILNS1_3genE10ELNS1_11target_archE1201ELNS1_3gpuE5ELNS1_3repE0EEENS1_30default_config_static_selectorELNS0_4arch9wavefront6targetE0EEEvT1_ ; -- Begin function _ZN7rocprim17ROCPRIM_400000_NS6detail17trampoline_kernelINS0_14default_configENS1_25transform_config_selectorImLb1EEEZNS1_14transform_implILb1ES3_S5_PmPlNS0_8identityIvEEEE10hipError_tT2_T3_mT4_P12ihipStream_tbEUlT_E_NS1_11comp_targetILNS1_3genE10ELNS1_11target_archE1201ELNS1_3gpuE5ELNS1_3repE0EEENS1_30default_config_static_selectorELNS0_4arch9wavefront6targetE0EEEvT1_
	.globl	_ZN7rocprim17ROCPRIM_400000_NS6detail17trampoline_kernelINS0_14default_configENS1_25transform_config_selectorImLb1EEEZNS1_14transform_implILb1ES3_S5_PmPlNS0_8identityIvEEEE10hipError_tT2_T3_mT4_P12ihipStream_tbEUlT_E_NS1_11comp_targetILNS1_3genE10ELNS1_11target_archE1201ELNS1_3gpuE5ELNS1_3repE0EEENS1_30default_config_static_selectorELNS0_4arch9wavefront6targetE0EEEvT1_
	.p2align	8
	.type	_ZN7rocprim17ROCPRIM_400000_NS6detail17trampoline_kernelINS0_14default_configENS1_25transform_config_selectorImLb1EEEZNS1_14transform_implILb1ES3_S5_PmPlNS0_8identityIvEEEE10hipError_tT2_T3_mT4_P12ihipStream_tbEUlT_E_NS1_11comp_targetILNS1_3genE10ELNS1_11target_archE1201ELNS1_3gpuE5ELNS1_3repE0EEENS1_30default_config_static_selectorELNS0_4arch9wavefront6targetE0EEEvT1_,@function
_ZN7rocprim17ROCPRIM_400000_NS6detail17trampoline_kernelINS0_14default_configENS1_25transform_config_selectorImLb1EEEZNS1_14transform_implILb1ES3_S5_PmPlNS0_8identityIvEEEE10hipError_tT2_T3_mT4_P12ihipStream_tbEUlT_E_NS1_11comp_targetILNS1_3genE10ELNS1_11target_archE1201ELNS1_3gpuE5ELNS1_3repE0EEENS1_30default_config_static_selectorELNS0_4arch9wavefront6targetE0EEEvT1_: ; @_ZN7rocprim17ROCPRIM_400000_NS6detail17trampoline_kernelINS0_14default_configENS1_25transform_config_selectorImLb1EEEZNS1_14transform_implILb1ES3_S5_PmPlNS0_8identityIvEEEE10hipError_tT2_T3_mT4_P12ihipStream_tbEUlT_E_NS1_11comp_targetILNS1_3genE10ELNS1_11target_archE1201ELNS1_3gpuE5ELNS1_3repE0EEENS1_30default_config_static_selectorELNS0_4arch9wavefront6targetE0EEEvT1_
; %bb.0:
	.section	.rodata,"a",@progbits
	.p2align	6, 0x0
	.amdhsa_kernel _ZN7rocprim17ROCPRIM_400000_NS6detail17trampoline_kernelINS0_14default_configENS1_25transform_config_selectorImLb1EEEZNS1_14transform_implILb1ES3_S5_PmPlNS0_8identityIvEEEE10hipError_tT2_T3_mT4_P12ihipStream_tbEUlT_E_NS1_11comp_targetILNS1_3genE10ELNS1_11target_archE1201ELNS1_3gpuE5ELNS1_3repE0EEENS1_30default_config_static_selectorELNS0_4arch9wavefront6targetE0EEEvT1_
		.amdhsa_group_segment_fixed_size 0
		.amdhsa_private_segment_fixed_size 0
		.amdhsa_kernarg_size 40
		.amdhsa_user_sgpr_count 2
		.amdhsa_user_sgpr_dispatch_ptr 0
		.amdhsa_user_sgpr_queue_ptr 0
		.amdhsa_user_sgpr_kernarg_segment_ptr 1
		.amdhsa_user_sgpr_dispatch_id 0
		.amdhsa_user_sgpr_kernarg_preload_length 0
		.amdhsa_user_sgpr_kernarg_preload_offset 0
		.amdhsa_user_sgpr_private_segment_size 0
		.amdhsa_wavefront_size32 1
		.amdhsa_uses_dynamic_stack 0
		.amdhsa_enable_private_segment 0
		.amdhsa_system_sgpr_workgroup_id_x 1
		.amdhsa_system_sgpr_workgroup_id_y 0
		.amdhsa_system_sgpr_workgroup_id_z 0
		.amdhsa_system_sgpr_workgroup_info 0
		.amdhsa_system_vgpr_workitem_id 0
		.amdhsa_next_free_vgpr 1
		.amdhsa_next_free_sgpr 1
		.amdhsa_named_barrier_count 0
		.amdhsa_reserve_vcc 0
		.amdhsa_float_round_mode_32 0
		.amdhsa_float_round_mode_16_64 0
		.amdhsa_float_denorm_mode_32 3
		.amdhsa_float_denorm_mode_16_64 3
		.amdhsa_fp16_overflow 0
		.amdhsa_memory_ordered 1
		.amdhsa_forward_progress 1
		.amdhsa_inst_pref_size 0
		.amdhsa_round_robin_scheduling 0
		.amdhsa_exception_fp_ieee_invalid_op 0
		.amdhsa_exception_fp_denorm_src 0
		.amdhsa_exception_fp_ieee_div_zero 0
		.amdhsa_exception_fp_ieee_overflow 0
		.amdhsa_exception_fp_ieee_underflow 0
		.amdhsa_exception_fp_ieee_inexact 0
		.amdhsa_exception_int_div_zero 0
	.end_amdhsa_kernel
	.section	.text._ZN7rocprim17ROCPRIM_400000_NS6detail17trampoline_kernelINS0_14default_configENS1_25transform_config_selectorImLb1EEEZNS1_14transform_implILb1ES3_S5_PmPlNS0_8identityIvEEEE10hipError_tT2_T3_mT4_P12ihipStream_tbEUlT_E_NS1_11comp_targetILNS1_3genE10ELNS1_11target_archE1201ELNS1_3gpuE5ELNS1_3repE0EEENS1_30default_config_static_selectorELNS0_4arch9wavefront6targetE0EEEvT1_,"axG",@progbits,_ZN7rocprim17ROCPRIM_400000_NS6detail17trampoline_kernelINS0_14default_configENS1_25transform_config_selectorImLb1EEEZNS1_14transform_implILb1ES3_S5_PmPlNS0_8identityIvEEEE10hipError_tT2_T3_mT4_P12ihipStream_tbEUlT_E_NS1_11comp_targetILNS1_3genE10ELNS1_11target_archE1201ELNS1_3gpuE5ELNS1_3repE0EEENS1_30default_config_static_selectorELNS0_4arch9wavefront6targetE0EEEvT1_,comdat
.Lfunc_end187:
	.size	_ZN7rocprim17ROCPRIM_400000_NS6detail17trampoline_kernelINS0_14default_configENS1_25transform_config_selectorImLb1EEEZNS1_14transform_implILb1ES3_S5_PmPlNS0_8identityIvEEEE10hipError_tT2_T3_mT4_P12ihipStream_tbEUlT_E_NS1_11comp_targetILNS1_3genE10ELNS1_11target_archE1201ELNS1_3gpuE5ELNS1_3repE0EEENS1_30default_config_static_selectorELNS0_4arch9wavefront6targetE0EEEvT1_, .Lfunc_end187-_ZN7rocprim17ROCPRIM_400000_NS6detail17trampoline_kernelINS0_14default_configENS1_25transform_config_selectorImLb1EEEZNS1_14transform_implILb1ES3_S5_PmPlNS0_8identityIvEEEE10hipError_tT2_T3_mT4_P12ihipStream_tbEUlT_E_NS1_11comp_targetILNS1_3genE10ELNS1_11target_archE1201ELNS1_3gpuE5ELNS1_3repE0EEENS1_30default_config_static_selectorELNS0_4arch9wavefront6targetE0EEEvT1_
                                        ; -- End function
	.set _ZN7rocprim17ROCPRIM_400000_NS6detail17trampoline_kernelINS0_14default_configENS1_25transform_config_selectorImLb1EEEZNS1_14transform_implILb1ES3_S5_PmPlNS0_8identityIvEEEE10hipError_tT2_T3_mT4_P12ihipStream_tbEUlT_E_NS1_11comp_targetILNS1_3genE10ELNS1_11target_archE1201ELNS1_3gpuE5ELNS1_3repE0EEENS1_30default_config_static_selectorELNS0_4arch9wavefront6targetE0EEEvT1_.num_vgpr, 0
	.set _ZN7rocprim17ROCPRIM_400000_NS6detail17trampoline_kernelINS0_14default_configENS1_25transform_config_selectorImLb1EEEZNS1_14transform_implILb1ES3_S5_PmPlNS0_8identityIvEEEE10hipError_tT2_T3_mT4_P12ihipStream_tbEUlT_E_NS1_11comp_targetILNS1_3genE10ELNS1_11target_archE1201ELNS1_3gpuE5ELNS1_3repE0EEENS1_30default_config_static_selectorELNS0_4arch9wavefront6targetE0EEEvT1_.num_agpr, 0
	.set _ZN7rocprim17ROCPRIM_400000_NS6detail17trampoline_kernelINS0_14default_configENS1_25transform_config_selectorImLb1EEEZNS1_14transform_implILb1ES3_S5_PmPlNS0_8identityIvEEEE10hipError_tT2_T3_mT4_P12ihipStream_tbEUlT_E_NS1_11comp_targetILNS1_3genE10ELNS1_11target_archE1201ELNS1_3gpuE5ELNS1_3repE0EEENS1_30default_config_static_selectorELNS0_4arch9wavefront6targetE0EEEvT1_.numbered_sgpr, 0
	.set _ZN7rocprim17ROCPRIM_400000_NS6detail17trampoline_kernelINS0_14default_configENS1_25transform_config_selectorImLb1EEEZNS1_14transform_implILb1ES3_S5_PmPlNS0_8identityIvEEEE10hipError_tT2_T3_mT4_P12ihipStream_tbEUlT_E_NS1_11comp_targetILNS1_3genE10ELNS1_11target_archE1201ELNS1_3gpuE5ELNS1_3repE0EEENS1_30default_config_static_selectorELNS0_4arch9wavefront6targetE0EEEvT1_.num_named_barrier, 0
	.set _ZN7rocprim17ROCPRIM_400000_NS6detail17trampoline_kernelINS0_14default_configENS1_25transform_config_selectorImLb1EEEZNS1_14transform_implILb1ES3_S5_PmPlNS0_8identityIvEEEE10hipError_tT2_T3_mT4_P12ihipStream_tbEUlT_E_NS1_11comp_targetILNS1_3genE10ELNS1_11target_archE1201ELNS1_3gpuE5ELNS1_3repE0EEENS1_30default_config_static_selectorELNS0_4arch9wavefront6targetE0EEEvT1_.private_seg_size, 0
	.set _ZN7rocprim17ROCPRIM_400000_NS6detail17trampoline_kernelINS0_14default_configENS1_25transform_config_selectorImLb1EEEZNS1_14transform_implILb1ES3_S5_PmPlNS0_8identityIvEEEE10hipError_tT2_T3_mT4_P12ihipStream_tbEUlT_E_NS1_11comp_targetILNS1_3genE10ELNS1_11target_archE1201ELNS1_3gpuE5ELNS1_3repE0EEENS1_30default_config_static_selectorELNS0_4arch9wavefront6targetE0EEEvT1_.uses_vcc, 0
	.set _ZN7rocprim17ROCPRIM_400000_NS6detail17trampoline_kernelINS0_14default_configENS1_25transform_config_selectorImLb1EEEZNS1_14transform_implILb1ES3_S5_PmPlNS0_8identityIvEEEE10hipError_tT2_T3_mT4_P12ihipStream_tbEUlT_E_NS1_11comp_targetILNS1_3genE10ELNS1_11target_archE1201ELNS1_3gpuE5ELNS1_3repE0EEENS1_30default_config_static_selectorELNS0_4arch9wavefront6targetE0EEEvT1_.uses_flat_scratch, 0
	.set _ZN7rocprim17ROCPRIM_400000_NS6detail17trampoline_kernelINS0_14default_configENS1_25transform_config_selectorImLb1EEEZNS1_14transform_implILb1ES3_S5_PmPlNS0_8identityIvEEEE10hipError_tT2_T3_mT4_P12ihipStream_tbEUlT_E_NS1_11comp_targetILNS1_3genE10ELNS1_11target_archE1201ELNS1_3gpuE5ELNS1_3repE0EEENS1_30default_config_static_selectorELNS0_4arch9wavefront6targetE0EEEvT1_.has_dyn_sized_stack, 0
	.set _ZN7rocprim17ROCPRIM_400000_NS6detail17trampoline_kernelINS0_14default_configENS1_25transform_config_selectorImLb1EEEZNS1_14transform_implILb1ES3_S5_PmPlNS0_8identityIvEEEE10hipError_tT2_T3_mT4_P12ihipStream_tbEUlT_E_NS1_11comp_targetILNS1_3genE10ELNS1_11target_archE1201ELNS1_3gpuE5ELNS1_3repE0EEENS1_30default_config_static_selectorELNS0_4arch9wavefront6targetE0EEEvT1_.has_recursion, 0
	.set _ZN7rocprim17ROCPRIM_400000_NS6detail17trampoline_kernelINS0_14default_configENS1_25transform_config_selectorImLb1EEEZNS1_14transform_implILb1ES3_S5_PmPlNS0_8identityIvEEEE10hipError_tT2_T3_mT4_P12ihipStream_tbEUlT_E_NS1_11comp_targetILNS1_3genE10ELNS1_11target_archE1201ELNS1_3gpuE5ELNS1_3repE0EEENS1_30default_config_static_selectorELNS0_4arch9wavefront6targetE0EEEvT1_.has_indirect_call, 0
	.section	.AMDGPU.csdata,"",@progbits
; Kernel info:
; codeLenInByte = 0
; TotalNumSgprs: 0
; NumVgprs: 0
; ScratchSize: 0
; MemoryBound: 0
; FloatMode: 240
; IeeeMode: 1
; LDSByteSize: 0 bytes/workgroup (compile time only)
; SGPRBlocks: 0
; VGPRBlocks: 0
; NumSGPRsForWavesPerEU: 1
; NumVGPRsForWavesPerEU: 1
; NamedBarCnt: 0
; Occupancy: 16
; WaveLimiterHint : 0
; COMPUTE_PGM_RSRC2:SCRATCH_EN: 0
; COMPUTE_PGM_RSRC2:USER_SGPR: 2
; COMPUTE_PGM_RSRC2:TRAP_HANDLER: 0
; COMPUTE_PGM_RSRC2:TGID_X_EN: 1
; COMPUTE_PGM_RSRC2:TGID_Y_EN: 0
; COMPUTE_PGM_RSRC2:TGID_Z_EN: 0
; COMPUTE_PGM_RSRC2:TIDIG_COMP_CNT: 0
	.section	.text._ZN7rocprim17ROCPRIM_400000_NS6detail17trampoline_kernelINS0_14default_configENS1_25transform_config_selectorImLb1EEEZNS1_14transform_implILb1ES3_S5_PmPlNS0_8identityIvEEEE10hipError_tT2_T3_mT4_P12ihipStream_tbEUlT_E_NS1_11comp_targetILNS1_3genE5ELNS1_11target_archE942ELNS1_3gpuE9ELNS1_3repE0EEENS1_30default_config_static_selectorELNS0_4arch9wavefront6targetE0EEEvT1_,"axG",@progbits,_ZN7rocprim17ROCPRIM_400000_NS6detail17trampoline_kernelINS0_14default_configENS1_25transform_config_selectorImLb1EEEZNS1_14transform_implILb1ES3_S5_PmPlNS0_8identityIvEEEE10hipError_tT2_T3_mT4_P12ihipStream_tbEUlT_E_NS1_11comp_targetILNS1_3genE5ELNS1_11target_archE942ELNS1_3gpuE9ELNS1_3repE0EEENS1_30default_config_static_selectorELNS0_4arch9wavefront6targetE0EEEvT1_,comdat
	.protected	_ZN7rocprim17ROCPRIM_400000_NS6detail17trampoline_kernelINS0_14default_configENS1_25transform_config_selectorImLb1EEEZNS1_14transform_implILb1ES3_S5_PmPlNS0_8identityIvEEEE10hipError_tT2_T3_mT4_P12ihipStream_tbEUlT_E_NS1_11comp_targetILNS1_3genE5ELNS1_11target_archE942ELNS1_3gpuE9ELNS1_3repE0EEENS1_30default_config_static_selectorELNS0_4arch9wavefront6targetE0EEEvT1_ ; -- Begin function _ZN7rocprim17ROCPRIM_400000_NS6detail17trampoline_kernelINS0_14default_configENS1_25transform_config_selectorImLb1EEEZNS1_14transform_implILb1ES3_S5_PmPlNS0_8identityIvEEEE10hipError_tT2_T3_mT4_P12ihipStream_tbEUlT_E_NS1_11comp_targetILNS1_3genE5ELNS1_11target_archE942ELNS1_3gpuE9ELNS1_3repE0EEENS1_30default_config_static_selectorELNS0_4arch9wavefront6targetE0EEEvT1_
	.globl	_ZN7rocprim17ROCPRIM_400000_NS6detail17trampoline_kernelINS0_14default_configENS1_25transform_config_selectorImLb1EEEZNS1_14transform_implILb1ES3_S5_PmPlNS0_8identityIvEEEE10hipError_tT2_T3_mT4_P12ihipStream_tbEUlT_E_NS1_11comp_targetILNS1_3genE5ELNS1_11target_archE942ELNS1_3gpuE9ELNS1_3repE0EEENS1_30default_config_static_selectorELNS0_4arch9wavefront6targetE0EEEvT1_
	.p2align	8
	.type	_ZN7rocprim17ROCPRIM_400000_NS6detail17trampoline_kernelINS0_14default_configENS1_25transform_config_selectorImLb1EEEZNS1_14transform_implILb1ES3_S5_PmPlNS0_8identityIvEEEE10hipError_tT2_T3_mT4_P12ihipStream_tbEUlT_E_NS1_11comp_targetILNS1_3genE5ELNS1_11target_archE942ELNS1_3gpuE9ELNS1_3repE0EEENS1_30default_config_static_selectorELNS0_4arch9wavefront6targetE0EEEvT1_,@function
_ZN7rocprim17ROCPRIM_400000_NS6detail17trampoline_kernelINS0_14default_configENS1_25transform_config_selectorImLb1EEEZNS1_14transform_implILb1ES3_S5_PmPlNS0_8identityIvEEEE10hipError_tT2_T3_mT4_P12ihipStream_tbEUlT_E_NS1_11comp_targetILNS1_3genE5ELNS1_11target_archE942ELNS1_3gpuE9ELNS1_3repE0EEENS1_30default_config_static_selectorELNS0_4arch9wavefront6targetE0EEEvT1_: ; @_ZN7rocprim17ROCPRIM_400000_NS6detail17trampoline_kernelINS0_14default_configENS1_25transform_config_selectorImLb1EEEZNS1_14transform_implILb1ES3_S5_PmPlNS0_8identityIvEEEE10hipError_tT2_T3_mT4_P12ihipStream_tbEUlT_E_NS1_11comp_targetILNS1_3genE5ELNS1_11target_archE942ELNS1_3gpuE9ELNS1_3repE0EEENS1_30default_config_static_selectorELNS0_4arch9wavefront6targetE0EEEvT1_
; %bb.0:
	.section	.rodata,"a",@progbits
	.p2align	6, 0x0
	.amdhsa_kernel _ZN7rocprim17ROCPRIM_400000_NS6detail17trampoline_kernelINS0_14default_configENS1_25transform_config_selectorImLb1EEEZNS1_14transform_implILb1ES3_S5_PmPlNS0_8identityIvEEEE10hipError_tT2_T3_mT4_P12ihipStream_tbEUlT_E_NS1_11comp_targetILNS1_3genE5ELNS1_11target_archE942ELNS1_3gpuE9ELNS1_3repE0EEENS1_30default_config_static_selectorELNS0_4arch9wavefront6targetE0EEEvT1_
		.amdhsa_group_segment_fixed_size 0
		.amdhsa_private_segment_fixed_size 0
		.amdhsa_kernarg_size 40
		.amdhsa_user_sgpr_count 2
		.amdhsa_user_sgpr_dispatch_ptr 0
		.amdhsa_user_sgpr_queue_ptr 0
		.amdhsa_user_sgpr_kernarg_segment_ptr 1
		.amdhsa_user_sgpr_dispatch_id 0
		.amdhsa_user_sgpr_kernarg_preload_length 0
		.amdhsa_user_sgpr_kernarg_preload_offset 0
		.amdhsa_user_sgpr_private_segment_size 0
		.amdhsa_wavefront_size32 1
		.amdhsa_uses_dynamic_stack 0
		.amdhsa_enable_private_segment 0
		.amdhsa_system_sgpr_workgroup_id_x 1
		.amdhsa_system_sgpr_workgroup_id_y 0
		.amdhsa_system_sgpr_workgroup_id_z 0
		.amdhsa_system_sgpr_workgroup_info 0
		.amdhsa_system_vgpr_workitem_id 0
		.amdhsa_next_free_vgpr 1
		.amdhsa_next_free_sgpr 1
		.amdhsa_named_barrier_count 0
		.amdhsa_reserve_vcc 0
		.amdhsa_float_round_mode_32 0
		.amdhsa_float_round_mode_16_64 0
		.amdhsa_float_denorm_mode_32 3
		.amdhsa_float_denorm_mode_16_64 3
		.amdhsa_fp16_overflow 0
		.amdhsa_memory_ordered 1
		.amdhsa_forward_progress 1
		.amdhsa_inst_pref_size 0
		.amdhsa_round_robin_scheduling 0
		.amdhsa_exception_fp_ieee_invalid_op 0
		.amdhsa_exception_fp_denorm_src 0
		.amdhsa_exception_fp_ieee_div_zero 0
		.amdhsa_exception_fp_ieee_overflow 0
		.amdhsa_exception_fp_ieee_underflow 0
		.amdhsa_exception_fp_ieee_inexact 0
		.amdhsa_exception_int_div_zero 0
	.end_amdhsa_kernel
	.section	.text._ZN7rocprim17ROCPRIM_400000_NS6detail17trampoline_kernelINS0_14default_configENS1_25transform_config_selectorImLb1EEEZNS1_14transform_implILb1ES3_S5_PmPlNS0_8identityIvEEEE10hipError_tT2_T3_mT4_P12ihipStream_tbEUlT_E_NS1_11comp_targetILNS1_3genE5ELNS1_11target_archE942ELNS1_3gpuE9ELNS1_3repE0EEENS1_30default_config_static_selectorELNS0_4arch9wavefront6targetE0EEEvT1_,"axG",@progbits,_ZN7rocprim17ROCPRIM_400000_NS6detail17trampoline_kernelINS0_14default_configENS1_25transform_config_selectorImLb1EEEZNS1_14transform_implILb1ES3_S5_PmPlNS0_8identityIvEEEE10hipError_tT2_T3_mT4_P12ihipStream_tbEUlT_E_NS1_11comp_targetILNS1_3genE5ELNS1_11target_archE942ELNS1_3gpuE9ELNS1_3repE0EEENS1_30default_config_static_selectorELNS0_4arch9wavefront6targetE0EEEvT1_,comdat
.Lfunc_end188:
	.size	_ZN7rocprim17ROCPRIM_400000_NS6detail17trampoline_kernelINS0_14default_configENS1_25transform_config_selectorImLb1EEEZNS1_14transform_implILb1ES3_S5_PmPlNS0_8identityIvEEEE10hipError_tT2_T3_mT4_P12ihipStream_tbEUlT_E_NS1_11comp_targetILNS1_3genE5ELNS1_11target_archE942ELNS1_3gpuE9ELNS1_3repE0EEENS1_30default_config_static_selectorELNS0_4arch9wavefront6targetE0EEEvT1_, .Lfunc_end188-_ZN7rocprim17ROCPRIM_400000_NS6detail17trampoline_kernelINS0_14default_configENS1_25transform_config_selectorImLb1EEEZNS1_14transform_implILb1ES3_S5_PmPlNS0_8identityIvEEEE10hipError_tT2_T3_mT4_P12ihipStream_tbEUlT_E_NS1_11comp_targetILNS1_3genE5ELNS1_11target_archE942ELNS1_3gpuE9ELNS1_3repE0EEENS1_30default_config_static_selectorELNS0_4arch9wavefront6targetE0EEEvT1_
                                        ; -- End function
	.set _ZN7rocprim17ROCPRIM_400000_NS6detail17trampoline_kernelINS0_14default_configENS1_25transform_config_selectorImLb1EEEZNS1_14transform_implILb1ES3_S5_PmPlNS0_8identityIvEEEE10hipError_tT2_T3_mT4_P12ihipStream_tbEUlT_E_NS1_11comp_targetILNS1_3genE5ELNS1_11target_archE942ELNS1_3gpuE9ELNS1_3repE0EEENS1_30default_config_static_selectorELNS0_4arch9wavefront6targetE0EEEvT1_.num_vgpr, 0
	.set _ZN7rocprim17ROCPRIM_400000_NS6detail17trampoline_kernelINS0_14default_configENS1_25transform_config_selectorImLb1EEEZNS1_14transform_implILb1ES3_S5_PmPlNS0_8identityIvEEEE10hipError_tT2_T3_mT4_P12ihipStream_tbEUlT_E_NS1_11comp_targetILNS1_3genE5ELNS1_11target_archE942ELNS1_3gpuE9ELNS1_3repE0EEENS1_30default_config_static_selectorELNS0_4arch9wavefront6targetE0EEEvT1_.num_agpr, 0
	.set _ZN7rocprim17ROCPRIM_400000_NS6detail17trampoline_kernelINS0_14default_configENS1_25transform_config_selectorImLb1EEEZNS1_14transform_implILb1ES3_S5_PmPlNS0_8identityIvEEEE10hipError_tT2_T3_mT4_P12ihipStream_tbEUlT_E_NS1_11comp_targetILNS1_3genE5ELNS1_11target_archE942ELNS1_3gpuE9ELNS1_3repE0EEENS1_30default_config_static_selectorELNS0_4arch9wavefront6targetE0EEEvT1_.numbered_sgpr, 0
	.set _ZN7rocprim17ROCPRIM_400000_NS6detail17trampoline_kernelINS0_14default_configENS1_25transform_config_selectorImLb1EEEZNS1_14transform_implILb1ES3_S5_PmPlNS0_8identityIvEEEE10hipError_tT2_T3_mT4_P12ihipStream_tbEUlT_E_NS1_11comp_targetILNS1_3genE5ELNS1_11target_archE942ELNS1_3gpuE9ELNS1_3repE0EEENS1_30default_config_static_selectorELNS0_4arch9wavefront6targetE0EEEvT1_.num_named_barrier, 0
	.set _ZN7rocprim17ROCPRIM_400000_NS6detail17trampoline_kernelINS0_14default_configENS1_25transform_config_selectorImLb1EEEZNS1_14transform_implILb1ES3_S5_PmPlNS0_8identityIvEEEE10hipError_tT2_T3_mT4_P12ihipStream_tbEUlT_E_NS1_11comp_targetILNS1_3genE5ELNS1_11target_archE942ELNS1_3gpuE9ELNS1_3repE0EEENS1_30default_config_static_selectorELNS0_4arch9wavefront6targetE0EEEvT1_.private_seg_size, 0
	.set _ZN7rocprim17ROCPRIM_400000_NS6detail17trampoline_kernelINS0_14default_configENS1_25transform_config_selectorImLb1EEEZNS1_14transform_implILb1ES3_S5_PmPlNS0_8identityIvEEEE10hipError_tT2_T3_mT4_P12ihipStream_tbEUlT_E_NS1_11comp_targetILNS1_3genE5ELNS1_11target_archE942ELNS1_3gpuE9ELNS1_3repE0EEENS1_30default_config_static_selectorELNS0_4arch9wavefront6targetE0EEEvT1_.uses_vcc, 0
	.set _ZN7rocprim17ROCPRIM_400000_NS6detail17trampoline_kernelINS0_14default_configENS1_25transform_config_selectorImLb1EEEZNS1_14transform_implILb1ES3_S5_PmPlNS0_8identityIvEEEE10hipError_tT2_T3_mT4_P12ihipStream_tbEUlT_E_NS1_11comp_targetILNS1_3genE5ELNS1_11target_archE942ELNS1_3gpuE9ELNS1_3repE0EEENS1_30default_config_static_selectorELNS0_4arch9wavefront6targetE0EEEvT1_.uses_flat_scratch, 0
	.set _ZN7rocprim17ROCPRIM_400000_NS6detail17trampoline_kernelINS0_14default_configENS1_25transform_config_selectorImLb1EEEZNS1_14transform_implILb1ES3_S5_PmPlNS0_8identityIvEEEE10hipError_tT2_T3_mT4_P12ihipStream_tbEUlT_E_NS1_11comp_targetILNS1_3genE5ELNS1_11target_archE942ELNS1_3gpuE9ELNS1_3repE0EEENS1_30default_config_static_selectorELNS0_4arch9wavefront6targetE0EEEvT1_.has_dyn_sized_stack, 0
	.set _ZN7rocprim17ROCPRIM_400000_NS6detail17trampoline_kernelINS0_14default_configENS1_25transform_config_selectorImLb1EEEZNS1_14transform_implILb1ES3_S5_PmPlNS0_8identityIvEEEE10hipError_tT2_T3_mT4_P12ihipStream_tbEUlT_E_NS1_11comp_targetILNS1_3genE5ELNS1_11target_archE942ELNS1_3gpuE9ELNS1_3repE0EEENS1_30default_config_static_selectorELNS0_4arch9wavefront6targetE0EEEvT1_.has_recursion, 0
	.set _ZN7rocprim17ROCPRIM_400000_NS6detail17trampoline_kernelINS0_14default_configENS1_25transform_config_selectorImLb1EEEZNS1_14transform_implILb1ES3_S5_PmPlNS0_8identityIvEEEE10hipError_tT2_T3_mT4_P12ihipStream_tbEUlT_E_NS1_11comp_targetILNS1_3genE5ELNS1_11target_archE942ELNS1_3gpuE9ELNS1_3repE0EEENS1_30default_config_static_selectorELNS0_4arch9wavefront6targetE0EEEvT1_.has_indirect_call, 0
	.section	.AMDGPU.csdata,"",@progbits
; Kernel info:
; codeLenInByte = 0
; TotalNumSgprs: 0
; NumVgprs: 0
; ScratchSize: 0
; MemoryBound: 0
; FloatMode: 240
; IeeeMode: 1
; LDSByteSize: 0 bytes/workgroup (compile time only)
; SGPRBlocks: 0
; VGPRBlocks: 0
; NumSGPRsForWavesPerEU: 1
; NumVGPRsForWavesPerEU: 1
; NamedBarCnt: 0
; Occupancy: 16
; WaveLimiterHint : 0
; COMPUTE_PGM_RSRC2:SCRATCH_EN: 0
; COMPUTE_PGM_RSRC2:USER_SGPR: 2
; COMPUTE_PGM_RSRC2:TRAP_HANDLER: 0
; COMPUTE_PGM_RSRC2:TGID_X_EN: 1
; COMPUTE_PGM_RSRC2:TGID_Y_EN: 0
; COMPUTE_PGM_RSRC2:TGID_Z_EN: 0
; COMPUTE_PGM_RSRC2:TIDIG_COMP_CNT: 0
	.section	.text._ZN7rocprim17ROCPRIM_400000_NS6detail17trampoline_kernelINS0_14default_configENS1_25transform_config_selectorImLb1EEEZNS1_14transform_implILb1ES3_S5_PmPlNS0_8identityIvEEEE10hipError_tT2_T3_mT4_P12ihipStream_tbEUlT_E_NS1_11comp_targetILNS1_3genE4ELNS1_11target_archE910ELNS1_3gpuE8ELNS1_3repE0EEENS1_30default_config_static_selectorELNS0_4arch9wavefront6targetE0EEEvT1_,"axG",@progbits,_ZN7rocprim17ROCPRIM_400000_NS6detail17trampoline_kernelINS0_14default_configENS1_25transform_config_selectorImLb1EEEZNS1_14transform_implILb1ES3_S5_PmPlNS0_8identityIvEEEE10hipError_tT2_T3_mT4_P12ihipStream_tbEUlT_E_NS1_11comp_targetILNS1_3genE4ELNS1_11target_archE910ELNS1_3gpuE8ELNS1_3repE0EEENS1_30default_config_static_selectorELNS0_4arch9wavefront6targetE0EEEvT1_,comdat
	.protected	_ZN7rocprim17ROCPRIM_400000_NS6detail17trampoline_kernelINS0_14default_configENS1_25transform_config_selectorImLb1EEEZNS1_14transform_implILb1ES3_S5_PmPlNS0_8identityIvEEEE10hipError_tT2_T3_mT4_P12ihipStream_tbEUlT_E_NS1_11comp_targetILNS1_3genE4ELNS1_11target_archE910ELNS1_3gpuE8ELNS1_3repE0EEENS1_30default_config_static_selectorELNS0_4arch9wavefront6targetE0EEEvT1_ ; -- Begin function _ZN7rocprim17ROCPRIM_400000_NS6detail17trampoline_kernelINS0_14default_configENS1_25transform_config_selectorImLb1EEEZNS1_14transform_implILb1ES3_S5_PmPlNS0_8identityIvEEEE10hipError_tT2_T3_mT4_P12ihipStream_tbEUlT_E_NS1_11comp_targetILNS1_3genE4ELNS1_11target_archE910ELNS1_3gpuE8ELNS1_3repE0EEENS1_30default_config_static_selectorELNS0_4arch9wavefront6targetE0EEEvT1_
	.globl	_ZN7rocprim17ROCPRIM_400000_NS6detail17trampoline_kernelINS0_14default_configENS1_25transform_config_selectorImLb1EEEZNS1_14transform_implILb1ES3_S5_PmPlNS0_8identityIvEEEE10hipError_tT2_T3_mT4_P12ihipStream_tbEUlT_E_NS1_11comp_targetILNS1_3genE4ELNS1_11target_archE910ELNS1_3gpuE8ELNS1_3repE0EEENS1_30default_config_static_selectorELNS0_4arch9wavefront6targetE0EEEvT1_
	.p2align	8
	.type	_ZN7rocprim17ROCPRIM_400000_NS6detail17trampoline_kernelINS0_14default_configENS1_25transform_config_selectorImLb1EEEZNS1_14transform_implILb1ES3_S5_PmPlNS0_8identityIvEEEE10hipError_tT2_T3_mT4_P12ihipStream_tbEUlT_E_NS1_11comp_targetILNS1_3genE4ELNS1_11target_archE910ELNS1_3gpuE8ELNS1_3repE0EEENS1_30default_config_static_selectorELNS0_4arch9wavefront6targetE0EEEvT1_,@function
_ZN7rocprim17ROCPRIM_400000_NS6detail17trampoline_kernelINS0_14default_configENS1_25transform_config_selectorImLb1EEEZNS1_14transform_implILb1ES3_S5_PmPlNS0_8identityIvEEEE10hipError_tT2_T3_mT4_P12ihipStream_tbEUlT_E_NS1_11comp_targetILNS1_3genE4ELNS1_11target_archE910ELNS1_3gpuE8ELNS1_3repE0EEENS1_30default_config_static_selectorELNS0_4arch9wavefront6targetE0EEEvT1_: ; @_ZN7rocprim17ROCPRIM_400000_NS6detail17trampoline_kernelINS0_14default_configENS1_25transform_config_selectorImLb1EEEZNS1_14transform_implILb1ES3_S5_PmPlNS0_8identityIvEEEE10hipError_tT2_T3_mT4_P12ihipStream_tbEUlT_E_NS1_11comp_targetILNS1_3genE4ELNS1_11target_archE910ELNS1_3gpuE8ELNS1_3repE0EEENS1_30default_config_static_selectorELNS0_4arch9wavefront6targetE0EEEvT1_
; %bb.0:
	.section	.rodata,"a",@progbits
	.p2align	6, 0x0
	.amdhsa_kernel _ZN7rocprim17ROCPRIM_400000_NS6detail17trampoline_kernelINS0_14default_configENS1_25transform_config_selectorImLb1EEEZNS1_14transform_implILb1ES3_S5_PmPlNS0_8identityIvEEEE10hipError_tT2_T3_mT4_P12ihipStream_tbEUlT_E_NS1_11comp_targetILNS1_3genE4ELNS1_11target_archE910ELNS1_3gpuE8ELNS1_3repE0EEENS1_30default_config_static_selectorELNS0_4arch9wavefront6targetE0EEEvT1_
		.amdhsa_group_segment_fixed_size 0
		.amdhsa_private_segment_fixed_size 0
		.amdhsa_kernarg_size 40
		.amdhsa_user_sgpr_count 2
		.amdhsa_user_sgpr_dispatch_ptr 0
		.amdhsa_user_sgpr_queue_ptr 0
		.amdhsa_user_sgpr_kernarg_segment_ptr 1
		.amdhsa_user_sgpr_dispatch_id 0
		.amdhsa_user_sgpr_kernarg_preload_length 0
		.amdhsa_user_sgpr_kernarg_preload_offset 0
		.amdhsa_user_sgpr_private_segment_size 0
		.amdhsa_wavefront_size32 1
		.amdhsa_uses_dynamic_stack 0
		.amdhsa_enable_private_segment 0
		.amdhsa_system_sgpr_workgroup_id_x 1
		.amdhsa_system_sgpr_workgroup_id_y 0
		.amdhsa_system_sgpr_workgroup_id_z 0
		.amdhsa_system_sgpr_workgroup_info 0
		.amdhsa_system_vgpr_workitem_id 0
		.amdhsa_next_free_vgpr 1
		.amdhsa_next_free_sgpr 1
		.amdhsa_named_barrier_count 0
		.amdhsa_reserve_vcc 0
		.amdhsa_float_round_mode_32 0
		.amdhsa_float_round_mode_16_64 0
		.amdhsa_float_denorm_mode_32 3
		.amdhsa_float_denorm_mode_16_64 3
		.amdhsa_fp16_overflow 0
		.amdhsa_memory_ordered 1
		.amdhsa_forward_progress 1
		.amdhsa_inst_pref_size 0
		.amdhsa_round_robin_scheduling 0
		.amdhsa_exception_fp_ieee_invalid_op 0
		.amdhsa_exception_fp_denorm_src 0
		.amdhsa_exception_fp_ieee_div_zero 0
		.amdhsa_exception_fp_ieee_overflow 0
		.amdhsa_exception_fp_ieee_underflow 0
		.amdhsa_exception_fp_ieee_inexact 0
		.amdhsa_exception_int_div_zero 0
	.end_amdhsa_kernel
	.section	.text._ZN7rocprim17ROCPRIM_400000_NS6detail17trampoline_kernelINS0_14default_configENS1_25transform_config_selectorImLb1EEEZNS1_14transform_implILb1ES3_S5_PmPlNS0_8identityIvEEEE10hipError_tT2_T3_mT4_P12ihipStream_tbEUlT_E_NS1_11comp_targetILNS1_3genE4ELNS1_11target_archE910ELNS1_3gpuE8ELNS1_3repE0EEENS1_30default_config_static_selectorELNS0_4arch9wavefront6targetE0EEEvT1_,"axG",@progbits,_ZN7rocprim17ROCPRIM_400000_NS6detail17trampoline_kernelINS0_14default_configENS1_25transform_config_selectorImLb1EEEZNS1_14transform_implILb1ES3_S5_PmPlNS0_8identityIvEEEE10hipError_tT2_T3_mT4_P12ihipStream_tbEUlT_E_NS1_11comp_targetILNS1_3genE4ELNS1_11target_archE910ELNS1_3gpuE8ELNS1_3repE0EEENS1_30default_config_static_selectorELNS0_4arch9wavefront6targetE0EEEvT1_,comdat
.Lfunc_end189:
	.size	_ZN7rocprim17ROCPRIM_400000_NS6detail17trampoline_kernelINS0_14default_configENS1_25transform_config_selectorImLb1EEEZNS1_14transform_implILb1ES3_S5_PmPlNS0_8identityIvEEEE10hipError_tT2_T3_mT4_P12ihipStream_tbEUlT_E_NS1_11comp_targetILNS1_3genE4ELNS1_11target_archE910ELNS1_3gpuE8ELNS1_3repE0EEENS1_30default_config_static_selectorELNS0_4arch9wavefront6targetE0EEEvT1_, .Lfunc_end189-_ZN7rocprim17ROCPRIM_400000_NS6detail17trampoline_kernelINS0_14default_configENS1_25transform_config_selectorImLb1EEEZNS1_14transform_implILb1ES3_S5_PmPlNS0_8identityIvEEEE10hipError_tT2_T3_mT4_P12ihipStream_tbEUlT_E_NS1_11comp_targetILNS1_3genE4ELNS1_11target_archE910ELNS1_3gpuE8ELNS1_3repE0EEENS1_30default_config_static_selectorELNS0_4arch9wavefront6targetE0EEEvT1_
                                        ; -- End function
	.set _ZN7rocprim17ROCPRIM_400000_NS6detail17trampoline_kernelINS0_14default_configENS1_25transform_config_selectorImLb1EEEZNS1_14transform_implILb1ES3_S5_PmPlNS0_8identityIvEEEE10hipError_tT2_T3_mT4_P12ihipStream_tbEUlT_E_NS1_11comp_targetILNS1_3genE4ELNS1_11target_archE910ELNS1_3gpuE8ELNS1_3repE0EEENS1_30default_config_static_selectorELNS0_4arch9wavefront6targetE0EEEvT1_.num_vgpr, 0
	.set _ZN7rocprim17ROCPRIM_400000_NS6detail17trampoline_kernelINS0_14default_configENS1_25transform_config_selectorImLb1EEEZNS1_14transform_implILb1ES3_S5_PmPlNS0_8identityIvEEEE10hipError_tT2_T3_mT4_P12ihipStream_tbEUlT_E_NS1_11comp_targetILNS1_3genE4ELNS1_11target_archE910ELNS1_3gpuE8ELNS1_3repE0EEENS1_30default_config_static_selectorELNS0_4arch9wavefront6targetE0EEEvT1_.num_agpr, 0
	.set _ZN7rocprim17ROCPRIM_400000_NS6detail17trampoline_kernelINS0_14default_configENS1_25transform_config_selectorImLb1EEEZNS1_14transform_implILb1ES3_S5_PmPlNS0_8identityIvEEEE10hipError_tT2_T3_mT4_P12ihipStream_tbEUlT_E_NS1_11comp_targetILNS1_3genE4ELNS1_11target_archE910ELNS1_3gpuE8ELNS1_3repE0EEENS1_30default_config_static_selectorELNS0_4arch9wavefront6targetE0EEEvT1_.numbered_sgpr, 0
	.set _ZN7rocprim17ROCPRIM_400000_NS6detail17trampoline_kernelINS0_14default_configENS1_25transform_config_selectorImLb1EEEZNS1_14transform_implILb1ES3_S5_PmPlNS0_8identityIvEEEE10hipError_tT2_T3_mT4_P12ihipStream_tbEUlT_E_NS1_11comp_targetILNS1_3genE4ELNS1_11target_archE910ELNS1_3gpuE8ELNS1_3repE0EEENS1_30default_config_static_selectorELNS0_4arch9wavefront6targetE0EEEvT1_.num_named_barrier, 0
	.set _ZN7rocprim17ROCPRIM_400000_NS6detail17trampoline_kernelINS0_14default_configENS1_25transform_config_selectorImLb1EEEZNS1_14transform_implILb1ES3_S5_PmPlNS0_8identityIvEEEE10hipError_tT2_T3_mT4_P12ihipStream_tbEUlT_E_NS1_11comp_targetILNS1_3genE4ELNS1_11target_archE910ELNS1_3gpuE8ELNS1_3repE0EEENS1_30default_config_static_selectorELNS0_4arch9wavefront6targetE0EEEvT1_.private_seg_size, 0
	.set _ZN7rocprim17ROCPRIM_400000_NS6detail17trampoline_kernelINS0_14default_configENS1_25transform_config_selectorImLb1EEEZNS1_14transform_implILb1ES3_S5_PmPlNS0_8identityIvEEEE10hipError_tT2_T3_mT4_P12ihipStream_tbEUlT_E_NS1_11comp_targetILNS1_3genE4ELNS1_11target_archE910ELNS1_3gpuE8ELNS1_3repE0EEENS1_30default_config_static_selectorELNS0_4arch9wavefront6targetE0EEEvT1_.uses_vcc, 0
	.set _ZN7rocprim17ROCPRIM_400000_NS6detail17trampoline_kernelINS0_14default_configENS1_25transform_config_selectorImLb1EEEZNS1_14transform_implILb1ES3_S5_PmPlNS0_8identityIvEEEE10hipError_tT2_T3_mT4_P12ihipStream_tbEUlT_E_NS1_11comp_targetILNS1_3genE4ELNS1_11target_archE910ELNS1_3gpuE8ELNS1_3repE0EEENS1_30default_config_static_selectorELNS0_4arch9wavefront6targetE0EEEvT1_.uses_flat_scratch, 0
	.set _ZN7rocprim17ROCPRIM_400000_NS6detail17trampoline_kernelINS0_14default_configENS1_25transform_config_selectorImLb1EEEZNS1_14transform_implILb1ES3_S5_PmPlNS0_8identityIvEEEE10hipError_tT2_T3_mT4_P12ihipStream_tbEUlT_E_NS1_11comp_targetILNS1_3genE4ELNS1_11target_archE910ELNS1_3gpuE8ELNS1_3repE0EEENS1_30default_config_static_selectorELNS0_4arch9wavefront6targetE0EEEvT1_.has_dyn_sized_stack, 0
	.set _ZN7rocprim17ROCPRIM_400000_NS6detail17trampoline_kernelINS0_14default_configENS1_25transform_config_selectorImLb1EEEZNS1_14transform_implILb1ES3_S5_PmPlNS0_8identityIvEEEE10hipError_tT2_T3_mT4_P12ihipStream_tbEUlT_E_NS1_11comp_targetILNS1_3genE4ELNS1_11target_archE910ELNS1_3gpuE8ELNS1_3repE0EEENS1_30default_config_static_selectorELNS0_4arch9wavefront6targetE0EEEvT1_.has_recursion, 0
	.set _ZN7rocprim17ROCPRIM_400000_NS6detail17trampoline_kernelINS0_14default_configENS1_25transform_config_selectorImLb1EEEZNS1_14transform_implILb1ES3_S5_PmPlNS0_8identityIvEEEE10hipError_tT2_T3_mT4_P12ihipStream_tbEUlT_E_NS1_11comp_targetILNS1_3genE4ELNS1_11target_archE910ELNS1_3gpuE8ELNS1_3repE0EEENS1_30default_config_static_selectorELNS0_4arch9wavefront6targetE0EEEvT1_.has_indirect_call, 0
	.section	.AMDGPU.csdata,"",@progbits
; Kernel info:
; codeLenInByte = 0
; TotalNumSgprs: 0
; NumVgprs: 0
; ScratchSize: 0
; MemoryBound: 0
; FloatMode: 240
; IeeeMode: 1
; LDSByteSize: 0 bytes/workgroup (compile time only)
; SGPRBlocks: 0
; VGPRBlocks: 0
; NumSGPRsForWavesPerEU: 1
; NumVGPRsForWavesPerEU: 1
; NamedBarCnt: 0
; Occupancy: 16
; WaveLimiterHint : 0
; COMPUTE_PGM_RSRC2:SCRATCH_EN: 0
; COMPUTE_PGM_RSRC2:USER_SGPR: 2
; COMPUTE_PGM_RSRC2:TRAP_HANDLER: 0
; COMPUTE_PGM_RSRC2:TGID_X_EN: 1
; COMPUTE_PGM_RSRC2:TGID_Y_EN: 0
; COMPUTE_PGM_RSRC2:TGID_Z_EN: 0
; COMPUTE_PGM_RSRC2:TIDIG_COMP_CNT: 0
	.section	.text._ZN7rocprim17ROCPRIM_400000_NS6detail17trampoline_kernelINS0_14default_configENS1_25transform_config_selectorImLb1EEEZNS1_14transform_implILb1ES3_S5_PmPlNS0_8identityIvEEEE10hipError_tT2_T3_mT4_P12ihipStream_tbEUlT_E_NS1_11comp_targetILNS1_3genE3ELNS1_11target_archE908ELNS1_3gpuE7ELNS1_3repE0EEENS1_30default_config_static_selectorELNS0_4arch9wavefront6targetE0EEEvT1_,"axG",@progbits,_ZN7rocprim17ROCPRIM_400000_NS6detail17trampoline_kernelINS0_14default_configENS1_25transform_config_selectorImLb1EEEZNS1_14transform_implILb1ES3_S5_PmPlNS0_8identityIvEEEE10hipError_tT2_T3_mT4_P12ihipStream_tbEUlT_E_NS1_11comp_targetILNS1_3genE3ELNS1_11target_archE908ELNS1_3gpuE7ELNS1_3repE0EEENS1_30default_config_static_selectorELNS0_4arch9wavefront6targetE0EEEvT1_,comdat
	.protected	_ZN7rocprim17ROCPRIM_400000_NS6detail17trampoline_kernelINS0_14default_configENS1_25transform_config_selectorImLb1EEEZNS1_14transform_implILb1ES3_S5_PmPlNS0_8identityIvEEEE10hipError_tT2_T3_mT4_P12ihipStream_tbEUlT_E_NS1_11comp_targetILNS1_3genE3ELNS1_11target_archE908ELNS1_3gpuE7ELNS1_3repE0EEENS1_30default_config_static_selectorELNS0_4arch9wavefront6targetE0EEEvT1_ ; -- Begin function _ZN7rocprim17ROCPRIM_400000_NS6detail17trampoline_kernelINS0_14default_configENS1_25transform_config_selectorImLb1EEEZNS1_14transform_implILb1ES3_S5_PmPlNS0_8identityIvEEEE10hipError_tT2_T3_mT4_P12ihipStream_tbEUlT_E_NS1_11comp_targetILNS1_3genE3ELNS1_11target_archE908ELNS1_3gpuE7ELNS1_3repE0EEENS1_30default_config_static_selectorELNS0_4arch9wavefront6targetE0EEEvT1_
	.globl	_ZN7rocprim17ROCPRIM_400000_NS6detail17trampoline_kernelINS0_14default_configENS1_25transform_config_selectorImLb1EEEZNS1_14transform_implILb1ES3_S5_PmPlNS0_8identityIvEEEE10hipError_tT2_T3_mT4_P12ihipStream_tbEUlT_E_NS1_11comp_targetILNS1_3genE3ELNS1_11target_archE908ELNS1_3gpuE7ELNS1_3repE0EEENS1_30default_config_static_selectorELNS0_4arch9wavefront6targetE0EEEvT1_
	.p2align	8
	.type	_ZN7rocprim17ROCPRIM_400000_NS6detail17trampoline_kernelINS0_14default_configENS1_25transform_config_selectorImLb1EEEZNS1_14transform_implILb1ES3_S5_PmPlNS0_8identityIvEEEE10hipError_tT2_T3_mT4_P12ihipStream_tbEUlT_E_NS1_11comp_targetILNS1_3genE3ELNS1_11target_archE908ELNS1_3gpuE7ELNS1_3repE0EEENS1_30default_config_static_selectorELNS0_4arch9wavefront6targetE0EEEvT1_,@function
_ZN7rocprim17ROCPRIM_400000_NS6detail17trampoline_kernelINS0_14default_configENS1_25transform_config_selectorImLb1EEEZNS1_14transform_implILb1ES3_S5_PmPlNS0_8identityIvEEEE10hipError_tT2_T3_mT4_P12ihipStream_tbEUlT_E_NS1_11comp_targetILNS1_3genE3ELNS1_11target_archE908ELNS1_3gpuE7ELNS1_3repE0EEENS1_30default_config_static_selectorELNS0_4arch9wavefront6targetE0EEEvT1_: ; @_ZN7rocprim17ROCPRIM_400000_NS6detail17trampoline_kernelINS0_14default_configENS1_25transform_config_selectorImLb1EEEZNS1_14transform_implILb1ES3_S5_PmPlNS0_8identityIvEEEE10hipError_tT2_T3_mT4_P12ihipStream_tbEUlT_E_NS1_11comp_targetILNS1_3genE3ELNS1_11target_archE908ELNS1_3gpuE7ELNS1_3repE0EEENS1_30default_config_static_selectorELNS0_4arch9wavefront6targetE0EEEvT1_
; %bb.0:
	.section	.rodata,"a",@progbits
	.p2align	6, 0x0
	.amdhsa_kernel _ZN7rocprim17ROCPRIM_400000_NS6detail17trampoline_kernelINS0_14default_configENS1_25transform_config_selectorImLb1EEEZNS1_14transform_implILb1ES3_S5_PmPlNS0_8identityIvEEEE10hipError_tT2_T3_mT4_P12ihipStream_tbEUlT_E_NS1_11comp_targetILNS1_3genE3ELNS1_11target_archE908ELNS1_3gpuE7ELNS1_3repE0EEENS1_30default_config_static_selectorELNS0_4arch9wavefront6targetE0EEEvT1_
		.amdhsa_group_segment_fixed_size 0
		.amdhsa_private_segment_fixed_size 0
		.amdhsa_kernarg_size 40
		.amdhsa_user_sgpr_count 2
		.amdhsa_user_sgpr_dispatch_ptr 0
		.amdhsa_user_sgpr_queue_ptr 0
		.amdhsa_user_sgpr_kernarg_segment_ptr 1
		.amdhsa_user_sgpr_dispatch_id 0
		.amdhsa_user_sgpr_kernarg_preload_length 0
		.amdhsa_user_sgpr_kernarg_preload_offset 0
		.amdhsa_user_sgpr_private_segment_size 0
		.amdhsa_wavefront_size32 1
		.amdhsa_uses_dynamic_stack 0
		.amdhsa_enable_private_segment 0
		.amdhsa_system_sgpr_workgroup_id_x 1
		.amdhsa_system_sgpr_workgroup_id_y 0
		.amdhsa_system_sgpr_workgroup_id_z 0
		.amdhsa_system_sgpr_workgroup_info 0
		.amdhsa_system_vgpr_workitem_id 0
		.amdhsa_next_free_vgpr 1
		.amdhsa_next_free_sgpr 1
		.amdhsa_named_barrier_count 0
		.amdhsa_reserve_vcc 0
		.amdhsa_float_round_mode_32 0
		.amdhsa_float_round_mode_16_64 0
		.amdhsa_float_denorm_mode_32 3
		.amdhsa_float_denorm_mode_16_64 3
		.amdhsa_fp16_overflow 0
		.amdhsa_memory_ordered 1
		.amdhsa_forward_progress 1
		.amdhsa_inst_pref_size 0
		.amdhsa_round_robin_scheduling 0
		.amdhsa_exception_fp_ieee_invalid_op 0
		.amdhsa_exception_fp_denorm_src 0
		.amdhsa_exception_fp_ieee_div_zero 0
		.amdhsa_exception_fp_ieee_overflow 0
		.amdhsa_exception_fp_ieee_underflow 0
		.amdhsa_exception_fp_ieee_inexact 0
		.amdhsa_exception_int_div_zero 0
	.end_amdhsa_kernel
	.section	.text._ZN7rocprim17ROCPRIM_400000_NS6detail17trampoline_kernelINS0_14default_configENS1_25transform_config_selectorImLb1EEEZNS1_14transform_implILb1ES3_S5_PmPlNS0_8identityIvEEEE10hipError_tT2_T3_mT4_P12ihipStream_tbEUlT_E_NS1_11comp_targetILNS1_3genE3ELNS1_11target_archE908ELNS1_3gpuE7ELNS1_3repE0EEENS1_30default_config_static_selectorELNS0_4arch9wavefront6targetE0EEEvT1_,"axG",@progbits,_ZN7rocprim17ROCPRIM_400000_NS6detail17trampoline_kernelINS0_14default_configENS1_25transform_config_selectorImLb1EEEZNS1_14transform_implILb1ES3_S5_PmPlNS0_8identityIvEEEE10hipError_tT2_T3_mT4_P12ihipStream_tbEUlT_E_NS1_11comp_targetILNS1_3genE3ELNS1_11target_archE908ELNS1_3gpuE7ELNS1_3repE0EEENS1_30default_config_static_selectorELNS0_4arch9wavefront6targetE0EEEvT1_,comdat
.Lfunc_end190:
	.size	_ZN7rocprim17ROCPRIM_400000_NS6detail17trampoline_kernelINS0_14default_configENS1_25transform_config_selectorImLb1EEEZNS1_14transform_implILb1ES3_S5_PmPlNS0_8identityIvEEEE10hipError_tT2_T3_mT4_P12ihipStream_tbEUlT_E_NS1_11comp_targetILNS1_3genE3ELNS1_11target_archE908ELNS1_3gpuE7ELNS1_3repE0EEENS1_30default_config_static_selectorELNS0_4arch9wavefront6targetE0EEEvT1_, .Lfunc_end190-_ZN7rocprim17ROCPRIM_400000_NS6detail17trampoline_kernelINS0_14default_configENS1_25transform_config_selectorImLb1EEEZNS1_14transform_implILb1ES3_S5_PmPlNS0_8identityIvEEEE10hipError_tT2_T3_mT4_P12ihipStream_tbEUlT_E_NS1_11comp_targetILNS1_3genE3ELNS1_11target_archE908ELNS1_3gpuE7ELNS1_3repE0EEENS1_30default_config_static_selectorELNS0_4arch9wavefront6targetE0EEEvT1_
                                        ; -- End function
	.set _ZN7rocprim17ROCPRIM_400000_NS6detail17trampoline_kernelINS0_14default_configENS1_25transform_config_selectorImLb1EEEZNS1_14transform_implILb1ES3_S5_PmPlNS0_8identityIvEEEE10hipError_tT2_T3_mT4_P12ihipStream_tbEUlT_E_NS1_11comp_targetILNS1_3genE3ELNS1_11target_archE908ELNS1_3gpuE7ELNS1_3repE0EEENS1_30default_config_static_selectorELNS0_4arch9wavefront6targetE0EEEvT1_.num_vgpr, 0
	.set _ZN7rocprim17ROCPRIM_400000_NS6detail17trampoline_kernelINS0_14default_configENS1_25transform_config_selectorImLb1EEEZNS1_14transform_implILb1ES3_S5_PmPlNS0_8identityIvEEEE10hipError_tT2_T3_mT4_P12ihipStream_tbEUlT_E_NS1_11comp_targetILNS1_3genE3ELNS1_11target_archE908ELNS1_3gpuE7ELNS1_3repE0EEENS1_30default_config_static_selectorELNS0_4arch9wavefront6targetE0EEEvT1_.num_agpr, 0
	.set _ZN7rocprim17ROCPRIM_400000_NS6detail17trampoline_kernelINS0_14default_configENS1_25transform_config_selectorImLb1EEEZNS1_14transform_implILb1ES3_S5_PmPlNS0_8identityIvEEEE10hipError_tT2_T3_mT4_P12ihipStream_tbEUlT_E_NS1_11comp_targetILNS1_3genE3ELNS1_11target_archE908ELNS1_3gpuE7ELNS1_3repE0EEENS1_30default_config_static_selectorELNS0_4arch9wavefront6targetE0EEEvT1_.numbered_sgpr, 0
	.set _ZN7rocprim17ROCPRIM_400000_NS6detail17trampoline_kernelINS0_14default_configENS1_25transform_config_selectorImLb1EEEZNS1_14transform_implILb1ES3_S5_PmPlNS0_8identityIvEEEE10hipError_tT2_T3_mT4_P12ihipStream_tbEUlT_E_NS1_11comp_targetILNS1_3genE3ELNS1_11target_archE908ELNS1_3gpuE7ELNS1_3repE0EEENS1_30default_config_static_selectorELNS0_4arch9wavefront6targetE0EEEvT1_.num_named_barrier, 0
	.set _ZN7rocprim17ROCPRIM_400000_NS6detail17trampoline_kernelINS0_14default_configENS1_25transform_config_selectorImLb1EEEZNS1_14transform_implILb1ES3_S5_PmPlNS0_8identityIvEEEE10hipError_tT2_T3_mT4_P12ihipStream_tbEUlT_E_NS1_11comp_targetILNS1_3genE3ELNS1_11target_archE908ELNS1_3gpuE7ELNS1_3repE0EEENS1_30default_config_static_selectorELNS0_4arch9wavefront6targetE0EEEvT1_.private_seg_size, 0
	.set _ZN7rocprim17ROCPRIM_400000_NS6detail17trampoline_kernelINS0_14default_configENS1_25transform_config_selectorImLb1EEEZNS1_14transform_implILb1ES3_S5_PmPlNS0_8identityIvEEEE10hipError_tT2_T3_mT4_P12ihipStream_tbEUlT_E_NS1_11comp_targetILNS1_3genE3ELNS1_11target_archE908ELNS1_3gpuE7ELNS1_3repE0EEENS1_30default_config_static_selectorELNS0_4arch9wavefront6targetE0EEEvT1_.uses_vcc, 0
	.set _ZN7rocprim17ROCPRIM_400000_NS6detail17trampoline_kernelINS0_14default_configENS1_25transform_config_selectorImLb1EEEZNS1_14transform_implILb1ES3_S5_PmPlNS0_8identityIvEEEE10hipError_tT2_T3_mT4_P12ihipStream_tbEUlT_E_NS1_11comp_targetILNS1_3genE3ELNS1_11target_archE908ELNS1_3gpuE7ELNS1_3repE0EEENS1_30default_config_static_selectorELNS0_4arch9wavefront6targetE0EEEvT1_.uses_flat_scratch, 0
	.set _ZN7rocprim17ROCPRIM_400000_NS6detail17trampoline_kernelINS0_14default_configENS1_25transform_config_selectorImLb1EEEZNS1_14transform_implILb1ES3_S5_PmPlNS0_8identityIvEEEE10hipError_tT2_T3_mT4_P12ihipStream_tbEUlT_E_NS1_11comp_targetILNS1_3genE3ELNS1_11target_archE908ELNS1_3gpuE7ELNS1_3repE0EEENS1_30default_config_static_selectorELNS0_4arch9wavefront6targetE0EEEvT1_.has_dyn_sized_stack, 0
	.set _ZN7rocprim17ROCPRIM_400000_NS6detail17trampoline_kernelINS0_14default_configENS1_25transform_config_selectorImLb1EEEZNS1_14transform_implILb1ES3_S5_PmPlNS0_8identityIvEEEE10hipError_tT2_T3_mT4_P12ihipStream_tbEUlT_E_NS1_11comp_targetILNS1_3genE3ELNS1_11target_archE908ELNS1_3gpuE7ELNS1_3repE0EEENS1_30default_config_static_selectorELNS0_4arch9wavefront6targetE0EEEvT1_.has_recursion, 0
	.set _ZN7rocprim17ROCPRIM_400000_NS6detail17trampoline_kernelINS0_14default_configENS1_25transform_config_selectorImLb1EEEZNS1_14transform_implILb1ES3_S5_PmPlNS0_8identityIvEEEE10hipError_tT2_T3_mT4_P12ihipStream_tbEUlT_E_NS1_11comp_targetILNS1_3genE3ELNS1_11target_archE908ELNS1_3gpuE7ELNS1_3repE0EEENS1_30default_config_static_selectorELNS0_4arch9wavefront6targetE0EEEvT1_.has_indirect_call, 0
	.section	.AMDGPU.csdata,"",@progbits
; Kernel info:
; codeLenInByte = 0
; TotalNumSgprs: 0
; NumVgprs: 0
; ScratchSize: 0
; MemoryBound: 0
; FloatMode: 240
; IeeeMode: 1
; LDSByteSize: 0 bytes/workgroup (compile time only)
; SGPRBlocks: 0
; VGPRBlocks: 0
; NumSGPRsForWavesPerEU: 1
; NumVGPRsForWavesPerEU: 1
; NamedBarCnt: 0
; Occupancy: 16
; WaveLimiterHint : 0
; COMPUTE_PGM_RSRC2:SCRATCH_EN: 0
; COMPUTE_PGM_RSRC2:USER_SGPR: 2
; COMPUTE_PGM_RSRC2:TRAP_HANDLER: 0
; COMPUTE_PGM_RSRC2:TGID_X_EN: 1
; COMPUTE_PGM_RSRC2:TGID_Y_EN: 0
; COMPUTE_PGM_RSRC2:TGID_Z_EN: 0
; COMPUTE_PGM_RSRC2:TIDIG_COMP_CNT: 0
	.section	.text._ZN7rocprim17ROCPRIM_400000_NS6detail17trampoline_kernelINS0_14default_configENS1_25transform_config_selectorImLb1EEEZNS1_14transform_implILb1ES3_S5_PmPlNS0_8identityIvEEEE10hipError_tT2_T3_mT4_P12ihipStream_tbEUlT_E_NS1_11comp_targetILNS1_3genE2ELNS1_11target_archE906ELNS1_3gpuE6ELNS1_3repE0EEENS1_30default_config_static_selectorELNS0_4arch9wavefront6targetE0EEEvT1_,"axG",@progbits,_ZN7rocprim17ROCPRIM_400000_NS6detail17trampoline_kernelINS0_14default_configENS1_25transform_config_selectorImLb1EEEZNS1_14transform_implILb1ES3_S5_PmPlNS0_8identityIvEEEE10hipError_tT2_T3_mT4_P12ihipStream_tbEUlT_E_NS1_11comp_targetILNS1_3genE2ELNS1_11target_archE906ELNS1_3gpuE6ELNS1_3repE0EEENS1_30default_config_static_selectorELNS0_4arch9wavefront6targetE0EEEvT1_,comdat
	.protected	_ZN7rocprim17ROCPRIM_400000_NS6detail17trampoline_kernelINS0_14default_configENS1_25transform_config_selectorImLb1EEEZNS1_14transform_implILb1ES3_S5_PmPlNS0_8identityIvEEEE10hipError_tT2_T3_mT4_P12ihipStream_tbEUlT_E_NS1_11comp_targetILNS1_3genE2ELNS1_11target_archE906ELNS1_3gpuE6ELNS1_3repE0EEENS1_30default_config_static_selectorELNS0_4arch9wavefront6targetE0EEEvT1_ ; -- Begin function _ZN7rocprim17ROCPRIM_400000_NS6detail17trampoline_kernelINS0_14default_configENS1_25transform_config_selectorImLb1EEEZNS1_14transform_implILb1ES3_S5_PmPlNS0_8identityIvEEEE10hipError_tT2_T3_mT4_P12ihipStream_tbEUlT_E_NS1_11comp_targetILNS1_3genE2ELNS1_11target_archE906ELNS1_3gpuE6ELNS1_3repE0EEENS1_30default_config_static_selectorELNS0_4arch9wavefront6targetE0EEEvT1_
	.globl	_ZN7rocprim17ROCPRIM_400000_NS6detail17trampoline_kernelINS0_14default_configENS1_25transform_config_selectorImLb1EEEZNS1_14transform_implILb1ES3_S5_PmPlNS0_8identityIvEEEE10hipError_tT2_T3_mT4_P12ihipStream_tbEUlT_E_NS1_11comp_targetILNS1_3genE2ELNS1_11target_archE906ELNS1_3gpuE6ELNS1_3repE0EEENS1_30default_config_static_selectorELNS0_4arch9wavefront6targetE0EEEvT1_
	.p2align	8
	.type	_ZN7rocprim17ROCPRIM_400000_NS6detail17trampoline_kernelINS0_14default_configENS1_25transform_config_selectorImLb1EEEZNS1_14transform_implILb1ES3_S5_PmPlNS0_8identityIvEEEE10hipError_tT2_T3_mT4_P12ihipStream_tbEUlT_E_NS1_11comp_targetILNS1_3genE2ELNS1_11target_archE906ELNS1_3gpuE6ELNS1_3repE0EEENS1_30default_config_static_selectorELNS0_4arch9wavefront6targetE0EEEvT1_,@function
_ZN7rocprim17ROCPRIM_400000_NS6detail17trampoline_kernelINS0_14default_configENS1_25transform_config_selectorImLb1EEEZNS1_14transform_implILb1ES3_S5_PmPlNS0_8identityIvEEEE10hipError_tT2_T3_mT4_P12ihipStream_tbEUlT_E_NS1_11comp_targetILNS1_3genE2ELNS1_11target_archE906ELNS1_3gpuE6ELNS1_3repE0EEENS1_30default_config_static_selectorELNS0_4arch9wavefront6targetE0EEEvT1_: ; @_ZN7rocprim17ROCPRIM_400000_NS6detail17trampoline_kernelINS0_14default_configENS1_25transform_config_selectorImLb1EEEZNS1_14transform_implILb1ES3_S5_PmPlNS0_8identityIvEEEE10hipError_tT2_T3_mT4_P12ihipStream_tbEUlT_E_NS1_11comp_targetILNS1_3genE2ELNS1_11target_archE906ELNS1_3gpuE6ELNS1_3repE0EEENS1_30default_config_static_selectorELNS0_4arch9wavefront6targetE0EEEvT1_
; %bb.0:
	.section	.rodata,"a",@progbits
	.p2align	6, 0x0
	.amdhsa_kernel _ZN7rocprim17ROCPRIM_400000_NS6detail17trampoline_kernelINS0_14default_configENS1_25transform_config_selectorImLb1EEEZNS1_14transform_implILb1ES3_S5_PmPlNS0_8identityIvEEEE10hipError_tT2_T3_mT4_P12ihipStream_tbEUlT_E_NS1_11comp_targetILNS1_3genE2ELNS1_11target_archE906ELNS1_3gpuE6ELNS1_3repE0EEENS1_30default_config_static_selectorELNS0_4arch9wavefront6targetE0EEEvT1_
		.amdhsa_group_segment_fixed_size 0
		.amdhsa_private_segment_fixed_size 0
		.amdhsa_kernarg_size 40
		.amdhsa_user_sgpr_count 2
		.amdhsa_user_sgpr_dispatch_ptr 0
		.amdhsa_user_sgpr_queue_ptr 0
		.amdhsa_user_sgpr_kernarg_segment_ptr 1
		.amdhsa_user_sgpr_dispatch_id 0
		.amdhsa_user_sgpr_kernarg_preload_length 0
		.amdhsa_user_sgpr_kernarg_preload_offset 0
		.amdhsa_user_sgpr_private_segment_size 0
		.amdhsa_wavefront_size32 1
		.amdhsa_uses_dynamic_stack 0
		.amdhsa_enable_private_segment 0
		.amdhsa_system_sgpr_workgroup_id_x 1
		.amdhsa_system_sgpr_workgroup_id_y 0
		.amdhsa_system_sgpr_workgroup_id_z 0
		.amdhsa_system_sgpr_workgroup_info 0
		.amdhsa_system_vgpr_workitem_id 0
		.amdhsa_next_free_vgpr 1
		.amdhsa_next_free_sgpr 1
		.amdhsa_named_barrier_count 0
		.amdhsa_reserve_vcc 0
		.amdhsa_float_round_mode_32 0
		.amdhsa_float_round_mode_16_64 0
		.amdhsa_float_denorm_mode_32 3
		.amdhsa_float_denorm_mode_16_64 3
		.amdhsa_fp16_overflow 0
		.amdhsa_memory_ordered 1
		.amdhsa_forward_progress 1
		.amdhsa_inst_pref_size 0
		.amdhsa_round_robin_scheduling 0
		.amdhsa_exception_fp_ieee_invalid_op 0
		.amdhsa_exception_fp_denorm_src 0
		.amdhsa_exception_fp_ieee_div_zero 0
		.amdhsa_exception_fp_ieee_overflow 0
		.amdhsa_exception_fp_ieee_underflow 0
		.amdhsa_exception_fp_ieee_inexact 0
		.amdhsa_exception_int_div_zero 0
	.end_amdhsa_kernel
	.section	.text._ZN7rocprim17ROCPRIM_400000_NS6detail17trampoline_kernelINS0_14default_configENS1_25transform_config_selectorImLb1EEEZNS1_14transform_implILb1ES3_S5_PmPlNS0_8identityIvEEEE10hipError_tT2_T3_mT4_P12ihipStream_tbEUlT_E_NS1_11comp_targetILNS1_3genE2ELNS1_11target_archE906ELNS1_3gpuE6ELNS1_3repE0EEENS1_30default_config_static_selectorELNS0_4arch9wavefront6targetE0EEEvT1_,"axG",@progbits,_ZN7rocprim17ROCPRIM_400000_NS6detail17trampoline_kernelINS0_14default_configENS1_25transform_config_selectorImLb1EEEZNS1_14transform_implILb1ES3_S5_PmPlNS0_8identityIvEEEE10hipError_tT2_T3_mT4_P12ihipStream_tbEUlT_E_NS1_11comp_targetILNS1_3genE2ELNS1_11target_archE906ELNS1_3gpuE6ELNS1_3repE0EEENS1_30default_config_static_selectorELNS0_4arch9wavefront6targetE0EEEvT1_,comdat
.Lfunc_end191:
	.size	_ZN7rocprim17ROCPRIM_400000_NS6detail17trampoline_kernelINS0_14default_configENS1_25transform_config_selectorImLb1EEEZNS1_14transform_implILb1ES3_S5_PmPlNS0_8identityIvEEEE10hipError_tT2_T3_mT4_P12ihipStream_tbEUlT_E_NS1_11comp_targetILNS1_3genE2ELNS1_11target_archE906ELNS1_3gpuE6ELNS1_3repE0EEENS1_30default_config_static_selectorELNS0_4arch9wavefront6targetE0EEEvT1_, .Lfunc_end191-_ZN7rocprim17ROCPRIM_400000_NS6detail17trampoline_kernelINS0_14default_configENS1_25transform_config_selectorImLb1EEEZNS1_14transform_implILb1ES3_S5_PmPlNS0_8identityIvEEEE10hipError_tT2_T3_mT4_P12ihipStream_tbEUlT_E_NS1_11comp_targetILNS1_3genE2ELNS1_11target_archE906ELNS1_3gpuE6ELNS1_3repE0EEENS1_30default_config_static_selectorELNS0_4arch9wavefront6targetE0EEEvT1_
                                        ; -- End function
	.set _ZN7rocprim17ROCPRIM_400000_NS6detail17trampoline_kernelINS0_14default_configENS1_25transform_config_selectorImLb1EEEZNS1_14transform_implILb1ES3_S5_PmPlNS0_8identityIvEEEE10hipError_tT2_T3_mT4_P12ihipStream_tbEUlT_E_NS1_11comp_targetILNS1_3genE2ELNS1_11target_archE906ELNS1_3gpuE6ELNS1_3repE0EEENS1_30default_config_static_selectorELNS0_4arch9wavefront6targetE0EEEvT1_.num_vgpr, 0
	.set _ZN7rocprim17ROCPRIM_400000_NS6detail17trampoline_kernelINS0_14default_configENS1_25transform_config_selectorImLb1EEEZNS1_14transform_implILb1ES3_S5_PmPlNS0_8identityIvEEEE10hipError_tT2_T3_mT4_P12ihipStream_tbEUlT_E_NS1_11comp_targetILNS1_3genE2ELNS1_11target_archE906ELNS1_3gpuE6ELNS1_3repE0EEENS1_30default_config_static_selectorELNS0_4arch9wavefront6targetE0EEEvT1_.num_agpr, 0
	.set _ZN7rocprim17ROCPRIM_400000_NS6detail17trampoline_kernelINS0_14default_configENS1_25transform_config_selectorImLb1EEEZNS1_14transform_implILb1ES3_S5_PmPlNS0_8identityIvEEEE10hipError_tT2_T3_mT4_P12ihipStream_tbEUlT_E_NS1_11comp_targetILNS1_3genE2ELNS1_11target_archE906ELNS1_3gpuE6ELNS1_3repE0EEENS1_30default_config_static_selectorELNS0_4arch9wavefront6targetE0EEEvT1_.numbered_sgpr, 0
	.set _ZN7rocprim17ROCPRIM_400000_NS6detail17trampoline_kernelINS0_14default_configENS1_25transform_config_selectorImLb1EEEZNS1_14transform_implILb1ES3_S5_PmPlNS0_8identityIvEEEE10hipError_tT2_T3_mT4_P12ihipStream_tbEUlT_E_NS1_11comp_targetILNS1_3genE2ELNS1_11target_archE906ELNS1_3gpuE6ELNS1_3repE0EEENS1_30default_config_static_selectorELNS0_4arch9wavefront6targetE0EEEvT1_.num_named_barrier, 0
	.set _ZN7rocprim17ROCPRIM_400000_NS6detail17trampoline_kernelINS0_14default_configENS1_25transform_config_selectorImLb1EEEZNS1_14transform_implILb1ES3_S5_PmPlNS0_8identityIvEEEE10hipError_tT2_T3_mT4_P12ihipStream_tbEUlT_E_NS1_11comp_targetILNS1_3genE2ELNS1_11target_archE906ELNS1_3gpuE6ELNS1_3repE0EEENS1_30default_config_static_selectorELNS0_4arch9wavefront6targetE0EEEvT1_.private_seg_size, 0
	.set _ZN7rocprim17ROCPRIM_400000_NS6detail17trampoline_kernelINS0_14default_configENS1_25transform_config_selectorImLb1EEEZNS1_14transform_implILb1ES3_S5_PmPlNS0_8identityIvEEEE10hipError_tT2_T3_mT4_P12ihipStream_tbEUlT_E_NS1_11comp_targetILNS1_3genE2ELNS1_11target_archE906ELNS1_3gpuE6ELNS1_3repE0EEENS1_30default_config_static_selectorELNS0_4arch9wavefront6targetE0EEEvT1_.uses_vcc, 0
	.set _ZN7rocprim17ROCPRIM_400000_NS6detail17trampoline_kernelINS0_14default_configENS1_25transform_config_selectorImLb1EEEZNS1_14transform_implILb1ES3_S5_PmPlNS0_8identityIvEEEE10hipError_tT2_T3_mT4_P12ihipStream_tbEUlT_E_NS1_11comp_targetILNS1_3genE2ELNS1_11target_archE906ELNS1_3gpuE6ELNS1_3repE0EEENS1_30default_config_static_selectorELNS0_4arch9wavefront6targetE0EEEvT1_.uses_flat_scratch, 0
	.set _ZN7rocprim17ROCPRIM_400000_NS6detail17trampoline_kernelINS0_14default_configENS1_25transform_config_selectorImLb1EEEZNS1_14transform_implILb1ES3_S5_PmPlNS0_8identityIvEEEE10hipError_tT2_T3_mT4_P12ihipStream_tbEUlT_E_NS1_11comp_targetILNS1_3genE2ELNS1_11target_archE906ELNS1_3gpuE6ELNS1_3repE0EEENS1_30default_config_static_selectorELNS0_4arch9wavefront6targetE0EEEvT1_.has_dyn_sized_stack, 0
	.set _ZN7rocprim17ROCPRIM_400000_NS6detail17trampoline_kernelINS0_14default_configENS1_25transform_config_selectorImLb1EEEZNS1_14transform_implILb1ES3_S5_PmPlNS0_8identityIvEEEE10hipError_tT2_T3_mT4_P12ihipStream_tbEUlT_E_NS1_11comp_targetILNS1_3genE2ELNS1_11target_archE906ELNS1_3gpuE6ELNS1_3repE0EEENS1_30default_config_static_selectorELNS0_4arch9wavefront6targetE0EEEvT1_.has_recursion, 0
	.set _ZN7rocprim17ROCPRIM_400000_NS6detail17trampoline_kernelINS0_14default_configENS1_25transform_config_selectorImLb1EEEZNS1_14transform_implILb1ES3_S5_PmPlNS0_8identityIvEEEE10hipError_tT2_T3_mT4_P12ihipStream_tbEUlT_E_NS1_11comp_targetILNS1_3genE2ELNS1_11target_archE906ELNS1_3gpuE6ELNS1_3repE0EEENS1_30default_config_static_selectorELNS0_4arch9wavefront6targetE0EEEvT1_.has_indirect_call, 0
	.section	.AMDGPU.csdata,"",@progbits
; Kernel info:
; codeLenInByte = 0
; TotalNumSgprs: 0
; NumVgprs: 0
; ScratchSize: 0
; MemoryBound: 0
; FloatMode: 240
; IeeeMode: 1
; LDSByteSize: 0 bytes/workgroup (compile time only)
; SGPRBlocks: 0
; VGPRBlocks: 0
; NumSGPRsForWavesPerEU: 1
; NumVGPRsForWavesPerEU: 1
; NamedBarCnt: 0
; Occupancy: 16
; WaveLimiterHint : 0
; COMPUTE_PGM_RSRC2:SCRATCH_EN: 0
; COMPUTE_PGM_RSRC2:USER_SGPR: 2
; COMPUTE_PGM_RSRC2:TRAP_HANDLER: 0
; COMPUTE_PGM_RSRC2:TGID_X_EN: 1
; COMPUTE_PGM_RSRC2:TGID_Y_EN: 0
; COMPUTE_PGM_RSRC2:TGID_Z_EN: 0
; COMPUTE_PGM_RSRC2:TIDIG_COMP_CNT: 0
	.section	.text._ZN7rocprim17ROCPRIM_400000_NS6detail17trampoline_kernelINS0_14default_configENS1_25transform_config_selectorImLb1EEEZNS1_14transform_implILb1ES3_S5_PmPlNS0_8identityIvEEEE10hipError_tT2_T3_mT4_P12ihipStream_tbEUlT_E_NS1_11comp_targetILNS1_3genE9ELNS1_11target_archE1100ELNS1_3gpuE3ELNS1_3repE0EEENS1_30default_config_static_selectorELNS0_4arch9wavefront6targetE0EEEvT1_,"axG",@progbits,_ZN7rocprim17ROCPRIM_400000_NS6detail17trampoline_kernelINS0_14default_configENS1_25transform_config_selectorImLb1EEEZNS1_14transform_implILb1ES3_S5_PmPlNS0_8identityIvEEEE10hipError_tT2_T3_mT4_P12ihipStream_tbEUlT_E_NS1_11comp_targetILNS1_3genE9ELNS1_11target_archE1100ELNS1_3gpuE3ELNS1_3repE0EEENS1_30default_config_static_selectorELNS0_4arch9wavefront6targetE0EEEvT1_,comdat
	.protected	_ZN7rocprim17ROCPRIM_400000_NS6detail17trampoline_kernelINS0_14default_configENS1_25transform_config_selectorImLb1EEEZNS1_14transform_implILb1ES3_S5_PmPlNS0_8identityIvEEEE10hipError_tT2_T3_mT4_P12ihipStream_tbEUlT_E_NS1_11comp_targetILNS1_3genE9ELNS1_11target_archE1100ELNS1_3gpuE3ELNS1_3repE0EEENS1_30default_config_static_selectorELNS0_4arch9wavefront6targetE0EEEvT1_ ; -- Begin function _ZN7rocprim17ROCPRIM_400000_NS6detail17trampoline_kernelINS0_14default_configENS1_25transform_config_selectorImLb1EEEZNS1_14transform_implILb1ES3_S5_PmPlNS0_8identityIvEEEE10hipError_tT2_T3_mT4_P12ihipStream_tbEUlT_E_NS1_11comp_targetILNS1_3genE9ELNS1_11target_archE1100ELNS1_3gpuE3ELNS1_3repE0EEENS1_30default_config_static_selectorELNS0_4arch9wavefront6targetE0EEEvT1_
	.globl	_ZN7rocprim17ROCPRIM_400000_NS6detail17trampoline_kernelINS0_14default_configENS1_25transform_config_selectorImLb1EEEZNS1_14transform_implILb1ES3_S5_PmPlNS0_8identityIvEEEE10hipError_tT2_T3_mT4_P12ihipStream_tbEUlT_E_NS1_11comp_targetILNS1_3genE9ELNS1_11target_archE1100ELNS1_3gpuE3ELNS1_3repE0EEENS1_30default_config_static_selectorELNS0_4arch9wavefront6targetE0EEEvT1_
	.p2align	8
	.type	_ZN7rocprim17ROCPRIM_400000_NS6detail17trampoline_kernelINS0_14default_configENS1_25transform_config_selectorImLb1EEEZNS1_14transform_implILb1ES3_S5_PmPlNS0_8identityIvEEEE10hipError_tT2_T3_mT4_P12ihipStream_tbEUlT_E_NS1_11comp_targetILNS1_3genE9ELNS1_11target_archE1100ELNS1_3gpuE3ELNS1_3repE0EEENS1_30default_config_static_selectorELNS0_4arch9wavefront6targetE0EEEvT1_,@function
_ZN7rocprim17ROCPRIM_400000_NS6detail17trampoline_kernelINS0_14default_configENS1_25transform_config_selectorImLb1EEEZNS1_14transform_implILb1ES3_S5_PmPlNS0_8identityIvEEEE10hipError_tT2_T3_mT4_P12ihipStream_tbEUlT_E_NS1_11comp_targetILNS1_3genE9ELNS1_11target_archE1100ELNS1_3gpuE3ELNS1_3repE0EEENS1_30default_config_static_selectorELNS0_4arch9wavefront6targetE0EEEvT1_: ; @_ZN7rocprim17ROCPRIM_400000_NS6detail17trampoline_kernelINS0_14default_configENS1_25transform_config_selectorImLb1EEEZNS1_14transform_implILb1ES3_S5_PmPlNS0_8identityIvEEEE10hipError_tT2_T3_mT4_P12ihipStream_tbEUlT_E_NS1_11comp_targetILNS1_3genE9ELNS1_11target_archE1100ELNS1_3gpuE3ELNS1_3repE0EEENS1_30default_config_static_selectorELNS0_4arch9wavefront6targetE0EEEvT1_
; %bb.0:
	.section	.rodata,"a",@progbits
	.p2align	6, 0x0
	.amdhsa_kernel _ZN7rocprim17ROCPRIM_400000_NS6detail17trampoline_kernelINS0_14default_configENS1_25transform_config_selectorImLb1EEEZNS1_14transform_implILb1ES3_S5_PmPlNS0_8identityIvEEEE10hipError_tT2_T3_mT4_P12ihipStream_tbEUlT_E_NS1_11comp_targetILNS1_3genE9ELNS1_11target_archE1100ELNS1_3gpuE3ELNS1_3repE0EEENS1_30default_config_static_selectorELNS0_4arch9wavefront6targetE0EEEvT1_
		.amdhsa_group_segment_fixed_size 0
		.amdhsa_private_segment_fixed_size 0
		.amdhsa_kernarg_size 40
		.amdhsa_user_sgpr_count 2
		.amdhsa_user_sgpr_dispatch_ptr 0
		.amdhsa_user_sgpr_queue_ptr 0
		.amdhsa_user_sgpr_kernarg_segment_ptr 1
		.amdhsa_user_sgpr_dispatch_id 0
		.amdhsa_user_sgpr_kernarg_preload_length 0
		.amdhsa_user_sgpr_kernarg_preload_offset 0
		.amdhsa_user_sgpr_private_segment_size 0
		.amdhsa_wavefront_size32 1
		.amdhsa_uses_dynamic_stack 0
		.amdhsa_enable_private_segment 0
		.amdhsa_system_sgpr_workgroup_id_x 1
		.amdhsa_system_sgpr_workgroup_id_y 0
		.amdhsa_system_sgpr_workgroup_id_z 0
		.amdhsa_system_sgpr_workgroup_info 0
		.amdhsa_system_vgpr_workitem_id 0
		.amdhsa_next_free_vgpr 1
		.amdhsa_next_free_sgpr 1
		.amdhsa_named_barrier_count 0
		.amdhsa_reserve_vcc 0
		.amdhsa_float_round_mode_32 0
		.amdhsa_float_round_mode_16_64 0
		.amdhsa_float_denorm_mode_32 3
		.amdhsa_float_denorm_mode_16_64 3
		.amdhsa_fp16_overflow 0
		.amdhsa_memory_ordered 1
		.amdhsa_forward_progress 1
		.amdhsa_inst_pref_size 0
		.amdhsa_round_robin_scheduling 0
		.amdhsa_exception_fp_ieee_invalid_op 0
		.amdhsa_exception_fp_denorm_src 0
		.amdhsa_exception_fp_ieee_div_zero 0
		.amdhsa_exception_fp_ieee_overflow 0
		.amdhsa_exception_fp_ieee_underflow 0
		.amdhsa_exception_fp_ieee_inexact 0
		.amdhsa_exception_int_div_zero 0
	.end_amdhsa_kernel
	.section	.text._ZN7rocprim17ROCPRIM_400000_NS6detail17trampoline_kernelINS0_14default_configENS1_25transform_config_selectorImLb1EEEZNS1_14transform_implILb1ES3_S5_PmPlNS0_8identityIvEEEE10hipError_tT2_T3_mT4_P12ihipStream_tbEUlT_E_NS1_11comp_targetILNS1_3genE9ELNS1_11target_archE1100ELNS1_3gpuE3ELNS1_3repE0EEENS1_30default_config_static_selectorELNS0_4arch9wavefront6targetE0EEEvT1_,"axG",@progbits,_ZN7rocprim17ROCPRIM_400000_NS6detail17trampoline_kernelINS0_14default_configENS1_25transform_config_selectorImLb1EEEZNS1_14transform_implILb1ES3_S5_PmPlNS0_8identityIvEEEE10hipError_tT2_T3_mT4_P12ihipStream_tbEUlT_E_NS1_11comp_targetILNS1_3genE9ELNS1_11target_archE1100ELNS1_3gpuE3ELNS1_3repE0EEENS1_30default_config_static_selectorELNS0_4arch9wavefront6targetE0EEEvT1_,comdat
.Lfunc_end192:
	.size	_ZN7rocprim17ROCPRIM_400000_NS6detail17trampoline_kernelINS0_14default_configENS1_25transform_config_selectorImLb1EEEZNS1_14transform_implILb1ES3_S5_PmPlNS0_8identityIvEEEE10hipError_tT2_T3_mT4_P12ihipStream_tbEUlT_E_NS1_11comp_targetILNS1_3genE9ELNS1_11target_archE1100ELNS1_3gpuE3ELNS1_3repE0EEENS1_30default_config_static_selectorELNS0_4arch9wavefront6targetE0EEEvT1_, .Lfunc_end192-_ZN7rocprim17ROCPRIM_400000_NS6detail17trampoline_kernelINS0_14default_configENS1_25transform_config_selectorImLb1EEEZNS1_14transform_implILb1ES3_S5_PmPlNS0_8identityIvEEEE10hipError_tT2_T3_mT4_P12ihipStream_tbEUlT_E_NS1_11comp_targetILNS1_3genE9ELNS1_11target_archE1100ELNS1_3gpuE3ELNS1_3repE0EEENS1_30default_config_static_selectorELNS0_4arch9wavefront6targetE0EEEvT1_
                                        ; -- End function
	.set _ZN7rocprim17ROCPRIM_400000_NS6detail17trampoline_kernelINS0_14default_configENS1_25transform_config_selectorImLb1EEEZNS1_14transform_implILb1ES3_S5_PmPlNS0_8identityIvEEEE10hipError_tT2_T3_mT4_P12ihipStream_tbEUlT_E_NS1_11comp_targetILNS1_3genE9ELNS1_11target_archE1100ELNS1_3gpuE3ELNS1_3repE0EEENS1_30default_config_static_selectorELNS0_4arch9wavefront6targetE0EEEvT1_.num_vgpr, 0
	.set _ZN7rocprim17ROCPRIM_400000_NS6detail17trampoline_kernelINS0_14default_configENS1_25transform_config_selectorImLb1EEEZNS1_14transform_implILb1ES3_S5_PmPlNS0_8identityIvEEEE10hipError_tT2_T3_mT4_P12ihipStream_tbEUlT_E_NS1_11comp_targetILNS1_3genE9ELNS1_11target_archE1100ELNS1_3gpuE3ELNS1_3repE0EEENS1_30default_config_static_selectorELNS0_4arch9wavefront6targetE0EEEvT1_.num_agpr, 0
	.set _ZN7rocprim17ROCPRIM_400000_NS6detail17trampoline_kernelINS0_14default_configENS1_25transform_config_selectorImLb1EEEZNS1_14transform_implILb1ES3_S5_PmPlNS0_8identityIvEEEE10hipError_tT2_T3_mT4_P12ihipStream_tbEUlT_E_NS1_11comp_targetILNS1_3genE9ELNS1_11target_archE1100ELNS1_3gpuE3ELNS1_3repE0EEENS1_30default_config_static_selectorELNS0_4arch9wavefront6targetE0EEEvT1_.numbered_sgpr, 0
	.set _ZN7rocprim17ROCPRIM_400000_NS6detail17trampoline_kernelINS0_14default_configENS1_25transform_config_selectorImLb1EEEZNS1_14transform_implILb1ES3_S5_PmPlNS0_8identityIvEEEE10hipError_tT2_T3_mT4_P12ihipStream_tbEUlT_E_NS1_11comp_targetILNS1_3genE9ELNS1_11target_archE1100ELNS1_3gpuE3ELNS1_3repE0EEENS1_30default_config_static_selectorELNS0_4arch9wavefront6targetE0EEEvT1_.num_named_barrier, 0
	.set _ZN7rocprim17ROCPRIM_400000_NS6detail17trampoline_kernelINS0_14default_configENS1_25transform_config_selectorImLb1EEEZNS1_14transform_implILb1ES3_S5_PmPlNS0_8identityIvEEEE10hipError_tT2_T3_mT4_P12ihipStream_tbEUlT_E_NS1_11comp_targetILNS1_3genE9ELNS1_11target_archE1100ELNS1_3gpuE3ELNS1_3repE0EEENS1_30default_config_static_selectorELNS0_4arch9wavefront6targetE0EEEvT1_.private_seg_size, 0
	.set _ZN7rocprim17ROCPRIM_400000_NS6detail17trampoline_kernelINS0_14default_configENS1_25transform_config_selectorImLb1EEEZNS1_14transform_implILb1ES3_S5_PmPlNS0_8identityIvEEEE10hipError_tT2_T3_mT4_P12ihipStream_tbEUlT_E_NS1_11comp_targetILNS1_3genE9ELNS1_11target_archE1100ELNS1_3gpuE3ELNS1_3repE0EEENS1_30default_config_static_selectorELNS0_4arch9wavefront6targetE0EEEvT1_.uses_vcc, 0
	.set _ZN7rocprim17ROCPRIM_400000_NS6detail17trampoline_kernelINS0_14default_configENS1_25transform_config_selectorImLb1EEEZNS1_14transform_implILb1ES3_S5_PmPlNS0_8identityIvEEEE10hipError_tT2_T3_mT4_P12ihipStream_tbEUlT_E_NS1_11comp_targetILNS1_3genE9ELNS1_11target_archE1100ELNS1_3gpuE3ELNS1_3repE0EEENS1_30default_config_static_selectorELNS0_4arch9wavefront6targetE0EEEvT1_.uses_flat_scratch, 0
	.set _ZN7rocprim17ROCPRIM_400000_NS6detail17trampoline_kernelINS0_14default_configENS1_25transform_config_selectorImLb1EEEZNS1_14transform_implILb1ES3_S5_PmPlNS0_8identityIvEEEE10hipError_tT2_T3_mT4_P12ihipStream_tbEUlT_E_NS1_11comp_targetILNS1_3genE9ELNS1_11target_archE1100ELNS1_3gpuE3ELNS1_3repE0EEENS1_30default_config_static_selectorELNS0_4arch9wavefront6targetE0EEEvT1_.has_dyn_sized_stack, 0
	.set _ZN7rocprim17ROCPRIM_400000_NS6detail17trampoline_kernelINS0_14default_configENS1_25transform_config_selectorImLb1EEEZNS1_14transform_implILb1ES3_S5_PmPlNS0_8identityIvEEEE10hipError_tT2_T3_mT4_P12ihipStream_tbEUlT_E_NS1_11comp_targetILNS1_3genE9ELNS1_11target_archE1100ELNS1_3gpuE3ELNS1_3repE0EEENS1_30default_config_static_selectorELNS0_4arch9wavefront6targetE0EEEvT1_.has_recursion, 0
	.set _ZN7rocprim17ROCPRIM_400000_NS6detail17trampoline_kernelINS0_14default_configENS1_25transform_config_selectorImLb1EEEZNS1_14transform_implILb1ES3_S5_PmPlNS0_8identityIvEEEE10hipError_tT2_T3_mT4_P12ihipStream_tbEUlT_E_NS1_11comp_targetILNS1_3genE9ELNS1_11target_archE1100ELNS1_3gpuE3ELNS1_3repE0EEENS1_30default_config_static_selectorELNS0_4arch9wavefront6targetE0EEEvT1_.has_indirect_call, 0
	.section	.AMDGPU.csdata,"",@progbits
; Kernel info:
; codeLenInByte = 0
; TotalNumSgprs: 0
; NumVgprs: 0
; ScratchSize: 0
; MemoryBound: 0
; FloatMode: 240
; IeeeMode: 1
; LDSByteSize: 0 bytes/workgroup (compile time only)
; SGPRBlocks: 0
; VGPRBlocks: 0
; NumSGPRsForWavesPerEU: 1
; NumVGPRsForWavesPerEU: 1
; NamedBarCnt: 0
; Occupancy: 16
; WaveLimiterHint : 0
; COMPUTE_PGM_RSRC2:SCRATCH_EN: 0
; COMPUTE_PGM_RSRC2:USER_SGPR: 2
; COMPUTE_PGM_RSRC2:TRAP_HANDLER: 0
; COMPUTE_PGM_RSRC2:TGID_X_EN: 1
; COMPUTE_PGM_RSRC2:TGID_Y_EN: 0
; COMPUTE_PGM_RSRC2:TGID_Z_EN: 0
; COMPUTE_PGM_RSRC2:TIDIG_COMP_CNT: 0
	.section	.text._ZN7rocprim17ROCPRIM_400000_NS6detail17trampoline_kernelINS0_14default_configENS1_25transform_config_selectorImLb1EEEZNS1_14transform_implILb1ES3_S5_PmPlNS0_8identityIvEEEE10hipError_tT2_T3_mT4_P12ihipStream_tbEUlT_E_NS1_11comp_targetILNS1_3genE8ELNS1_11target_archE1030ELNS1_3gpuE2ELNS1_3repE0EEENS1_30default_config_static_selectorELNS0_4arch9wavefront6targetE0EEEvT1_,"axG",@progbits,_ZN7rocprim17ROCPRIM_400000_NS6detail17trampoline_kernelINS0_14default_configENS1_25transform_config_selectorImLb1EEEZNS1_14transform_implILb1ES3_S5_PmPlNS0_8identityIvEEEE10hipError_tT2_T3_mT4_P12ihipStream_tbEUlT_E_NS1_11comp_targetILNS1_3genE8ELNS1_11target_archE1030ELNS1_3gpuE2ELNS1_3repE0EEENS1_30default_config_static_selectorELNS0_4arch9wavefront6targetE0EEEvT1_,comdat
	.protected	_ZN7rocprim17ROCPRIM_400000_NS6detail17trampoline_kernelINS0_14default_configENS1_25transform_config_selectorImLb1EEEZNS1_14transform_implILb1ES3_S5_PmPlNS0_8identityIvEEEE10hipError_tT2_T3_mT4_P12ihipStream_tbEUlT_E_NS1_11comp_targetILNS1_3genE8ELNS1_11target_archE1030ELNS1_3gpuE2ELNS1_3repE0EEENS1_30default_config_static_selectorELNS0_4arch9wavefront6targetE0EEEvT1_ ; -- Begin function _ZN7rocprim17ROCPRIM_400000_NS6detail17trampoline_kernelINS0_14default_configENS1_25transform_config_selectorImLb1EEEZNS1_14transform_implILb1ES3_S5_PmPlNS0_8identityIvEEEE10hipError_tT2_T3_mT4_P12ihipStream_tbEUlT_E_NS1_11comp_targetILNS1_3genE8ELNS1_11target_archE1030ELNS1_3gpuE2ELNS1_3repE0EEENS1_30default_config_static_selectorELNS0_4arch9wavefront6targetE0EEEvT1_
	.globl	_ZN7rocprim17ROCPRIM_400000_NS6detail17trampoline_kernelINS0_14default_configENS1_25transform_config_selectorImLb1EEEZNS1_14transform_implILb1ES3_S5_PmPlNS0_8identityIvEEEE10hipError_tT2_T3_mT4_P12ihipStream_tbEUlT_E_NS1_11comp_targetILNS1_3genE8ELNS1_11target_archE1030ELNS1_3gpuE2ELNS1_3repE0EEENS1_30default_config_static_selectorELNS0_4arch9wavefront6targetE0EEEvT1_
	.p2align	8
	.type	_ZN7rocprim17ROCPRIM_400000_NS6detail17trampoline_kernelINS0_14default_configENS1_25transform_config_selectorImLb1EEEZNS1_14transform_implILb1ES3_S5_PmPlNS0_8identityIvEEEE10hipError_tT2_T3_mT4_P12ihipStream_tbEUlT_E_NS1_11comp_targetILNS1_3genE8ELNS1_11target_archE1030ELNS1_3gpuE2ELNS1_3repE0EEENS1_30default_config_static_selectorELNS0_4arch9wavefront6targetE0EEEvT1_,@function
_ZN7rocprim17ROCPRIM_400000_NS6detail17trampoline_kernelINS0_14default_configENS1_25transform_config_selectorImLb1EEEZNS1_14transform_implILb1ES3_S5_PmPlNS0_8identityIvEEEE10hipError_tT2_T3_mT4_P12ihipStream_tbEUlT_E_NS1_11comp_targetILNS1_3genE8ELNS1_11target_archE1030ELNS1_3gpuE2ELNS1_3repE0EEENS1_30default_config_static_selectorELNS0_4arch9wavefront6targetE0EEEvT1_: ; @_ZN7rocprim17ROCPRIM_400000_NS6detail17trampoline_kernelINS0_14default_configENS1_25transform_config_selectorImLb1EEEZNS1_14transform_implILb1ES3_S5_PmPlNS0_8identityIvEEEE10hipError_tT2_T3_mT4_P12ihipStream_tbEUlT_E_NS1_11comp_targetILNS1_3genE8ELNS1_11target_archE1030ELNS1_3gpuE2ELNS1_3repE0EEENS1_30default_config_static_selectorELNS0_4arch9wavefront6targetE0EEEvT1_
; %bb.0:
	.section	.rodata,"a",@progbits
	.p2align	6, 0x0
	.amdhsa_kernel _ZN7rocprim17ROCPRIM_400000_NS6detail17trampoline_kernelINS0_14default_configENS1_25transform_config_selectorImLb1EEEZNS1_14transform_implILb1ES3_S5_PmPlNS0_8identityIvEEEE10hipError_tT2_T3_mT4_P12ihipStream_tbEUlT_E_NS1_11comp_targetILNS1_3genE8ELNS1_11target_archE1030ELNS1_3gpuE2ELNS1_3repE0EEENS1_30default_config_static_selectorELNS0_4arch9wavefront6targetE0EEEvT1_
		.amdhsa_group_segment_fixed_size 0
		.amdhsa_private_segment_fixed_size 0
		.amdhsa_kernarg_size 40
		.amdhsa_user_sgpr_count 2
		.amdhsa_user_sgpr_dispatch_ptr 0
		.amdhsa_user_sgpr_queue_ptr 0
		.amdhsa_user_sgpr_kernarg_segment_ptr 1
		.amdhsa_user_sgpr_dispatch_id 0
		.amdhsa_user_sgpr_kernarg_preload_length 0
		.amdhsa_user_sgpr_kernarg_preload_offset 0
		.amdhsa_user_sgpr_private_segment_size 0
		.amdhsa_wavefront_size32 1
		.amdhsa_uses_dynamic_stack 0
		.amdhsa_enable_private_segment 0
		.amdhsa_system_sgpr_workgroup_id_x 1
		.amdhsa_system_sgpr_workgroup_id_y 0
		.amdhsa_system_sgpr_workgroup_id_z 0
		.amdhsa_system_sgpr_workgroup_info 0
		.amdhsa_system_vgpr_workitem_id 0
		.amdhsa_next_free_vgpr 1
		.amdhsa_next_free_sgpr 1
		.amdhsa_named_barrier_count 0
		.amdhsa_reserve_vcc 0
		.amdhsa_float_round_mode_32 0
		.amdhsa_float_round_mode_16_64 0
		.amdhsa_float_denorm_mode_32 3
		.amdhsa_float_denorm_mode_16_64 3
		.amdhsa_fp16_overflow 0
		.amdhsa_memory_ordered 1
		.amdhsa_forward_progress 1
		.amdhsa_inst_pref_size 0
		.amdhsa_round_robin_scheduling 0
		.amdhsa_exception_fp_ieee_invalid_op 0
		.amdhsa_exception_fp_denorm_src 0
		.amdhsa_exception_fp_ieee_div_zero 0
		.amdhsa_exception_fp_ieee_overflow 0
		.amdhsa_exception_fp_ieee_underflow 0
		.amdhsa_exception_fp_ieee_inexact 0
		.amdhsa_exception_int_div_zero 0
	.end_amdhsa_kernel
	.section	.text._ZN7rocprim17ROCPRIM_400000_NS6detail17trampoline_kernelINS0_14default_configENS1_25transform_config_selectorImLb1EEEZNS1_14transform_implILb1ES3_S5_PmPlNS0_8identityIvEEEE10hipError_tT2_T3_mT4_P12ihipStream_tbEUlT_E_NS1_11comp_targetILNS1_3genE8ELNS1_11target_archE1030ELNS1_3gpuE2ELNS1_3repE0EEENS1_30default_config_static_selectorELNS0_4arch9wavefront6targetE0EEEvT1_,"axG",@progbits,_ZN7rocprim17ROCPRIM_400000_NS6detail17trampoline_kernelINS0_14default_configENS1_25transform_config_selectorImLb1EEEZNS1_14transform_implILb1ES3_S5_PmPlNS0_8identityIvEEEE10hipError_tT2_T3_mT4_P12ihipStream_tbEUlT_E_NS1_11comp_targetILNS1_3genE8ELNS1_11target_archE1030ELNS1_3gpuE2ELNS1_3repE0EEENS1_30default_config_static_selectorELNS0_4arch9wavefront6targetE0EEEvT1_,comdat
.Lfunc_end193:
	.size	_ZN7rocprim17ROCPRIM_400000_NS6detail17trampoline_kernelINS0_14default_configENS1_25transform_config_selectorImLb1EEEZNS1_14transform_implILb1ES3_S5_PmPlNS0_8identityIvEEEE10hipError_tT2_T3_mT4_P12ihipStream_tbEUlT_E_NS1_11comp_targetILNS1_3genE8ELNS1_11target_archE1030ELNS1_3gpuE2ELNS1_3repE0EEENS1_30default_config_static_selectorELNS0_4arch9wavefront6targetE0EEEvT1_, .Lfunc_end193-_ZN7rocprim17ROCPRIM_400000_NS6detail17trampoline_kernelINS0_14default_configENS1_25transform_config_selectorImLb1EEEZNS1_14transform_implILb1ES3_S5_PmPlNS0_8identityIvEEEE10hipError_tT2_T3_mT4_P12ihipStream_tbEUlT_E_NS1_11comp_targetILNS1_3genE8ELNS1_11target_archE1030ELNS1_3gpuE2ELNS1_3repE0EEENS1_30default_config_static_selectorELNS0_4arch9wavefront6targetE0EEEvT1_
                                        ; -- End function
	.set _ZN7rocprim17ROCPRIM_400000_NS6detail17trampoline_kernelINS0_14default_configENS1_25transform_config_selectorImLb1EEEZNS1_14transform_implILb1ES3_S5_PmPlNS0_8identityIvEEEE10hipError_tT2_T3_mT4_P12ihipStream_tbEUlT_E_NS1_11comp_targetILNS1_3genE8ELNS1_11target_archE1030ELNS1_3gpuE2ELNS1_3repE0EEENS1_30default_config_static_selectorELNS0_4arch9wavefront6targetE0EEEvT1_.num_vgpr, 0
	.set _ZN7rocprim17ROCPRIM_400000_NS6detail17trampoline_kernelINS0_14default_configENS1_25transform_config_selectorImLb1EEEZNS1_14transform_implILb1ES3_S5_PmPlNS0_8identityIvEEEE10hipError_tT2_T3_mT4_P12ihipStream_tbEUlT_E_NS1_11comp_targetILNS1_3genE8ELNS1_11target_archE1030ELNS1_3gpuE2ELNS1_3repE0EEENS1_30default_config_static_selectorELNS0_4arch9wavefront6targetE0EEEvT1_.num_agpr, 0
	.set _ZN7rocprim17ROCPRIM_400000_NS6detail17trampoline_kernelINS0_14default_configENS1_25transform_config_selectorImLb1EEEZNS1_14transform_implILb1ES3_S5_PmPlNS0_8identityIvEEEE10hipError_tT2_T3_mT4_P12ihipStream_tbEUlT_E_NS1_11comp_targetILNS1_3genE8ELNS1_11target_archE1030ELNS1_3gpuE2ELNS1_3repE0EEENS1_30default_config_static_selectorELNS0_4arch9wavefront6targetE0EEEvT1_.numbered_sgpr, 0
	.set _ZN7rocprim17ROCPRIM_400000_NS6detail17trampoline_kernelINS0_14default_configENS1_25transform_config_selectorImLb1EEEZNS1_14transform_implILb1ES3_S5_PmPlNS0_8identityIvEEEE10hipError_tT2_T3_mT4_P12ihipStream_tbEUlT_E_NS1_11comp_targetILNS1_3genE8ELNS1_11target_archE1030ELNS1_3gpuE2ELNS1_3repE0EEENS1_30default_config_static_selectorELNS0_4arch9wavefront6targetE0EEEvT1_.num_named_barrier, 0
	.set _ZN7rocprim17ROCPRIM_400000_NS6detail17trampoline_kernelINS0_14default_configENS1_25transform_config_selectorImLb1EEEZNS1_14transform_implILb1ES3_S5_PmPlNS0_8identityIvEEEE10hipError_tT2_T3_mT4_P12ihipStream_tbEUlT_E_NS1_11comp_targetILNS1_3genE8ELNS1_11target_archE1030ELNS1_3gpuE2ELNS1_3repE0EEENS1_30default_config_static_selectorELNS0_4arch9wavefront6targetE0EEEvT1_.private_seg_size, 0
	.set _ZN7rocprim17ROCPRIM_400000_NS6detail17trampoline_kernelINS0_14default_configENS1_25transform_config_selectorImLb1EEEZNS1_14transform_implILb1ES3_S5_PmPlNS0_8identityIvEEEE10hipError_tT2_T3_mT4_P12ihipStream_tbEUlT_E_NS1_11comp_targetILNS1_3genE8ELNS1_11target_archE1030ELNS1_3gpuE2ELNS1_3repE0EEENS1_30default_config_static_selectorELNS0_4arch9wavefront6targetE0EEEvT1_.uses_vcc, 0
	.set _ZN7rocprim17ROCPRIM_400000_NS6detail17trampoline_kernelINS0_14default_configENS1_25transform_config_selectorImLb1EEEZNS1_14transform_implILb1ES3_S5_PmPlNS0_8identityIvEEEE10hipError_tT2_T3_mT4_P12ihipStream_tbEUlT_E_NS1_11comp_targetILNS1_3genE8ELNS1_11target_archE1030ELNS1_3gpuE2ELNS1_3repE0EEENS1_30default_config_static_selectorELNS0_4arch9wavefront6targetE0EEEvT1_.uses_flat_scratch, 0
	.set _ZN7rocprim17ROCPRIM_400000_NS6detail17trampoline_kernelINS0_14default_configENS1_25transform_config_selectorImLb1EEEZNS1_14transform_implILb1ES3_S5_PmPlNS0_8identityIvEEEE10hipError_tT2_T3_mT4_P12ihipStream_tbEUlT_E_NS1_11comp_targetILNS1_3genE8ELNS1_11target_archE1030ELNS1_3gpuE2ELNS1_3repE0EEENS1_30default_config_static_selectorELNS0_4arch9wavefront6targetE0EEEvT1_.has_dyn_sized_stack, 0
	.set _ZN7rocprim17ROCPRIM_400000_NS6detail17trampoline_kernelINS0_14default_configENS1_25transform_config_selectorImLb1EEEZNS1_14transform_implILb1ES3_S5_PmPlNS0_8identityIvEEEE10hipError_tT2_T3_mT4_P12ihipStream_tbEUlT_E_NS1_11comp_targetILNS1_3genE8ELNS1_11target_archE1030ELNS1_3gpuE2ELNS1_3repE0EEENS1_30default_config_static_selectorELNS0_4arch9wavefront6targetE0EEEvT1_.has_recursion, 0
	.set _ZN7rocprim17ROCPRIM_400000_NS6detail17trampoline_kernelINS0_14default_configENS1_25transform_config_selectorImLb1EEEZNS1_14transform_implILb1ES3_S5_PmPlNS0_8identityIvEEEE10hipError_tT2_T3_mT4_P12ihipStream_tbEUlT_E_NS1_11comp_targetILNS1_3genE8ELNS1_11target_archE1030ELNS1_3gpuE2ELNS1_3repE0EEENS1_30default_config_static_selectorELNS0_4arch9wavefront6targetE0EEEvT1_.has_indirect_call, 0
	.section	.AMDGPU.csdata,"",@progbits
; Kernel info:
; codeLenInByte = 0
; TotalNumSgprs: 0
; NumVgprs: 0
; ScratchSize: 0
; MemoryBound: 0
; FloatMode: 240
; IeeeMode: 1
; LDSByteSize: 0 bytes/workgroup (compile time only)
; SGPRBlocks: 0
; VGPRBlocks: 0
; NumSGPRsForWavesPerEU: 1
; NumVGPRsForWavesPerEU: 1
; NamedBarCnt: 0
; Occupancy: 16
; WaveLimiterHint : 0
; COMPUTE_PGM_RSRC2:SCRATCH_EN: 0
; COMPUTE_PGM_RSRC2:USER_SGPR: 2
; COMPUTE_PGM_RSRC2:TRAP_HANDLER: 0
; COMPUTE_PGM_RSRC2:TGID_X_EN: 1
; COMPUTE_PGM_RSRC2:TGID_Y_EN: 0
; COMPUTE_PGM_RSRC2:TGID_Z_EN: 0
; COMPUTE_PGM_RSRC2:TIDIG_COMP_CNT: 0
	.section	.text._ZN7rocprim17ROCPRIM_400000_NS6detail31init_lookback_scan_state_kernelINS1_19lookback_scan_stateIjLb1ELb1EEENS1_16block_id_wrapperIjLb1EEEEEvT_jT0_jPNS7_10value_typeE,"axG",@progbits,_ZN7rocprim17ROCPRIM_400000_NS6detail31init_lookback_scan_state_kernelINS1_19lookback_scan_stateIjLb1ELb1EEENS1_16block_id_wrapperIjLb1EEEEEvT_jT0_jPNS7_10value_typeE,comdat
	.protected	_ZN7rocprim17ROCPRIM_400000_NS6detail31init_lookback_scan_state_kernelINS1_19lookback_scan_stateIjLb1ELb1EEENS1_16block_id_wrapperIjLb1EEEEEvT_jT0_jPNS7_10value_typeE ; -- Begin function _ZN7rocprim17ROCPRIM_400000_NS6detail31init_lookback_scan_state_kernelINS1_19lookback_scan_stateIjLb1ELb1EEENS1_16block_id_wrapperIjLb1EEEEEvT_jT0_jPNS7_10value_typeE
	.globl	_ZN7rocprim17ROCPRIM_400000_NS6detail31init_lookback_scan_state_kernelINS1_19lookback_scan_stateIjLb1ELb1EEENS1_16block_id_wrapperIjLb1EEEEEvT_jT0_jPNS7_10value_typeE
	.p2align	8
	.type	_ZN7rocprim17ROCPRIM_400000_NS6detail31init_lookback_scan_state_kernelINS1_19lookback_scan_stateIjLb1ELb1EEENS1_16block_id_wrapperIjLb1EEEEEvT_jT0_jPNS7_10value_typeE,@function
_ZN7rocprim17ROCPRIM_400000_NS6detail31init_lookback_scan_state_kernelINS1_19lookback_scan_stateIjLb1ELb1EEENS1_16block_id_wrapperIjLb1EEEEEvT_jT0_jPNS7_10value_typeE: ; @_ZN7rocprim17ROCPRIM_400000_NS6detail31init_lookback_scan_state_kernelINS1_19lookback_scan_stateIjLb1ELb1EEENS1_16block_id_wrapperIjLb1EEEEEvT_jT0_jPNS7_10value_typeE
; %bb.0:
	s_clause 0x2
	s_load_b32 s7, s[0:1], 0x34
	s_load_b96 s[4:6], s[0:1], 0x0
	s_load_b64 s[2:3], s[0:1], 0x20
	s_bfe_u32 s8, ttmp6, 0x4000c
	s_and_b32 s9, ttmp6, 15
	s_add_co_i32 s8, s8, 1
	s_getreg_b32 s10, hwreg(HW_REG_IB_STS2, 6, 4)
	s_mul_i32 s8, ttmp9, s8
	s_delay_alu instid0(SALU_CYCLE_1)
	s_add_co_i32 s9, s9, s8
	s_wait_kmcnt 0x0
	s_and_b32 s7, s7, 0xffff
	s_cmp_eq_u32 s10, 0
	s_cselect_b32 s8, ttmp9, s9
	s_cmp_eq_u64 s[2:3], 0
	v_mad_u32 v4, s8, s7, v0
	s_cbranch_scc1 .LBB194_9
; %bb.1:
	s_load_b32 s8, s[0:1], 0x18
	s_wait_kmcnt 0x0
	s_cmp_lt_u32 s8, s6
	s_cselect_b32 s7, s8, 0
	s_delay_alu instid0(VALU_DEP_1) | instid1(SALU_CYCLE_1)
	v_cmp_eq_u32_e32 vcc_lo, s7, v4
	s_and_saveexec_b32 s7, vcc_lo
	s_cbranch_execz .LBB194_8
; %bb.2:
	s_add_co_i32 s8, s8, 32
	s_delay_alu instid0(SALU_CYCLE_1)
	v_mov_b32_e32 v0, s8
	global_load_b64 v[2:3], v0, s[4:5] scale_offset scope:SCOPE_DEV
	s_wait_xcnt 0x0
	v_mov_b32_e32 v0, 0
	s_wait_loadcnt 0x0
	v_and_b32_e32 v1, 0xff, v3
	s_delay_alu instid0(VALU_DEP_1)
	v_cmp_ne_u64_e32 vcc_lo, 0, v[0:1]
	s_cbranch_vccnz .LBB194_7
; %bb.3:
	s_mov_b32 s9, 0
	s_mov_b32 s10, 1
	s_lshl_b64 s[8:9], s[8:9], 3
	s_delay_alu instid0(SALU_CYCLE_1)
	s_add_nc_u64 s[8:9], s[4:5], s[8:9]
.LBB194_4:                              ; =>This Loop Header: Depth=1
                                        ;     Child Loop BB194_5 Depth 2
	s_mov_b32 s11, s10
.LBB194_5:                              ;   Parent Loop BB194_4 Depth=1
                                        ; =>  This Inner Loop Header: Depth=2
	s_delay_alu instid0(SALU_CYCLE_1)
	s_add_co_i32 s11, s11, -1
	s_sleep 1
	s_cmp_eq_u32 s11, 0
	s_cbranch_scc0 .LBB194_5
; %bb.6:                                ;   in Loop: Header=BB194_4 Depth=1
	global_load_b64 v[2:3], v0, s[8:9] scope:SCOPE_DEV
	s_cmp_lt_u32 s10, 32
	s_cselect_b32 s11, -1, 0
	s_delay_alu instid0(SALU_CYCLE_1) | instskip(SKIP_3) | instid1(VALU_DEP_1)
	s_cmp_lg_u32 s11, 0
	s_add_co_ci_u32 s10, s10, 0
	s_wait_loadcnt 0x0
	v_and_b32_e32 v1, 0xff, v3
	v_cmp_ne_u64_e32 vcc_lo, 0, v[0:1]
	s_cbranch_vccz .LBB194_4
.LBB194_7:
	v_mov_b32_e32 v0, 0
	global_store_b32 v0, v2, s[2:3]
.LBB194_8:
	s_wait_xcnt 0x0
	s_or_b32 exec_lo, exec_lo, s7
.LBB194_9:
	s_delay_alu instid0(SALU_CYCLE_1) | instskip(NEXT) | instid1(VALU_DEP_1)
	s_mov_b32 s2, exec_lo
	v_cmpx_eq_u32_e32 0, v4
	s_cbranch_execz .LBB194_11
; %bb.10:
	s_load_b64 s[0:1], s[0:1], 0x10
	v_mov_b32_e32 v0, 0
	s_wait_kmcnt 0x0
	global_store_b32 v0, v0, s[0:1]
.LBB194_11:
	s_wait_xcnt 0x0
	s_or_b32 exec_lo, exec_lo, s2
	s_delay_alu instid0(SALU_CYCLE_1)
	s_mov_b32 s0, exec_lo
	v_cmpx_gt_u32_e64 s6, v4
	s_cbranch_execz .LBB194_13
; %bb.12:
	v_mov_b64_e32 v[0:1], 0
	v_add_nc_u32_e32 v2, 32, v4
	global_store_b64 v2, v[0:1], s[4:5] scale_offset
.LBB194_13:
	s_wait_xcnt 0x0
	s_or_b32 exec_lo, exec_lo, s0
	s_delay_alu instid0(SALU_CYCLE_1)
	s_mov_b32 s0, exec_lo
	v_cmpx_gt_u32_e32 32, v4
	s_cbranch_execz .LBB194_15
; %bb.14:
	v_mov_b64_e32 v[0:1], 0xff00000000
	global_store_b64 v4, v[0:1], s[4:5] scale_offset
.LBB194_15:
	s_endpgm
	.section	.rodata,"a",@progbits
	.p2align	6, 0x0
	.amdhsa_kernel _ZN7rocprim17ROCPRIM_400000_NS6detail31init_lookback_scan_state_kernelINS1_19lookback_scan_stateIjLb1ELb1EEENS1_16block_id_wrapperIjLb1EEEEEvT_jT0_jPNS7_10value_typeE
		.amdhsa_group_segment_fixed_size 0
		.amdhsa_private_segment_fixed_size 0
		.amdhsa_kernarg_size 296
		.amdhsa_user_sgpr_count 2
		.amdhsa_user_sgpr_dispatch_ptr 0
		.amdhsa_user_sgpr_queue_ptr 0
		.amdhsa_user_sgpr_kernarg_segment_ptr 1
		.amdhsa_user_sgpr_dispatch_id 0
		.amdhsa_user_sgpr_kernarg_preload_length 0
		.amdhsa_user_sgpr_kernarg_preload_offset 0
		.amdhsa_user_sgpr_private_segment_size 0
		.amdhsa_wavefront_size32 1
		.amdhsa_uses_dynamic_stack 0
		.amdhsa_enable_private_segment 0
		.amdhsa_system_sgpr_workgroup_id_x 1
		.amdhsa_system_sgpr_workgroup_id_y 0
		.amdhsa_system_sgpr_workgroup_id_z 0
		.amdhsa_system_sgpr_workgroup_info 0
		.amdhsa_system_vgpr_workitem_id 0
		.amdhsa_next_free_vgpr 5
		.amdhsa_next_free_sgpr 12
		.amdhsa_named_barrier_count 0
		.amdhsa_reserve_vcc 1
		.amdhsa_float_round_mode_32 0
		.amdhsa_float_round_mode_16_64 0
		.amdhsa_float_denorm_mode_32 3
		.amdhsa_float_denorm_mode_16_64 3
		.amdhsa_fp16_overflow 0
		.amdhsa_memory_ordered 1
		.amdhsa_forward_progress 1
		.amdhsa_inst_pref_size 4
		.amdhsa_round_robin_scheduling 0
		.amdhsa_exception_fp_ieee_invalid_op 0
		.amdhsa_exception_fp_denorm_src 0
		.amdhsa_exception_fp_ieee_div_zero 0
		.amdhsa_exception_fp_ieee_overflow 0
		.amdhsa_exception_fp_ieee_underflow 0
		.amdhsa_exception_fp_ieee_inexact 0
		.amdhsa_exception_int_div_zero 0
	.end_amdhsa_kernel
	.section	.text._ZN7rocprim17ROCPRIM_400000_NS6detail31init_lookback_scan_state_kernelINS1_19lookback_scan_stateIjLb1ELb1EEENS1_16block_id_wrapperIjLb1EEEEEvT_jT0_jPNS7_10value_typeE,"axG",@progbits,_ZN7rocprim17ROCPRIM_400000_NS6detail31init_lookback_scan_state_kernelINS1_19lookback_scan_stateIjLb1ELb1EEENS1_16block_id_wrapperIjLb1EEEEEvT_jT0_jPNS7_10value_typeE,comdat
.Lfunc_end194:
	.size	_ZN7rocprim17ROCPRIM_400000_NS6detail31init_lookback_scan_state_kernelINS1_19lookback_scan_stateIjLb1ELb1EEENS1_16block_id_wrapperIjLb1EEEEEvT_jT0_jPNS7_10value_typeE, .Lfunc_end194-_ZN7rocprim17ROCPRIM_400000_NS6detail31init_lookback_scan_state_kernelINS1_19lookback_scan_stateIjLb1ELb1EEENS1_16block_id_wrapperIjLb1EEEEEvT_jT0_jPNS7_10value_typeE
                                        ; -- End function
	.set _ZN7rocprim17ROCPRIM_400000_NS6detail31init_lookback_scan_state_kernelINS1_19lookback_scan_stateIjLb1ELb1EEENS1_16block_id_wrapperIjLb1EEEEEvT_jT0_jPNS7_10value_typeE.num_vgpr, 5
	.set _ZN7rocprim17ROCPRIM_400000_NS6detail31init_lookback_scan_state_kernelINS1_19lookback_scan_stateIjLb1ELb1EEENS1_16block_id_wrapperIjLb1EEEEEvT_jT0_jPNS7_10value_typeE.num_agpr, 0
	.set _ZN7rocprim17ROCPRIM_400000_NS6detail31init_lookback_scan_state_kernelINS1_19lookback_scan_stateIjLb1ELb1EEENS1_16block_id_wrapperIjLb1EEEEEvT_jT0_jPNS7_10value_typeE.numbered_sgpr, 12
	.set _ZN7rocprim17ROCPRIM_400000_NS6detail31init_lookback_scan_state_kernelINS1_19lookback_scan_stateIjLb1ELb1EEENS1_16block_id_wrapperIjLb1EEEEEvT_jT0_jPNS7_10value_typeE.num_named_barrier, 0
	.set _ZN7rocprim17ROCPRIM_400000_NS6detail31init_lookback_scan_state_kernelINS1_19lookback_scan_stateIjLb1ELb1EEENS1_16block_id_wrapperIjLb1EEEEEvT_jT0_jPNS7_10value_typeE.private_seg_size, 0
	.set _ZN7rocprim17ROCPRIM_400000_NS6detail31init_lookback_scan_state_kernelINS1_19lookback_scan_stateIjLb1ELb1EEENS1_16block_id_wrapperIjLb1EEEEEvT_jT0_jPNS7_10value_typeE.uses_vcc, 1
	.set _ZN7rocprim17ROCPRIM_400000_NS6detail31init_lookback_scan_state_kernelINS1_19lookback_scan_stateIjLb1ELb1EEENS1_16block_id_wrapperIjLb1EEEEEvT_jT0_jPNS7_10value_typeE.uses_flat_scratch, 0
	.set _ZN7rocprim17ROCPRIM_400000_NS6detail31init_lookback_scan_state_kernelINS1_19lookback_scan_stateIjLb1ELb1EEENS1_16block_id_wrapperIjLb1EEEEEvT_jT0_jPNS7_10value_typeE.has_dyn_sized_stack, 0
	.set _ZN7rocprim17ROCPRIM_400000_NS6detail31init_lookback_scan_state_kernelINS1_19lookback_scan_stateIjLb1ELb1EEENS1_16block_id_wrapperIjLb1EEEEEvT_jT0_jPNS7_10value_typeE.has_recursion, 0
	.set _ZN7rocprim17ROCPRIM_400000_NS6detail31init_lookback_scan_state_kernelINS1_19lookback_scan_stateIjLb1ELb1EEENS1_16block_id_wrapperIjLb1EEEEEvT_jT0_jPNS7_10value_typeE.has_indirect_call, 0
	.section	.AMDGPU.csdata,"",@progbits
; Kernel info:
; codeLenInByte = 452
; TotalNumSgprs: 14
; NumVgprs: 5
; ScratchSize: 0
; MemoryBound: 0
; FloatMode: 240
; IeeeMode: 1
; LDSByteSize: 0 bytes/workgroup (compile time only)
; SGPRBlocks: 0
; VGPRBlocks: 0
; NumSGPRsForWavesPerEU: 14
; NumVGPRsForWavesPerEU: 5
; NamedBarCnt: 0
; Occupancy: 16
; WaveLimiterHint : 0
; COMPUTE_PGM_RSRC2:SCRATCH_EN: 0
; COMPUTE_PGM_RSRC2:USER_SGPR: 2
; COMPUTE_PGM_RSRC2:TRAP_HANDLER: 0
; COMPUTE_PGM_RSRC2:TGID_X_EN: 1
; COMPUTE_PGM_RSRC2:TGID_Y_EN: 0
; COMPUTE_PGM_RSRC2:TGID_Z_EN: 0
; COMPUTE_PGM_RSRC2:TIDIG_COMP_CNT: 0
	.section	.text._ZN7rocprim17ROCPRIM_400000_NS6detail17trampoline_kernelINS0_14default_configENS1_25partition_config_selectorILNS1_17partition_subalgoE8EiNS0_10empty_typeEbEEZZNS1_14partition_implILS5_8ELb0ES3_jPKiPS6_PKS6_NS0_5tupleIJPiS6_EEENSE_IJSB_SB_EEENS0_18inequality_wrapperIN6hipcub16HIPCUB_304000_NS8EqualityEEEPlJS6_EEE10hipError_tPvRmT3_T4_T5_T6_T7_T9_mT8_P12ihipStream_tbDpT10_ENKUlT_T0_E_clISt17integral_constantIbLb1EES17_EEDaS12_S13_EUlS12_E_NS1_11comp_targetILNS1_3genE0ELNS1_11target_archE4294967295ELNS1_3gpuE0ELNS1_3repE0EEENS1_30default_config_static_selectorELNS0_4arch9wavefront6targetE0EEEvT1_,"axG",@progbits,_ZN7rocprim17ROCPRIM_400000_NS6detail17trampoline_kernelINS0_14default_configENS1_25partition_config_selectorILNS1_17partition_subalgoE8EiNS0_10empty_typeEbEEZZNS1_14partition_implILS5_8ELb0ES3_jPKiPS6_PKS6_NS0_5tupleIJPiS6_EEENSE_IJSB_SB_EEENS0_18inequality_wrapperIN6hipcub16HIPCUB_304000_NS8EqualityEEEPlJS6_EEE10hipError_tPvRmT3_T4_T5_T6_T7_T9_mT8_P12ihipStream_tbDpT10_ENKUlT_T0_E_clISt17integral_constantIbLb1EES17_EEDaS12_S13_EUlS12_E_NS1_11comp_targetILNS1_3genE0ELNS1_11target_archE4294967295ELNS1_3gpuE0ELNS1_3repE0EEENS1_30default_config_static_selectorELNS0_4arch9wavefront6targetE0EEEvT1_,comdat
	.protected	_ZN7rocprim17ROCPRIM_400000_NS6detail17trampoline_kernelINS0_14default_configENS1_25partition_config_selectorILNS1_17partition_subalgoE8EiNS0_10empty_typeEbEEZZNS1_14partition_implILS5_8ELb0ES3_jPKiPS6_PKS6_NS0_5tupleIJPiS6_EEENSE_IJSB_SB_EEENS0_18inequality_wrapperIN6hipcub16HIPCUB_304000_NS8EqualityEEEPlJS6_EEE10hipError_tPvRmT3_T4_T5_T6_T7_T9_mT8_P12ihipStream_tbDpT10_ENKUlT_T0_E_clISt17integral_constantIbLb1EES17_EEDaS12_S13_EUlS12_E_NS1_11comp_targetILNS1_3genE0ELNS1_11target_archE4294967295ELNS1_3gpuE0ELNS1_3repE0EEENS1_30default_config_static_selectorELNS0_4arch9wavefront6targetE0EEEvT1_ ; -- Begin function _ZN7rocprim17ROCPRIM_400000_NS6detail17trampoline_kernelINS0_14default_configENS1_25partition_config_selectorILNS1_17partition_subalgoE8EiNS0_10empty_typeEbEEZZNS1_14partition_implILS5_8ELb0ES3_jPKiPS6_PKS6_NS0_5tupleIJPiS6_EEENSE_IJSB_SB_EEENS0_18inequality_wrapperIN6hipcub16HIPCUB_304000_NS8EqualityEEEPlJS6_EEE10hipError_tPvRmT3_T4_T5_T6_T7_T9_mT8_P12ihipStream_tbDpT10_ENKUlT_T0_E_clISt17integral_constantIbLb1EES17_EEDaS12_S13_EUlS12_E_NS1_11comp_targetILNS1_3genE0ELNS1_11target_archE4294967295ELNS1_3gpuE0ELNS1_3repE0EEENS1_30default_config_static_selectorELNS0_4arch9wavefront6targetE0EEEvT1_
	.globl	_ZN7rocprim17ROCPRIM_400000_NS6detail17trampoline_kernelINS0_14default_configENS1_25partition_config_selectorILNS1_17partition_subalgoE8EiNS0_10empty_typeEbEEZZNS1_14partition_implILS5_8ELb0ES3_jPKiPS6_PKS6_NS0_5tupleIJPiS6_EEENSE_IJSB_SB_EEENS0_18inequality_wrapperIN6hipcub16HIPCUB_304000_NS8EqualityEEEPlJS6_EEE10hipError_tPvRmT3_T4_T5_T6_T7_T9_mT8_P12ihipStream_tbDpT10_ENKUlT_T0_E_clISt17integral_constantIbLb1EES17_EEDaS12_S13_EUlS12_E_NS1_11comp_targetILNS1_3genE0ELNS1_11target_archE4294967295ELNS1_3gpuE0ELNS1_3repE0EEENS1_30default_config_static_selectorELNS0_4arch9wavefront6targetE0EEEvT1_
	.p2align	8
	.type	_ZN7rocprim17ROCPRIM_400000_NS6detail17trampoline_kernelINS0_14default_configENS1_25partition_config_selectorILNS1_17partition_subalgoE8EiNS0_10empty_typeEbEEZZNS1_14partition_implILS5_8ELb0ES3_jPKiPS6_PKS6_NS0_5tupleIJPiS6_EEENSE_IJSB_SB_EEENS0_18inequality_wrapperIN6hipcub16HIPCUB_304000_NS8EqualityEEEPlJS6_EEE10hipError_tPvRmT3_T4_T5_T6_T7_T9_mT8_P12ihipStream_tbDpT10_ENKUlT_T0_E_clISt17integral_constantIbLb1EES17_EEDaS12_S13_EUlS12_E_NS1_11comp_targetILNS1_3genE0ELNS1_11target_archE4294967295ELNS1_3gpuE0ELNS1_3repE0EEENS1_30default_config_static_selectorELNS0_4arch9wavefront6targetE0EEEvT1_,@function
_ZN7rocprim17ROCPRIM_400000_NS6detail17trampoline_kernelINS0_14default_configENS1_25partition_config_selectorILNS1_17partition_subalgoE8EiNS0_10empty_typeEbEEZZNS1_14partition_implILS5_8ELb0ES3_jPKiPS6_PKS6_NS0_5tupleIJPiS6_EEENSE_IJSB_SB_EEENS0_18inequality_wrapperIN6hipcub16HIPCUB_304000_NS8EqualityEEEPlJS6_EEE10hipError_tPvRmT3_T4_T5_T6_T7_T9_mT8_P12ihipStream_tbDpT10_ENKUlT_T0_E_clISt17integral_constantIbLb1EES17_EEDaS12_S13_EUlS12_E_NS1_11comp_targetILNS1_3genE0ELNS1_11target_archE4294967295ELNS1_3gpuE0ELNS1_3repE0EEENS1_30default_config_static_selectorELNS0_4arch9wavefront6targetE0EEEvT1_: ; @_ZN7rocprim17ROCPRIM_400000_NS6detail17trampoline_kernelINS0_14default_configENS1_25partition_config_selectorILNS1_17partition_subalgoE8EiNS0_10empty_typeEbEEZZNS1_14partition_implILS5_8ELb0ES3_jPKiPS6_PKS6_NS0_5tupleIJPiS6_EEENSE_IJSB_SB_EEENS0_18inequality_wrapperIN6hipcub16HIPCUB_304000_NS8EqualityEEEPlJS6_EEE10hipError_tPvRmT3_T4_T5_T6_T7_T9_mT8_P12ihipStream_tbDpT10_ENKUlT_T0_E_clISt17integral_constantIbLb1EES17_EEDaS12_S13_EUlS12_E_NS1_11comp_targetILNS1_3genE0ELNS1_11target_archE4294967295ELNS1_3gpuE0ELNS1_3repE0EEENS1_30default_config_static_selectorELNS0_4arch9wavefront6targetE0EEEvT1_
; %bb.0:
	s_endpgm
	.section	.rodata,"a",@progbits
	.p2align	6, 0x0
	.amdhsa_kernel _ZN7rocprim17ROCPRIM_400000_NS6detail17trampoline_kernelINS0_14default_configENS1_25partition_config_selectorILNS1_17partition_subalgoE8EiNS0_10empty_typeEbEEZZNS1_14partition_implILS5_8ELb0ES3_jPKiPS6_PKS6_NS0_5tupleIJPiS6_EEENSE_IJSB_SB_EEENS0_18inequality_wrapperIN6hipcub16HIPCUB_304000_NS8EqualityEEEPlJS6_EEE10hipError_tPvRmT3_T4_T5_T6_T7_T9_mT8_P12ihipStream_tbDpT10_ENKUlT_T0_E_clISt17integral_constantIbLb1EES17_EEDaS12_S13_EUlS12_E_NS1_11comp_targetILNS1_3genE0ELNS1_11target_archE4294967295ELNS1_3gpuE0ELNS1_3repE0EEENS1_30default_config_static_selectorELNS0_4arch9wavefront6targetE0EEEvT1_
		.amdhsa_group_segment_fixed_size 0
		.amdhsa_private_segment_fixed_size 0
		.amdhsa_kernarg_size 128
		.amdhsa_user_sgpr_count 2
		.amdhsa_user_sgpr_dispatch_ptr 0
		.amdhsa_user_sgpr_queue_ptr 0
		.amdhsa_user_sgpr_kernarg_segment_ptr 1
		.amdhsa_user_sgpr_dispatch_id 0
		.amdhsa_user_sgpr_kernarg_preload_length 0
		.amdhsa_user_sgpr_kernarg_preload_offset 0
		.amdhsa_user_sgpr_private_segment_size 0
		.amdhsa_wavefront_size32 1
		.amdhsa_uses_dynamic_stack 0
		.amdhsa_enable_private_segment 0
		.amdhsa_system_sgpr_workgroup_id_x 1
		.amdhsa_system_sgpr_workgroup_id_y 0
		.amdhsa_system_sgpr_workgroup_id_z 0
		.amdhsa_system_sgpr_workgroup_info 0
		.amdhsa_system_vgpr_workitem_id 0
		.amdhsa_next_free_vgpr 1
		.amdhsa_next_free_sgpr 1
		.amdhsa_named_barrier_count 0
		.amdhsa_reserve_vcc 0
		.amdhsa_float_round_mode_32 0
		.amdhsa_float_round_mode_16_64 0
		.amdhsa_float_denorm_mode_32 3
		.amdhsa_float_denorm_mode_16_64 3
		.amdhsa_fp16_overflow 0
		.amdhsa_memory_ordered 1
		.amdhsa_forward_progress 1
		.amdhsa_inst_pref_size 1
		.amdhsa_round_robin_scheduling 0
		.amdhsa_exception_fp_ieee_invalid_op 0
		.amdhsa_exception_fp_denorm_src 0
		.amdhsa_exception_fp_ieee_div_zero 0
		.amdhsa_exception_fp_ieee_overflow 0
		.amdhsa_exception_fp_ieee_underflow 0
		.amdhsa_exception_fp_ieee_inexact 0
		.amdhsa_exception_int_div_zero 0
	.end_amdhsa_kernel
	.section	.text._ZN7rocprim17ROCPRIM_400000_NS6detail17trampoline_kernelINS0_14default_configENS1_25partition_config_selectorILNS1_17partition_subalgoE8EiNS0_10empty_typeEbEEZZNS1_14partition_implILS5_8ELb0ES3_jPKiPS6_PKS6_NS0_5tupleIJPiS6_EEENSE_IJSB_SB_EEENS0_18inequality_wrapperIN6hipcub16HIPCUB_304000_NS8EqualityEEEPlJS6_EEE10hipError_tPvRmT3_T4_T5_T6_T7_T9_mT8_P12ihipStream_tbDpT10_ENKUlT_T0_E_clISt17integral_constantIbLb1EES17_EEDaS12_S13_EUlS12_E_NS1_11comp_targetILNS1_3genE0ELNS1_11target_archE4294967295ELNS1_3gpuE0ELNS1_3repE0EEENS1_30default_config_static_selectorELNS0_4arch9wavefront6targetE0EEEvT1_,"axG",@progbits,_ZN7rocprim17ROCPRIM_400000_NS6detail17trampoline_kernelINS0_14default_configENS1_25partition_config_selectorILNS1_17partition_subalgoE8EiNS0_10empty_typeEbEEZZNS1_14partition_implILS5_8ELb0ES3_jPKiPS6_PKS6_NS0_5tupleIJPiS6_EEENSE_IJSB_SB_EEENS0_18inequality_wrapperIN6hipcub16HIPCUB_304000_NS8EqualityEEEPlJS6_EEE10hipError_tPvRmT3_T4_T5_T6_T7_T9_mT8_P12ihipStream_tbDpT10_ENKUlT_T0_E_clISt17integral_constantIbLb1EES17_EEDaS12_S13_EUlS12_E_NS1_11comp_targetILNS1_3genE0ELNS1_11target_archE4294967295ELNS1_3gpuE0ELNS1_3repE0EEENS1_30default_config_static_selectorELNS0_4arch9wavefront6targetE0EEEvT1_,comdat
.Lfunc_end195:
	.size	_ZN7rocprim17ROCPRIM_400000_NS6detail17trampoline_kernelINS0_14default_configENS1_25partition_config_selectorILNS1_17partition_subalgoE8EiNS0_10empty_typeEbEEZZNS1_14partition_implILS5_8ELb0ES3_jPKiPS6_PKS6_NS0_5tupleIJPiS6_EEENSE_IJSB_SB_EEENS0_18inequality_wrapperIN6hipcub16HIPCUB_304000_NS8EqualityEEEPlJS6_EEE10hipError_tPvRmT3_T4_T5_T6_T7_T9_mT8_P12ihipStream_tbDpT10_ENKUlT_T0_E_clISt17integral_constantIbLb1EES17_EEDaS12_S13_EUlS12_E_NS1_11comp_targetILNS1_3genE0ELNS1_11target_archE4294967295ELNS1_3gpuE0ELNS1_3repE0EEENS1_30default_config_static_selectorELNS0_4arch9wavefront6targetE0EEEvT1_, .Lfunc_end195-_ZN7rocprim17ROCPRIM_400000_NS6detail17trampoline_kernelINS0_14default_configENS1_25partition_config_selectorILNS1_17partition_subalgoE8EiNS0_10empty_typeEbEEZZNS1_14partition_implILS5_8ELb0ES3_jPKiPS6_PKS6_NS0_5tupleIJPiS6_EEENSE_IJSB_SB_EEENS0_18inequality_wrapperIN6hipcub16HIPCUB_304000_NS8EqualityEEEPlJS6_EEE10hipError_tPvRmT3_T4_T5_T6_T7_T9_mT8_P12ihipStream_tbDpT10_ENKUlT_T0_E_clISt17integral_constantIbLb1EES17_EEDaS12_S13_EUlS12_E_NS1_11comp_targetILNS1_3genE0ELNS1_11target_archE4294967295ELNS1_3gpuE0ELNS1_3repE0EEENS1_30default_config_static_selectorELNS0_4arch9wavefront6targetE0EEEvT1_
                                        ; -- End function
	.set _ZN7rocprim17ROCPRIM_400000_NS6detail17trampoline_kernelINS0_14default_configENS1_25partition_config_selectorILNS1_17partition_subalgoE8EiNS0_10empty_typeEbEEZZNS1_14partition_implILS5_8ELb0ES3_jPKiPS6_PKS6_NS0_5tupleIJPiS6_EEENSE_IJSB_SB_EEENS0_18inequality_wrapperIN6hipcub16HIPCUB_304000_NS8EqualityEEEPlJS6_EEE10hipError_tPvRmT3_T4_T5_T6_T7_T9_mT8_P12ihipStream_tbDpT10_ENKUlT_T0_E_clISt17integral_constantIbLb1EES17_EEDaS12_S13_EUlS12_E_NS1_11comp_targetILNS1_3genE0ELNS1_11target_archE4294967295ELNS1_3gpuE0ELNS1_3repE0EEENS1_30default_config_static_selectorELNS0_4arch9wavefront6targetE0EEEvT1_.num_vgpr, 0
	.set _ZN7rocprim17ROCPRIM_400000_NS6detail17trampoline_kernelINS0_14default_configENS1_25partition_config_selectorILNS1_17partition_subalgoE8EiNS0_10empty_typeEbEEZZNS1_14partition_implILS5_8ELb0ES3_jPKiPS6_PKS6_NS0_5tupleIJPiS6_EEENSE_IJSB_SB_EEENS0_18inequality_wrapperIN6hipcub16HIPCUB_304000_NS8EqualityEEEPlJS6_EEE10hipError_tPvRmT3_T4_T5_T6_T7_T9_mT8_P12ihipStream_tbDpT10_ENKUlT_T0_E_clISt17integral_constantIbLb1EES17_EEDaS12_S13_EUlS12_E_NS1_11comp_targetILNS1_3genE0ELNS1_11target_archE4294967295ELNS1_3gpuE0ELNS1_3repE0EEENS1_30default_config_static_selectorELNS0_4arch9wavefront6targetE0EEEvT1_.num_agpr, 0
	.set _ZN7rocprim17ROCPRIM_400000_NS6detail17trampoline_kernelINS0_14default_configENS1_25partition_config_selectorILNS1_17partition_subalgoE8EiNS0_10empty_typeEbEEZZNS1_14partition_implILS5_8ELb0ES3_jPKiPS6_PKS6_NS0_5tupleIJPiS6_EEENSE_IJSB_SB_EEENS0_18inequality_wrapperIN6hipcub16HIPCUB_304000_NS8EqualityEEEPlJS6_EEE10hipError_tPvRmT3_T4_T5_T6_T7_T9_mT8_P12ihipStream_tbDpT10_ENKUlT_T0_E_clISt17integral_constantIbLb1EES17_EEDaS12_S13_EUlS12_E_NS1_11comp_targetILNS1_3genE0ELNS1_11target_archE4294967295ELNS1_3gpuE0ELNS1_3repE0EEENS1_30default_config_static_selectorELNS0_4arch9wavefront6targetE0EEEvT1_.numbered_sgpr, 0
	.set _ZN7rocprim17ROCPRIM_400000_NS6detail17trampoline_kernelINS0_14default_configENS1_25partition_config_selectorILNS1_17partition_subalgoE8EiNS0_10empty_typeEbEEZZNS1_14partition_implILS5_8ELb0ES3_jPKiPS6_PKS6_NS0_5tupleIJPiS6_EEENSE_IJSB_SB_EEENS0_18inequality_wrapperIN6hipcub16HIPCUB_304000_NS8EqualityEEEPlJS6_EEE10hipError_tPvRmT3_T4_T5_T6_T7_T9_mT8_P12ihipStream_tbDpT10_ENKUlT_T0_E_clISt17integral_constantIbLb1EES17_EEDaS12_S13_EUlS12_E_NS1_11comp_targetILNS1_3genE0ELNS1_11target_archE4294967295ELNS1_3gpuE0ELNS1_3repE0EEENS1_30default_config_static_selectorELNS0_4arch9wavefront6targetE0EEEvT1_.num_named_barrier, 0
	.set _ZN7rocprim17ROCPRIM_400000_NS6detail17trampoline_kernelINS0_14default_configENS1_25partition_config_selectorILNS1_17partition_subalgoE8EiNS0_10empty_typeEbEEZZNS1_14partition_implILS5_8ELb0ES3_jPKiPS6_PKS6_NS0_5tupleIJPiS6_EEENSE_IJSB_SB_EEENS0_18inequality_wrapperIN6hipcub16HIPCUB_304000_NS8EqualityEEEPlJS6_EEE10hipError_tPvRmT3_T4_T5_T6_T7_T9_mT8_P12ihipStream_tbDpT10_ENKUlT_T0_E_clISt17integral_constantIbLb1EES17_EEDaS12_S13_EUlS12_E_NS1_11comp_targetILNS1_3genE0ELNS1_11target_archE4294967295ELNS1_3gpuE0ELNS1_3repE0EEENS1_30default_config_static_selectorELNS0_4arch9wavefront6targetE0EEEvT1_.private_seg_size, 0
	.set _ZN7rocprim17ROCPRIM_400000_NS6detail17trampoline_kernelINS0_14default_configENS1_25partition_config_selectorILNS1_17partition_subalgoE8EiNS0_10empty_typeEbEEZZNS1_14partition_implILS5_8ELb0ES3_jPKiPS6_PKS6_NS0_5tupleIJPiS6_EEENSE_IJSB_SB_EEENS0_18inequality_wrapperIN6hipcub16HIPCUB_304000_NS8EqualityEEEPlJS6_EEE10hipError_tPvRmT3_T4_T5_T6_T7_T9_mT8_P12ihipStream_tbDpT10_ENKUlT_T0_E_clISt17integral_constantIbLb1EES17_EEDaS12_S13_EUlS12_E_NS1_11comp_targetILNS1_3genE0ELNS1_11target_archE4294967295ELNS1_3gpuE0ELNS1_3repE0EEENS1_30default_config_static_selectorELNS0_4arch9wavefront6targetE0EEEvT1_.uses_vcc, 0
	.set _ZN7rocprim17ROCPRIM_400000_NS6detail17trampoline_kernelINS0_14default_configENS1_25partition_config_selectorILNS1_17partition_subalgoE8EiNS0_10empty_typeEbEEZZNS1_14partition_implILS5_8ELb0ES3_jPKiPS6_PKS6_NS0_5tupleIJPiS6_EEENSE_IJSB_SB_EEENS0_18inequality_wrapperIN6hipcub16HIPCUB_304000_NS8EqualityEEEPlJS6_EEE10hipError_tPvRmT3_T4_T5_T6_T7_T9_mT8_P12ihipStream_tbDpT10_ENKUlT_T0_E_clISt17integral_constantIbLb1EES17_EEDaS12_S13_EUlS12_E_NS1_11comp_targetILNS1_3genE0ELNS1_11target_archE4294967295ELNS1_3gpuE0ELNS1_3repE0EEENS1_30default_config_static_selectorELNS0_4arch9wavefront6targetE0EEEvT1_.uses_flat_scratch, 0
	.set _ZN7rocprim17ROCPRIM_400000_NS6detail17trampoline_kernelINS0_14default_configENS1_25partition_config_selectorILNS1_17partition_subalgoE8EiNS0_10empty_typeEbEEZZNS1_14partition_implILS5_8ELb0ES3_jPKiPS6_PKS6_NS0_5tupleIJPiS6_EEENSE_IJSB_SB_EEENS0_18inequality_wrapperIN6hipcub16HIPCUB_304000_NS8EqualityEEEPlJS6_EEE10hipError_tPvRmT3_T4_T5_T6_T7_T9_mT8_P12ihipStream_tbDpT10_ENKUlT_T0_E_clISt17integral_constantIbLb1EES17_EEDaS12_S13_EUlS12_E_NS1_11comp_targetILNS1_3genE0ELNS1_11target_archE4294967295ELNS1_3gpuE0ELNS1_3repE0EEENS1_30default_config_static_selectorELNS0_4arch9wavefront6targetE0EEEvT1_.has_dyn_sized_stack, 0
	.set _ZN7rocprim17ROCPRIM_400000_NS6detail17trampoline_kernelINS0_14default_configENS1_25partition_config_selectorILNS1_17partition_subalgoE8EiNS0_10empty_typeEbEEZZNS1_14partition_implILS5_8ELb0ES3_jPKiPS6_PKS6_NS0_5tupleIJPiS6_EEENSE_IJSB_SB_EEENS0_18inequality_wrapperIN6hipcub16HIPCUB_304000_NS8EqualityEEEPlJS6_EEE10hipError_tPvRmT3_T4_T5_T6_T7_T9_mT8_P12ihipStream_tbDpT10_ENKUlT_T0_E_clISt17integral_constantIbLb1EES17_EEDaS12_S13_EUlS12_E_NS1_11comp_targetILNS1_3genE0ELNS1_11target_archE4294967295ELNS1_3gpuE0ELNS1_3repE0EEENS1_30default_config_static_selectorELNS0_4arch9wavefront6targetE0EEEvT1_.has_recursion, 0
	.set _ZN7rocprim17ROCPRIM_400000_NS6detail17trampoline_kernelINS0_14default_configENS1_25partition_config_selectorILNS1_17partition_subalgoE8EiNS0_10empty_typeEbEEZZNS1_14partition_implILS5_8ELb0ES3_jPKiPS6_PKS6_NS0_5tupleIJPiS6_EEENSE_IJSB_SB_EEENS0_18inequality_wrapperIN6hipcub16HIPCUB_304000_NS8EqualityEEEPlJS6_EEE10hipError_tPvRmT3_T4_T5_T6_T7_T9_mT8_P12ihipStream_tbDpT10_ENKUlT_T0_E_clISt17integral_constantIbLb1EES17_EEDaS12_S13_EUlS12_E_NS1_11comp_targetILNS1_3genE0ELNS1_11target_archE4294967295ELNS1_3gpuE0ELNS1_3repE0EEENS1_30default_config_static_selectorELNS0_4arch9wavefront6targetE0EEEvT1_.has_indirect_call, 0
	.section	.AMDGPU.csdata,"",@progbits
; Kernel info:
; codeLenInByte = 4
; TotalNumSgprs: 0
; NumVgprs: 0
; ScratchSize: 0
; MemoryBound: 0
; FloatMode: 240
; IeeeMode: 1
; LDSByteSize: 0 bytes/workgroup (compile time only)
; SGPRBlocks: 0
; VGPRBlocks: 0
; NumSGPRsForWavesPerEU: 1
; NumVGPRsForWavesPerEU: 1
; NamedBarCnt: 0
; Occupancy: 16
; WaveLimiterHint : 0
; COMPUTE_PGM_RSRC2:SCRATCH_EN: 0
; COMPUTE_PGM_RSRC2:USER_SGPR: 2
; COMPUTE_PGM_RSRC2:TRAP_HANDLER: 0
; COMPUTE_PGM_RSRC2:TGID_X_EN: 1
; COMPUTE_PGM_RSRC2:TGID_Y_EN: 0
; COMPUTE_PGM_RSRC2:TGID_Z_EN: 0
; COMPUTE_PGM_RSRC2:TIDIG_COMP_CNT: 0
	.section	.text._ZN7rocprim17ROCPRIM_400000_NS6detail17trampoline_kernelINS0_14default_configENS1_25partition_config_selectorILNS1_17partition_subalgoE8EiNS0_10empty_typeEbEEZZNS1_14partition_implILS5_8ELb0ES3_jPKiPS6_PKS6_NS0_5tupleIJPiS6_EEENSE_IJSB_SB_EEENS0_18inequality_wrapperIN6hipcub16HIPCUB_304000_NS8EqualityEEEPlJS6_EEE10hipError_tPvRmT3_T4_T5_T6_T7_T9_mT8_P12ihipStream_tbDpT10_ENKUlT_T0_E_clISt17integral_constantIbLb1EES17_EEDaS12_S13_EUlS12_E_NS1_11comp_targetILNS1_3genE5ELNS1_11target_archE942ELNS1_3gpuE9ELNS1_3repE0EEENS1_30default_config_static_selectorELNS0_4arch9wavefront6targetE0EEEvT1_,"axG",@progbits,_ZN7rocprim17ROCPRIM_400000_NS6detail17trampoline_kernelINS0_14default_configENS1_25partition_config_selectorILNS1_17partition_subalgoE8EiNS0_10empty_typeEbEEZZNS1_14partition_implILS5_8ELb0ES3_jPKiPS6_PKS6_NS0_5tupleIJPiS6_EEENSE_IJSB_SB_EEENS0_18inequality_wrapperIN6hipcub16HIPCUB_304000_NS8EqualityEEEPlJS6_EEE10hipError_tPvRmT3_T4_T5_T6_T7_T9_mT8_P12ihipStream_tbDpT10_ENKUlT_T0_E_clISt17integral_constantIbLb1EES17_EEDaS12_S13_EUlS12_E_NS1_11comp_targetILNS1_3genE5ELNS1_11target_archE942ELNS1_3gpuE9ELNS1_3repE0EEENS1_30default_config_static_selectorELNS0_4arch9wavefront6targetE0EEEvT1_,comdat
	.protected	_ZN7rocprim17ROCPRIM_400000_NS6detail17trampoline_kernelINS0_14default_configENS1_25partition_config_selectorILNS1_17partition_subalgoE8EiNS0_10empty_typeEbEEZZNS1_14partition_implILS5_8ELb0ES3_jPKiPS6_PKS6_NS0_5tupleIJPiS6_EEENSE_IJSB_SB_EEENS0_18inequality_wrapperIN6hipcub16HIPCUB_304000_NS8EqualityEEEPlJS6_EEE10hipError_tPvRmT3_T4_T5_T6_T7_T9_mT8_P12ihipStream_tbDpT10_ENKUlT_T0_E_clISt17integral_constantIbLb1EES17_EEDaS12_S13_EUlS12_E_NS1_11comp_targetILNS1_3genE5ELNS1_11target_archE942ELNS1_3gpuE9ELNS1_3repE0EEENS1_30default_config_static_selectorELNS0_4arch9wavefront6targetE0EEEvT1_ ; -- Begin function _ZN7rocprim17ROCPRIM_400000_NS6detail17trampoline_kernelINS0_14default_configENS1_25partition_config_selectorILNS1_17partition_subalgoE8EiNS0_10empty_typeEbEEZZNS1_14partition_implILS5_8ELb0ES3_jPKiPS6_PKS6_NS0_5tupleIJPiS6_EEENSE_IJSB_SB_EEENS0_18inequality_wrapperIN6hipcub16HIPCUB_304000_NS8EqualityEEEPlJS6_EEE10hipError_tPvRmT3_T4_T5_T6_T7_T9_mT8_P12ihipStream_tbDpT10_ENKUlT_T0_E_clISt17integral_constantIbLb1EES17_EEDaS12_S13_EUlS12_E_NS1_11comp_targetILNS1_3genE5ELNS1_11target_archE942ELNS1_3gpuE9ELNS1_3repE0EEENS1_30default_config_static_selectorELNS0_4arch9wavefront6targetE0EEEvT1_
	.globl	_ZN7rocprim17ROCPRIM_400000_NS6detail17trampoline_kernelINS0_14default_configENS1_25partition_config_selectorILNS1_17partition_subalgoE8EiNS0_10empty_typeEbEEZZNS1_14partition_implILS5_8ELb0ES3_jPKiPS6_PKS6_NS0_5tupleIJPiS6_EEENSE_IJSB_SB_EEENS0_18inequality_wrapperIN6hipcub16HIPCUB_304000_NS8EqualityEEEPlJS6_EEE10hipError_tPvRmT3_T4_T5_T6_T7_T9_mT8_P12ihipStream_tbDpT10_ENKUlT_T0_E_clISt17integral_constantIbLb1EES17_EEDaS12_S13_EUlS12_E_NS1_11comp_targetILNS1_3genE5ELNS1_11target_archE942ELNS1_3gpuE9ELNS1_3repE0EEENS1_30default_config_static_selectorELNS0_4arch9wavefront6targetE0EEEvT1_
	.p2align	8
	.type	_ZN7rocprim17ROCPRIM_400000_NS6detail17trampoline_kernelINS0_14default_configENS1_25partition_config_selectorILNS1_17partition_subalgoE8EiNS0_10empty_typeEbEEZZNS1_14partition_implILS5_8ELb0ES3_jPKiPS6_PKS6_NS0_5tupleIJPiS6_EEENSE_IJSB_SB_EEENS0_18inequality_wrapperIN6hipcub16HIPCUB_304000_NS8EqualityEEEPlJS6_EEE10hipError_tPvRmT3_T4_T5_T6_T7_T9_mT8_P12ihipStream_tbDpT10_ENKUlT_T0_E_clISt17integral_constantIbLb1EES17_EEDaS12_S13_EUlS12_E_NS1_11comp_targetILNS1_3genE5ELNS1_11target_archE942ELNS1_3gpuE9ELNS1_3repE0EEENS1_30default_config_static_selectorELNS0_4arch9wavefront6targetE0EEEvT1_,@function
_ZN7rocprim17ROCPRIM_400000_NS6detail17trampoline_kernelINS0_14default_configENS1_25partition_config_selectorILNS1_17partition_subalgoE8EiNS0_10empty_typeEbEEZZNS1_14partition_implILS5_8ELb0ES3_jPKiPS6_PKS6_NS0_5tupleIJPiS6_EEENSE_IJSB_SB_EEENS0_18inequality_wrapperIN6hipcub16HIPCUB_304000_NS8EqualityEEEPlJS6_EEE10hipError_tPvRmT3_T4_T5_T6_T7_T9_mT8_P12ihipStream_tbDpT10_ENKUlT_T0_E_clISt17integral_constantIbLb1EES17_EEDaS12_S13_EUlS12_E_NS1_11comp_targetILNS1_3genE5ELNS1_11target_archE942ELNS1_3gpuE9ELNS1_3repE0EEENS1_30default_config_static_selectorELNS0_4arch9wavefront6targetE0EEEvT1_: ; @_ZN7rocprim17ROCPRIM_400000_NS6detail17trampoline_kernelINS0_14default_configENS1_25partition_config_selectorILNS1_17partition_subalgoE8EiNS0_10empty_typeEbEEZZNS1_14partition_implILS5_8ELb0ES3_jPKiPS6_PKS6_NS0_5tupleIJPiS6_EEENSE_IJSB_SB_EEENS0_18inequality_wrapperIN6hipcub16HIPCUB_304000_NS8EqualityEEEPlJS6_EEE10hipError_tPvRmT3_T4_T5_T6_T7_T9_mT8_P12ihipStream_tbDpT10_ENKUlT_T0_E_clISt17integral_constantIbLb1EES17_EEDaS12_S13_EUlS12_E_NS1_11comp_targetILNS1_3genE5ELNS1_11target_archE942ELNS1_3gpuE9ELNS1_3repE0EEENS1_30default_config_static_selectorELNS0_4arch9wavefront6targetE0EEEvT1_
; %bb.0:
	.section	.rodata,"a",@progbits
	.p2align	6, 0x0
	.amdhsa_kernel _ZN7rocprim17ROCPRIM_400000_NS6detail17trampoline_kernelINS0_14default_configENS1_25partition_config_selectorILNS1_17partition_subalgoE8EiNS0_10empty_typeEbEEZZNS1_14partition_implILS5_8ELb0ES3_jPKiPS6_PKS6_NS0_5tupleIJPiS6_EEENSE_IJSB_SB_EEENS0_18inequality_wrapperIN6hipcub16HIPCUB_304000_NS8EqualityEEEPlJS6_EEE10hipError_tPvRmT3_T4_T5_T6_T7_T9_mT8_P12ihipStream_tbDpT10_ENKUlT_T0_E_clISt17integral_constantIbLb1EES17_EEDaS12_S13_EUlS12_E_NS1_11comp_targetILNS1_3genE5ELNS1_11target_archE942ELNS1_3gpuE9ELNS1_3repE0EEENS1_30default_config_static_selectorELNS0_4arch9wavefront6targetE0EEEvT1_
		.amdhsa_group_segment_fixed_size 0
		.amdhsa_private_segment_fixed_size 0
		.amdhsa_kernarg_size 128
		.amdhsa_user_sgpr_count 2
		.amdhsa_user_sgpr_dispatch_ptr 0
		.amdhsa_user_sgpr_queue_ptr 0
		.amdhsa_user_sgpr_kernarg_segment_ptr 1
		.amdhsa_user_sgpr_dispatch_id 0
		.amdhsa_user_sgpr_kernarg_preload_length 0
		.amdhsa_user_sgpr_kernarg_preload_offset 0
		.amdhsa_user_sgpr_private_segment_size 0
		.amdhsa_wavefront_size32 1
		.amdhsa_uses_dynamic_stack 0
		.amdhsa_enable_private_segment 0
		.amdhsa_system_sgpr_workgroup_id_x 1
		.amdhsa_system_sgpr_workgroup_id_y 0
		.amdhsa_system_sgpr_workgroup_id_z 0
		.amdhsa_system_sgpr_workgroup_info 0
		.amdhsa_system_vgpr_workitem_id 0
		.amdhsa_next_free_vgpr 1
		.amdhsa_next_free_sgpr 1
		.amdhsa_named_barrier_count 0
		.amdhsa_reserve_vcc 0
		.amdhsa_float_round_mode_32 0
		.amdhsa_float_round_mode_16_64 0
		.amdhsa_float_denorm_mode_32 3
		.amdhsa_float_denorm_mode_16_64 3
		.amdhsa_fp16_overflow 0
		.amdhsa_memory_ordered 1
		.amdhsa_forward_progress 1
		.amdhsa_inst_pref_size 0
		.amdhsa_round_robin_scheduling 0
		.amdhsa_exception_fp_ieee_invalid_op 0
		.amdhsa_exception_fp_denorm_src 0
		.amdhsa_exception_fp_ieee_div_zero 0
		.amdhsa_exception_fp_ieee_overflow 0
		.amdhsa_exception_fp_ieee_underflow 0
		.amdhsa_exception_fp_ieee_inexact 0
		.amdhsa_exception_int_div_zero 0
	.end_amdhsa_kernel
	.section	.text._ZN7rocprim17ROCPRIM_400000_NS6detail17trampoline_kernelINS0_14default_configENS1_25partition_config_selectorILNS1_17partition_subalgoE8EiNS0_10empty_typeEbEEZZNS1_14partition_implILS5_8ELb0ES3_jPKiPS6_PKS6_NS0_5tupleIJPiS6_EEENSE_IJSB_SB_EEENS0_18inequality_wrapperIN6hipcub16HIPCUB_304000_NS8EqualityEEEPlJS6_EEE10hipError_tPvRmT3_T4_T5_T6_T7_T9_mT8_P12ihipStream_tbDpT10_ENKUlT_T0_E_clISt17integral_constantIbLb1EES17_EEDaS12_S13_EUlS12_E_NS1_11comp_targetILNS1_3genE5ELNS1_11target_archE942ELNS1_3gpuE9ELNS1_3repE0EEENS1_30default_config_static_selectorELNS0_4arch9wavefront6targetE0EEEvT1_,"axG",@progbits,_ZN7rocprim17ROCPRIM_400000_NS6detail17trampoline_kernelINS0_14default_configENS1_25partition_config_selectorILNS1_17partition_subalgoE8EiNS0_10empty_typeEbEEZZNS1_14partition_implILS5_8ELb0ES3_jPKiPS6_PKS6_NS0_5tupleIJPiS6_EEENSE_IJSB_SB_EEENS0_18inequality_wrapperIN6hipcub16HIPCUB_304000_NS8EqualityEEEPlJS6_EEE10hipError_tPvRmT3_T4_T5_T6_T7_T9_mT8_P12ihipStream_tbDpT10_ENKUlT_T0_E_clISt17integral_constantIbLb1EES17_EEDaS12_S13_EUlS12_E_NS1_11comp_targetILNS1_3genE5ELNS1_11target_archE942ELNS1_3gpuE9ELNS1_3repE0EEENS1_30default_config_static_selectorELNS0_4arch9wavefront6targetE0EEEvT1_,comdat
.Lfunc_end196:
	.size	_ZN7rocprim17ROCPRIM_400000_NS6detail17trampoline_kernelINS0_14default_configENS1_25partition_config_selectorILNS1_17partition_subalgoE8EiNS0_10empty_typeEbEEZZNS1_14partition_implILS5_8ELb0ES3_jPKiPS6_PKS6_NS0_5tupleIJPiS6_EEENSE_IJSB_SB_EEENS0_18inequality_wrapperIN6hipcub16HIPCUB_304000_NS8EqualityEEEPlJS6_EEE10hipError_tPvRmT3_T4_T5_T6_T7_T9_mT8_P12ihipStream_tbDpT10_ENKUlT_T0_E_clISt17integral_constantIbLb1EES17_EEDaS12_S13_EUlS12_E_NS1_11comp_targetILNS1_3genE5ELNS1_11target_archE942ELNS1_3gpuE9ELNS1_3repE0EEENS1_30default_config_static_selectorELNS0_4arch9wavefront6targetE0EEEvT1_, .Lfunc_end196-_ZN7rocprim17ROCPRIM_400000_NS6detail17trampoline_kernelINS0_14default_configENS1_25partition_config_selectorILNS1_17partition_subalgoE8EiNS0_10empty_typeEbEEZZNS1_14partition_implILS5_8ELb0ES3_jPKiPS6_PKS6_NS0_5tupleIJPiS6_EEENSE_IJSB_SB_EEENS0_18inequality_wrapperIN6hipcub16HIPCUB_304000_NS8EqualityEEEPlJS6_EEE10hipError_tPvRmT3_T4_T5_T6_T7_T9_mT8_P12ihipStream_tbDpT10_ENKUlT_T0_E_clISt17integral_constantIbLb1EES17_EEDaS12_S13_EUlS12_E_NS1_11comp_targetILNS1_3genE5ELNS1_11target_archE942ELNS1_3gpuE9ELNS1_3repE0EEENS1_30default_config_static_selectorELNS0_4arch9wavefront6targetE0EEEvT1_
                                        ; -- End function
	.set _ZN7rocprim17ROCPRIM_400000_NS6detail17trampoline_kernelINS0_14default_configENS1_25partition_config_selectorILNS1_17partition_subalgoE8EiNS0_10empty_typeEbEEZZNS1_14partition_implILS5_8ELb0ES3_jPKiPS6_PKS6_NS0_5tupleIJPiS6_EEENSE_IJSB_SB_EEENS0_18inequality_wrapperIN6hipcub16HIPCUB_304000_NS8EqualityEEEPlJS6_EEE10hipError_tPvRmT3_T4_T5_T6_T7_T9_mT8_P12ihipStream_tbDpT10_ENKUlT_T0_E_clISt17integral_constantIbLb1EES17_EEDaS12_S13_EUlS12_E_NS1_11comp_targetILNS1_3genE5ELNS1_11target_archE942ELNS1_3gpuE9ELNS1_3repE0EEENS1_30default_config_static_selectorELNS0_4arch9wavefront6targetE0EEEvT1_.num_vgpr, 0
	.set _ZN7rocprim17ROCPRIM_400000_NS6detail17trampoline_kernelINS0_14default_configENS1_25partition_config_selectorILNS1_17partition_subalgoE8EiNS0_10empty_typeEbEEZZNS1_14partition_implILS5_8ELb0ES3_jPKiPS6_PKS6_NS0_5tupleIJPiS6_EEENSE_IJSB_SB_EEENS0_18inequality_wrapperIN6hipcub16HIPCUB_304000_NS8EqualityEEEPlJS6_EEE10hipError_tPvRmT3_T4_T5_T6_T7_T9_mT8_P12ihipStream_tbDpT10_ENKUlT_T0_E_clISt17integral_constantIbLb1EES17_EEDaS12_S13_EUlS12_E_NS1_11comp_targetILNS1_3genE5ELNS1_11target_archE942ELNS1_3gpuE9ELNS1_3repE0EEENS1_30default_config_static_selectorELNS0_4arch9wavefront6targetE0EEEvT1_.num_agpr, 0
	.set _ZN7rocprim17ROCPRIM_400000_NS6detail17trampoline_kernelINS0_14default_configENS1_25partition_config_selectorILNS1_17partition_subalgoE8EiNS0_10empty_typeEbEEZZNS1_14partition_implILS5_8ELb0ES3_jPKiPS6_PKS6_NS0_5tupleIJPiS6_EEENSE_IJSB_SB_EEENS0_18inequality_wrapperIN6hipcub16HIPCUB_304000_NS8EqualityEEEPlJS6_EEE10hipError_tPvRmT3_T4_T5_T6_T7_T9_mT8_P12ihipStream_tbDpT10_ENKUlT_T0_E_clISt17integral_constantIbLb1EES17_EEDaS12_S13_EUlS12_E_NS1_11comp_targetILNS1_3genE5ELNS1_11target_archE942ELNS1_3gpuE9ELNS1_3repE0EEENS1_30default_config_static_selectorELNS0_4arch9wavefront6targetE0EEEvT1_.numbered_sgpr, 0
	.set _ZN7rocprim17ROCPRIM_400000_NS6detail17trampoline_kernelINS0_14default_configENS1_25partition_config_selectorILNS1_17partition_subalgoE8EiNS0_10empty_typeEbEEZZNS1_14partition_implILS5_8ELb0ES3_jPKiPS6_PKS6_NS0_5tupleIJPiS6_EEENSE_IJSB_SB_EEENS0_18inequality_wrapperIN6hipcub16HIPCUB_304000_NS8EqualityEEEPlJS6_EEE10hipError_tPvRmT3_T4_T5_T6_T7_T9_mT8_P12ihipStream_tbDpT10_ENKUlT_T0_E_clISt17integral_constantIbLb1EES17_EEDaS12_S13_EUlS12_E_NS1_11comp_targetILNS1_3genE5ELNS1_11target_archE942ELNS1_3gpuE9ELNS1_3repE0EEENS1_30default_config_static_selectorELNS0_4arch9wavefront6targetE0EEEvT1_.num_named_barrier, 0
	.set _ZN7rocprim17ROCPRIM_400000_NS6detail17trampoline_kernelINS0_14default_configENS1_25partition_config_selectorILNS1_17partition_subalgoE8EiNS0_10empty_typeEbEEZZNS1_14partition_implILS5_8ELb0ES3_jPKiPS6_PKS6_NS0_5tupleIJPiS6_EEENSE_IJSB_SB_EEENS0_18inequality_wrapperIN6hipcub16HIPCUB_304000_NS8EqualityEEEPlJS6_EEE10hipError_tPvRmT3_T4_T5_T6_T7_T9_mT8_P12ihipStream_tbDpT10_ENKUlT_T0_E_clISt17integral_constantIbLb1EES17_EEDaS12_S13_EUlS12_E_NS1_11comp_targetILNS1_3genE5ELNS1_11target_archE942ELNS1_3gpuE9ELNS1_3repE0EEENS1_30default_config_static_selectorELNS0_4arch9wavefront6targetE0EEEvT1_.private_seg_size, 0
	.set _ZN7rocprim17ROCPRIM_400000_NS6detail17trampoline_kernelINS0_14default_configENS1_25partition_config_selectorILNS1_17partition_subalgoE8EiNS0_10empty_typeEbEEZZNS1_14partition_implILS5_8ELb0ES3_jPKiPS6_PKS6_NS0_5tupleIJPiS6_EEENSE_IJSB_SB_EEENS0_18inequality_wrapperIN6hipcub16HIPCUB_304000_NS8EqualityEEEPlJS6_EEE10hipError_tPvRmT3_T4_T5_T6_T7_T9_mT8_P12ihipStream_tbDpT10_ENKUlT_T0_E_clISt17integral_constantIbLb1EES17_EEDaS12_S13_EUlS12_E_NS1_11comp_targetILNS1_3genE5ELNS1_11target_archE942ELNS1_3gpuE9ELNS1_3repE0EEENS1_30default_config_static_selectorELNS0_4arch9wavefront6targetE0EEEvT1_.uses_vcc, 0
	.set _ZN7rocprim17ROCPRIM_400000_NS6detail17trampoline_kernelINS0_14default_configENS1_25partition_config_selectorILNS1_17partition_subalgoE8EiNS0_10empty_typeEbEEZZNS1_14partition_implILS5_8ELb0ES3_jPKiPS6_PKS6_NS0_5tupleIJPiS6_EEENSE_IJSB_SB_EEENS0_18inequality_wrapperIN6hipcub16HIPCUB_304000_NS8EqualityEEEPlJS6_EEE10hipError_tPvRmT3_T4_T5_T6_T7_T9_mT8_P12ihipStream_tbDpT10_ENKUlT_T0_E_clISt17integral_constantIbLb1EES17_EEDaS12_S13_EUlS12_E_NS1_11comp_targetILNS1_3genE5ELNS1_11target_archE942ELNS1_3gpuE9ELNS1_3repE0EEENS1_30default_config_static_selectorELNS0_4arch9wavefront6targetE0EEEvT1_.uses_flat_scratch, 0
	.set _ZN7rocprim17ROCPRIM_400000_NS6detail17trampoline_kernelINS0_14default_configENS1_25partition_config_selectorILNS1_17partition_subalgoE8EiNS0_10empty_typeEbEEZZNS1_14partition_implILS5_8ELb0ES3_jPKiPS6_PKS6_NS0_5tupleIJPiS6_EEENSE_IJSB_SB_EEENS0_18inequality_wrapperIN6hipcub16HIPCUB_304000_NS8EqualityEEEPlJS6_EEE10hipError_tPvRmT3_T4_T5_T6_T7_T9_mT8_P12ihipStream_tbDpT10_ENKUlT_T0_E_clISt17integral_constantIbLb1EES17_EEDaS12_S13_EUlS12_E_NS1_11comp_targetILNS1_3genE5ELNS1_11target_archE942ELNS1_3gpuE9ELNS1_3repE0EEENS1_30default_config_static_selectorELNS0_4arch9wavefront6targetE0EEEvT1_.has_dyn_sized_stack, 0
	.set _ZN7rocprim17ROCPRIM_400000_NS6detail17trampoline_kernelINS0_14default_configENS1_25partition_config_selectorILNS1_17partition_subalgoE8EiNS0_10empty_typeEbEEZZNS1_14partition_implILS5_8ELb0ES3_jPKiPS6_PKS6_NS0_5tupleIJPiS6_EEENSE_IJSB_SB_EEENS0_18inequality_wrapperIN6hipcub16HIPCUB_304000_NS8EqualityEEEPlJS6_EEE10hipError_tPvRmT3_T4_T5_T6_T7_T9_mT8_P12ihipStream_tbDpT10_ENKUlT_T0_E_clISt17integral_constantIbLb1EES17_EEDaS12_S13_EUlS12_E_NS1_11comp_targetILNS1_3genE5ELNS1_11target_archE942ELNS1_3gpuE9ELNS1_3repE0EEENS1_30default_config_static_selectorELNS0_4arch9wavefront6targetE0EEEvT1_.has_recursion, 0
	.set _ZN7rocprim17ROCPRIM_400000_NS6detail17trampoline_kernelINS0_14default_configENS1_25partition_config_selectorILNS1_17partition_subalgoE8EiNS0_10empty_typeEbEEZZNS1_14partition_implILS5_8ELb0ES3_jPKiPS6_PKS6_NS0_5tupleIJPiS6_EEENSE_IJSB_SB_EEENS0_18inequality_wrapperIN6hipcub16HIPCUB_304000_NS8EqualityEEEPlJS6_EEE10hipError_tPvRmT3_T4_T5_T6_T7_T9_mT8_P12ihipStream_tbDpT10_ENKUlT_T0_E_clISt17integral_constantIbLb1EES17_EEDaS12_S13_EUlS12_E_NS1_11comp_targetILNS1_3genE5ELNS1_11target_archE942ELNS1_3gpuE9ELNS1_3repE0EEENS1_30default_config_static_selectorELNS0_4arch9wavefront6targetE0EEEvT1_.has_indirect_call, 0
	.section	.AMDGPU.csdata,"",@progbits
; Kernel info:
; codeLenInByte = 0
; TotalNumSgprs: 0
; NumVgprs: 0
; ScratchSize: 0
; MemoryBound: 0
; FloatMode: 240
; IeeeMode: 1
; LDSByteSize: 0 bytes/workgroup (compile time only)
; SGPRBlocks: 0
; VGPRBlocks: 0
; NumSGPRsForWavesPerEU: 1
; NumVGPRsForWavesPerEU: 1
; NamedBarCnt: 0
; Occupancy: 16
; WaveLimiterHint : 0
; COMPUTE_PGM_RSRC2:SCRATCH_EN: 0
; COMPUTE_PGM_RSRC2:USER_SGPR: 2
; COMPUTE_PGM_RSRC2:TRAP_HANDLER: 0
; COMPUTE_PGM_RSRC2:TGID_X_EN: 1
; COMPUTE_PGM_RSRC2:TGID_Y_EN: 0
; COMPUTE_PGM_RSRC2:TGID_Z_EN: 0
; COMPUTE_PGM_RSRC2:TIDIG_COMP_CNT: 0
	.section	.text._ZN7rocprim17ROCPRIM_400000_NS6detail17trampoline_kernelINS0_14default_configENS1_25partition_config_selectorILNS1_17partition_subalgoE8EiNS0_10empty_typeEbEEZZNS1_14partition_implILS5_8ELb0ES3_jPKiPS6_PKS6_NS0_5tupleIJPiS6_EEENSE_IJSB_SB_EEENS0_18inequality_wrapperIN6hipcub16HIPCUB_304000_NS8EqualityEEEPlJS6_EEE10hipError_tPvRmT3_T4_T5_T6_T7_T9_mT8_P12ihipStream_tbDpT10_ENKUlT_T0_E_clISt17integral_constantIbLb1EES17_EEDaS12_S13_EUlS12_E_NS1_11comp_targetILNS1_3genE4ELNS1_11target_archE910ELNS1_3gpuE8ELNS1_3repE0EEENS1_30default_config_static_selectorELNS0_4arch9wavefront6targetE0EEEvT1_,"axG",@progbits,_ZN7rocprim17ROCPRIM_400000_NS6detail17trampoline_kernelINS0_14default_configENS1_25partition_config_selectorILNS1_17partition_subalgoE8EiNS0_10empty_typeEbEEZZNS1_14partition_implILS5_8ELb0ES3_jPKiPS6_PKS6_NS0_5tupleIJPiS6_EEENSE_IJSB_SB_EEENS0_18inequality_wrapperIN6hipcub16HIPCUB_304000_NS8EqualityEEEPlJS6_EEE10hipError_tPvRmT3_T4_T5_T6_T7_T9_mT8_P12ihipStream_tbDpT10_ENKUlT_T0_E_clISt17integral_constantIbLb1EES17_EEDaS12_S13_EUlS12_E_NS1_11comp_targetILNS1_3genE4ELNS1_11target_archE910ELNS1_3gpuE8ELNS1_3repE0EEENS1_30default_config_static_selectorELNS0_4arch9wavefront6targetE0EEEvT1_,comdat
	.protected	_ZN7rocprim17ROCPRIM_400000_NS6detail17trampoline_kernelINS0_14default_configENS1_25partition_config_selectorILNS1_17partition_subalgoE8EiNS0_10empty_typeEbEEZZNS1_14partition_implILS5_8ELb0ES3_jPKiPS6_PKS6_NS0_5tupleIJPiS6_EEENSE_IJSB_SB_EEENS0_18inequality_wrapperIN6hipcub16HIPCUB_304000_NS8EqualityEEEPlJS6_EEE10hipError_tPvRmT3_T4_T5_T6_T7_T9_mT8_P12ihipStream_tbDpT10_ENKUlT_T0_E_clISt17integral_constantIbLb1EES17_EEDaS12_S13_EUlS12_E_NS1_11comp_targetILNS1_3genE4ELNS1_11target_archE910ELNS1_3gpuE8ELNS1_3repE0EEENS1_30default_config_static_selectorELNS0_4arch9wavefront6targetE0EEEvT1_ ; -- Begin function _ZN7rocprim17ROCPRIM_400000_NS6detail17trampoline_kernelINS0_14default_configENS1_25partition_config_selectorILNS1_17partition_subalgoE8EiNS0_10empty_typeEbEEZZNS1_14partition_implILS5_8ELb0ES3_jPKiPS6_PKS6_NS0_5tupleIJPiS6_EEENSE_IJSB_SB_EEENS0_18inequality_wrapperIN6hipcub16HIPCUB_304000_NS8EqualityEEEPlJS6_EEE10hipError_tPvRmT3_T4_T5_T6_T7_T9_mT8_P12ihipStream_tbDpT10_ENKUlT_T0_E_clISt17integral_constantIbLb1EES17_EEDaS12_S13_EUlS12_E_NS1_11comp_targetILNS1_3genE4ELNS1_11target_archE910ELNS1_3gpuE8ELNS1_3repE0EEENS1_30default_config_static_selectorELNS0_4arch9wavefront6targetE0EEEvT1_
	.globl	_ZN7rocprim17ROCPRIM_400000_NS6detail17trampoline_kernelINS0_14default_configENS1_25partition_config_selectorILNS1_17partition_subalgoE8EiNS0_10empty_typeEbEEZZNS1_14partition_implILS5_8ELb0ES3_jPKiPS6_PKS6_NS0_5tupleIJPiS6_EEENSE_IJSB_SB_EEENS0_18inequality_wrapperIN6hipcub16HIPCUB_304000_NS8EqualityEEEPlJS6_EEE10hipError_tPvRmT3_T4_T5_T6_T7_T9_mT8_P12ihipStream_tbDpT10_ENKUlT_T0_E_clISt17integral_constantIbLb1EES17_EEDaS12_S13_EUlS12_E_NS1_11comp_targetILNS1_3genE4ELNS1_11target_archE910ELNS1_3gpuE8ELNS1_3repE0EEENS1_30default_config_static_selectorELNS0_4arch9wavefront6targetE0EEEvT1_
	.p2align	8
	.type	_ZN7rocprim17ROCPRIM_400000_NS6detail17trampoline_kernelINS0_14default_configENS1_25partition_config_selectorILNS1_17partition_subalgoE8EiNS0_10empty_typeEbEEZZNS1_14partition_implILS5_8ELb0ES3_jPKiPS6_PKS6_NS0_5tupleIJPiS6_EEENSE_IJSB_SB_EEENS0_18inequality_wrapperIN6hipcub16HIPCUB_304000_NS8EqualityEEEPlJS6_EEE10hipError_tPvRmT3_T4_T5_T6_T7_T9_mT8_P12ihipStream_tbDpT10_ENKUlT_T0_E_clISt17integral_constantIbLb1EES17_EEDaS12_S13_EUlS12_E_NS1_11comp_targetILNS1_3genE4ELNS1_11target_archE910ELNS1_3gpuE8ELNS1_3repE0EEENS1_30default_config_static_selectorELNS0_4arch9wavefront6targetE0EEEvT1_,@function
_ZN7rocprim17ROCPRIM_400000_NS6detail17trampoline_kernelINS0_14default_configENS1_25partition_config_selectorILNS1_17partition_subalgoE8EiNS0_10empty_typeEbEEZZNS1_14partition_implILS5_8ELb0ES3_jPKiPS6_PKS6_NS0_5tupleIJPiS6_EEENSE_IJSB_SB_EEENS0_18inequality_wrapperIN6hipcub16HIPCUB_304000_NS8EqualityEEEPlJS6_EEE10hipError_tPvRmT3_T4_T5_T6_T7_T9_mT8_P12ihipStream_tbDpT10_ENKUlT_T0_E_clISt17integral_constantIbLb1EES17_EEDaS12_S13_EUlS12_E_NS1_11comp_targetILNS1_3genE4ELNS1_11target_archE910ELNS1_3gpuE8ELNS1_3repE0EEENS1_30default_config_static_selectorELNS0_4arch9wavefront6targetE0EEEvT1_: ; @_ZN7rocprim17ROCPRIM_400000_NS6detail17trampoline_kernelINS0_14default_configENS1_25partition_config_selectorILNS1_17partition_subalgoE8EiNS0_10empty_typeEbEEZZNS1_14partition_implILS5_8ELb0ES3_jPKiPS6_PKS6_NS0_5tupleIJPiS6_EEENSE_IJSB_SB_EEENS0_18inequality_wrapperIN6hipcub16HIPCUB_304000_NS8EqualityEEEPlJS6_EEE10hipError_tPvRmT3_T4_T5_T6_T7_T9_mT8_P12ihipStream_tbDpT10_ENKUlT_T0_E_clISt17integral_constantIbLb1EES17_EEDaS12_S13_EUlS12_E_NS1_11comp_targetILNS1_3genE4ELNS1_11target_archE910ELNS1_3gpuE8ELNS1_3repE0EEENS1_30default_config_static_selectorELNS0_4arch9wavefront6targetE0EEEvT1_
; %bb.0:
	.section	.rodata,"a",@progbits
	.p2align	6, 0x0
	.amdhsa_kernel _ZN7rocprim17ROCPRIM_400000_NS6detail17trampoline_kernelINS0_14default_configENS1_25partition_config_selectorILNS1_17partition_subalgoE8EiNS0_10empty_typeEbEEZZNS1_14partition_implILS5_8ELb0ES3_jPKiPS6_PKS6_NS0_5tupleIJPiS6_EEENSE_IJSB_SB_EEENS0_18inequality_wrapperIN6hipcub16HIPCUB_304000_NS8EqualityEEEPlJS6_EEE10hipError_tPvRmT3_T4_T5_T6_T7_T9_mT8_P12ihipStream_tbDpT10_ENKUlT_T0_E_clISt17integral_constantIbLb1EES17_EEDaS12_S13_EUlS12_E_NS1_11comp_targetILNS1_3genE4ELNS1_11target_archE910ELNS1_3gpuE8ELNS1_3repE0EEENS1_30default_config_static_selectorELNS0_4arch9wavefront6targetE0EEEvT1_
		.amdhsa_group_segment_fixed_size 0
		.amdhsa_private_segment_fixed_size 0
		.amdhsa_kernarg_size 128
		.amdhsa_user_sgpr_count 2
		.amdhsa_user_sgpr_dispatch_ptr 0
		.amdhsa_user_sgpr_queue_ptr 0
		.amdhsa_user_sgpr_kernarg_segment_ptr 1
		.amdhsa_user_sgpr_dispatch_id 0
		.amdhsa_user_sgpr_kernarg_preload_length 0
		.amdhsa_user_sgpr_kernarg_preload_offset 0
		.amdhsa_user_sgpr_private_segment_size 0
		.amdhsa_wavefront_size32 1
		.amdhsa_uses_dynamic_stack 0
		.amdhsa_enable_private_segment 0
		.amdhsa_system_sgpr_workgroup_id_x 1
		.amdhsa_system_sgpr_workgroup_id_y 0
		.amdhsa_system_sgpr_workgroup_id_z 0
		.amdhsa_system_sgpr_workgroup_info 0
		.amdhsa_system_vgpr_workitem_id 0
		.amdhsa_next_free_vgpr 1
		.amdhsa_next_free_sgpr 1
		.amdhsa_named_barrier_count 0
		.amdhsa_reserve_vcc 0
		.amdhsa_float_round_mode_32 0
		.amdhsa_float_round_mode_16_64 0
		.amdhsa_float_denorm_mode_32 3
		.amdhsa_float_denorm_mode_16_64 3
		.amdhsa_fp16_overflow 0
		.amdhsa_memory_ordered 1
		.amdhsa_forward_progress 1
		.amdhsa_inst_pref_size 0
		.amdhsa_round_robin_scheduling 0
		.amdhsa_exception_fp_ieee_invalid_op 0
		.amdhsa_exception_fp_denorm_src 0
		.amdhsa_exception_fp_ieee_div_zero 0
		.amdhsa_exception_fp_ieee_overflow 0
		.amdhsa_exception_fp_ieee_underflow 0
		.amdhsa_exception_fp_ieee_inexact 0
		.amdhsa_exception_int_div_zero 0
	.end_amdhsa_kernel
	.section	.text._ZN7rocprim17ROCPRIM_400000_NS6detail17trampoline_kernelINS0_14default_configENS1_25partition_config_selectorILNS1_17partition_subalgoE8EiNS0_10empty_typeEbEEZZNS1_14partition_implILS5_8ELb0ES3_jPKiPS6_PKS6_NS0_5tupleIJPiS6_EEENSE_IJSB_SB_EEENS0_18inequality_wrapperIN6hipcub16HIPCUB_304000_NS8EqualityEEEPlJS6_EEE10hipError_tPvRmT3_T4_T5_T6_T7_T9_mT8_P12ihipStream_tbDpT10_ENKUlT_T0_E_clISt17integral_constantIbLb1EES17_EEDaS12_S13_EUlS12_E_NS1_11comp_targetILNS1_3genE4ELNS1_11target_archE910ELNS1_3gpuE8ELNS1_3repE0EEENS1_30default_config_static_selectorELNS0_4arch9wavefront6targetE0EEEvT1_,"axG",@progbits,_ZN7rocprim17ROCPRIM_400000_NS6detail17trampoline_kernelINS0_14default_configENS1_25partition_config_selectorILNS1_17partition_subalgoE8EiNS0_10empty_typeEbEEZZNS1_14partition_implILS5_8ELb0ES3_jPKiPS6_PKS6_NS0_5tupleIJPiS6_EEENSE_IJSB_SB_EEENS0_18inequality_wrapperIN6hipcub16HIPCUB_304000_NS8EqualityEEEPlJS6_EEE10hipError_tPvRmT3_T4_T5_T6_T7_T9_mT8_P12ihipStream_tbDpT10_ENKUlT_T0_E_clISt17integral_constantIbLb1EES17_EEDaS12_S13_EUlS12_E_NS1_11comp_targetILNS1_3genE4ELNS1_11target_archE910ELNS1_3gpuE8ELNS1_3repE0EEENS1_30default_config_static_selectorELNS0_4arch9wavefront6targetE0EEEvT1_,comdat
.Lfunc_end197:
	.size	_ZN7rocprim17ROCPRIM_400000_NS6detail17trampoline_kernelINS0_14default_configENS1_25partition_config_selectorILNS1_17partition_subalgoE8EiNS0_10empty_typeEbEEZZNS1_14partition_implILS5_8ELb0ES3_jPKiPS6_PKS6_NS0_5tupleIJPiS6_EEENSE_IJSB_SB_EEENS0_18inequality_wrapperIN6hipcub16HIPCUB_304000_NS8EqualityEEEPlJS6_EEE10hipError_tPvRmT3_T4_T5_T6_T7_T9_mT8_P12ihipStream_tbDpT10_ENKUlT_T0_E_clISt17integral_constantIbLb1EES17_EEDaS12_S13_EUlS12_E_NS1_11comp_targetILNS1_3genE4ELNS1_11target_archE910ELNS1_3gpuE8ELNS1_3repE0EEENS1_30default_config_static_selectorELNS0_4arch9wavefront6targetE0EEEvT1_, .Lfunc_end197-_ZN7rocprim17ROCPRIM_400000_NS6detail17trampoline_kernelINS0_14default_configENS1_25partition_config_selectorILNS1_17partition_subalgoE8EiNS0_10empty_typeEbEEZZNS1_14partition_implILS5_8ELb0ES3_jPKiPS6_PKS6_NS0_5tupleIJPiS6_EEENSE_IJSB_SB_EEENS0_18inequality_wrapperIN6hipcub16HIPCUB_304000_NS8EqualityEEEPlJS6_EEE10hipError_tPvRmT3_T4_T5_T6_T7_T9_mT8_P12ihipStream_tbDpT10_ENKUlT_T0_E_clISt17integral_constantIbLb1EES17_EEDaS12_S13_EUlS12_E_NS1_11comp_targetILNS1_3genE4ELNS1_11target_archE910ELNS1_3gpuE8ELNS1_3repE0EEENS1_30default_config_static_selectorELNS0_4arch9wavefront6targetE0EEEvT1_
                                        ; -- End function
	.set _ZN7rocprim17ROCPRIM_400000_NS6detail17trampoline_kernelINS0_14default_configENS1_25partition_config_selectorILNS1_17partition_subalgoE8EiNS0_10empty_typeEbEEZZNS1_14partition_implILS5_8ELb0ES3_jPKiPS6_PKS6_NS0_5tupleIJPiS6_EEENSE_IJSB_SB_EEENS0_18inequality_wrapperIN6hipcub16HIPCUB_304000_NS8EqualityEEEPlJS6_EEE10hipError_tPvRmT3_T4_T5_T6_T7_T9_mT8_P12ihipStream_tbDpT10_ENKUlT_T0_E_clISt17integral_constantIbLb1EES17_EEDaS12_S13_EUlS12_E_NS1_11comp_targetILNS1_3genE4ELNS1_11target_archE910ELNS1_3gpuE8ELNS1_3repE0EEENS1_30default_config_static_selectorELNS0_4arch9wavefront6targetE0EEEvT1_.num_vgpr, 0
	.set _ZN7rocprim17ROCPRIM_400000_NS6detail17trampoline_kernelINS0_14default_configENS1_25partition_config_selectorILNS1_17partition_subalgoE8EiNS0_10empty_typeEbEEZZNS1_14partition_implILS5_8ELb0ES3_jPKiPS6_PKS6_NS0_5tupleIJPiS6_EEENSE_IJSB_SB_EEENS0_18inequality_wrapperIN6hipcub16HIPCUB_304000_NS8EqualityEEEPlJS6_EEE10hipError_tPvRmT3_T4_T5_T6_T7_T9_mT8_P12ihipStream_tbDpT10_ENKUlT_T0_E_clISt17integral_constantIbLb1EES17_EEDaS12_S13_EUlS12_E_NS1_11comp_targetILNS1_3genE4ELNS1_11target_archE910ELNS1_3gpuE8ELNS1_3repE0EEENS1_30default_config_static_selectorELNS0_4arch9wavefront6targetE0EEEvT1_.num_agpr, 0
	.set _ZN7rocprim17ROCPRIM_400000_NS6detail17trampoline_kernelINS0_14default_configENS1_25partition_config_selectorILNS1_17partition_subalgoE8EiNS0_10empty_typeEbEEZZNS1_14partition_implILS5_8ELb0ES3_jPKiPS6_PKS6_NS0_5tupleIJPiS6_EEENSE_IJSB_SB_EEENS0_18inequality_wrapperIN6hipcub16HIPCUB_304000_NS8EqualityEEEPlJS6_EEE10hipError_tPvRmT3_T4_T5_T6_T7_T9_mT8_P12ihipStream_tbDpT10_ENKUlT_T0_E_clISt17integral_constantIbLb1EES17_EEDaS12_S13_EUlS12_E_NS1_11comp_targetILNS1_3genE4ELNS1_11target_archE910ELNS1_3gpuE8ELNS1_3repE0EEENS1_30default_config_static_selectorELNS0_4arch9wavefront6targetE0EEEvT1_.numbered_sgpr, 0
	.set _ZN7rocprim17ROCPRIM_400000_NS6detail17trampoline_kernelINS0_14default_configENS1_25partition_config_selectorILNS1_17partition_subalgoE8EiNS0_10empty_typeEbEEZZNS1_14partition_implILS5_8ELb0ES3_jPKiPS6_PKS6_NS0_5tupleIJPiS6_EEENSE_IJSB_SB_EEENS0_18inequality_wrapperIN6hipcub16HIPCUB_304000_NS8EqualityEEEPlJS6_EEE10hipError_tPvRmT3_T4_T5_T6_T7_T9_mT8_P12ihipStream_tbDpT10_ENKUlT_T0_E_clISt17integral_constantIbLb1EES17_EEDaS12_S13_EUlS12_E_NS1_11comp_targetILNS1_3genE4ELNS1_11target_archE910ELNS1_3gpuE8ELNS1_3repE0EEENS1_30default_config_static_selectorELNS0_4arch9wavefront6targetE0EEEvT1_.num_named_barrier, 0
	.set _ZN7rocprim17ROCPRIM_400000_NS6detail17trampoline_kernelINS0_14default_configENS1_25partition_config_selectorILNS1_17partition_subalgoE8EiNS0_10empty_typeEbEEZZNS1_14partition_implILS5_8ELb0ES3_jPKiPS6_PKS6_NS0_5tupleIJPiS6_EEENSE_IJSB_SB_EEENS0_18inequality_wrapperIN6hipcub16HIPCUB_304000_NS8EqualityEEEPlJS6_EEE10hipError_tPvRmT3_T4_T5_T6_T7_T9_mT8_P12ihipStream_tbDpT10_ENKUlT_T0_E_clISt17integral_constantIbLb1EES17_EEDaS12_S13_EUlS12_E_NS1_11comp_targetILNS1_3genE4ELNS1_11target_archE910ELNS1_3gpuE8ELNS1_3repE0EEENS1_30default_config_static_selectorELNS0_4arch9wavefront6targetE0EEEvT1_.private_seg_size, 0
	.set _ZN7rocprim17ROCPRIM_400000_NS6detail17trampoline_kernelINS0_14default_configENS1_25partition_config_selectorILNS1_17partition_subalgoE8EiNS0_10empty_typeEbEEZZNS1_14partition_implILS5_8ELb0ES3_jPKiPS6_PKS6_NS0_5tupleIJPiS6_EEENSE_IJSB_SB_EEENS0_18inequality_wrapperIN6hipcub16HIPCUB_304000_NS8EqualityEEEPlJS6_EEE10hipError_tPvRmT3_T4_T5_T6_T7_T9_mT8_P12ihipStream_tbDpT10_ENKUlT_T0_E_clISt17integral_constantIbLb1EES17_EEDaS12_S13_EUlS12_E_NS1_11comp_targetILNS1_3genE4ELNS1_11target_archE910ELNS1_3gpuE8ELNS1_3repE0EEENS1_30default_config_static_selectorELNS0_4arch9wavefront6targetE0EEEvT1_.uses_vcc, 0
	.set _ZN7rocprim17ROCPRIM_400000_NS6detail17trampoline_kernelINS0_14default_configENS1_25partition_config_selectorILNS1_17partition_subalgoE8EiNS0_10empty_typeEbEEZZNS1_14partition_implILS5_8ELb0ES3_jPKiPS6_PKS6_NS0_5tupleIJPiS6_EEENSE_IJSB_SB_EEENS0_18inequality_wrapperIN6hipcub16HIPCUB_304000_NS8EqualityEEEPlJS6_EEE10hipError_tPvRmT3_T4_T5_T6_T7_T9_mT8_P12ihipStream_tbDpT10_ENKUlT_T0_E_clISt17integral_constantIbLb1EES17_EEDaS12_S13_EUlS12_E_NS1_11comp_targetILNS1_3genE4ELNS1_11target_archE910ELNS1_3gpuE8ELNS1_3repE0EEENS1_30default_config_static_selectorELNS0_4arch9wavefront6targetE0EEEvT1_.uses_flat_scratch, 0
	.set _ZN7rocprim17ROCPRIM_400000_NS6detail17trampoline_kernelINS0_14default_configENS1_25partition_config_selectorILNS1_17partition_subalgoE8EiNS0_10empty_typeEbEEZZNS1_14partition_implILS5_8ELb0ES3_jPKiPS6_PKS6_NS0_5tupleIJPiS6_EEENSE_IJSB_SB_EEENS0_18inequality_wrapperIN6hipcub16HIPCUB_304000_NS8EqualityEEEPlJS6_EEE10hipError_tPvRmT3_T4_T5_T6_T7_T9_mT8_P12ihipStream_tbDpT10_ENKUlT_T0_E_clISt17integral_constantIbLb1EES17_EEDaS12_S13_EUlS12_E_NS1_11comp_targetILNS1_3genE4ELNS1_11target_archE910ELNS1_3gpuE8ELNS1_3repE0EEENS1_30default_config_static_selectorELNS0_4arch9wavefront6targetE0EEEvT1_.has_dyn_sized_stack, 0
	.set _ZN7rocprim17ROCPRIM_400000_NS6detail17trampoline_kernelINS0_14default_configENS1_25partition_config_selectorILNS1_17partition_subalgoE8EiNS0_10empty_typeEbEEZZNS1_14partition_implILS5_8ELb0ES3_jPKiPS6_PKS6_NS0_5tupleIJPiS6_EEENSE_IJSB_SB_EEENS0_18inequality_wrapperIN6hipcub16HIPCUB_304000_NS8EqualityEEEPlJS6_EEE10hipError_tPvRmT3_T4_T5_T6_T7_T9_mT8_P12ihipStream_tbDpT10_ENKUlT_T0_E_clISt17integral_constantIbLb1EES17_EEDaS12_S13_EUlS12_E_NS1_11comp_targetILNS1_3genE4ELNS1_11target_archE910ELNS1_3gpuE8ELNS1_3repE0EEENS1_30default_config_static_selectorELNS0_4arch9wavefront6targetE0EEEvT1_.has_recursion, 0
	.set _ZN7rocprim17ROCPRIM_400000_NS6detail17trampoline_kernelINS0_14default_configENS1_25partition_config_selectorILNS1_17partition_subalgoE8EiNS0_10empty_typeEbEEZZNS1_14partition_implILS5_8ELb0ES3_jPKiPS6_PKS6_NS0_5tupleIJPiS6_EEENSE_IJSB_SB_EEENS0_18inequality_wrapperIN6hipcub16HIPCUB_304000_NS8EqualityEEEPlJS6_EEE10hipError_tPvRmT3_T4_T5_T6_T7_T9_mT8_P12ihipStream_tbDpT10_ENKUlT_T0_E_clISt17integral_constantIbLb1EES17_EEDaS12_S13_EUlS12_E_NS1_11comp_targetILNS1_3genE4ELNS1_11target_archE910ELNS1_3gpuE8ELNS1_3repE0EEENS1_30default_config_static_selectorELNS0_4arch9wavefront6targetE0EEEvT1_.has_indirect_call, 0
	.section	.AMDGPU.csdata,"",@progbits
; Kernel info:
; codeLenInByte = 0
; TotalNumSgprs: 0
; NumVgprs: 0
; ScratchSize: 0
; MemoryBound: 0
; FloatMode: 240
; IeeeMode: 1
; LDSByteSize: 0 bytes/workgroup (compile time only)
; SGPRBlocks: 0
; VGPRBlocks: 0
; NumSGPRsForWavesPerEU: 1
; NumVGPRsForWavesPerEU: 1
; NamedBarCnt: 0
; Occupancy: 16
; WaveLimiterHint : 0
; COMPUTE_PGM_RSRC2:SCRATCH_EN: 0
; COMPUTE_PGM_RSRC2:USER_SGPR: 2
; COMPUTE_PGM_RSRC2:TRAP_HANDLER: 0
; COMPUTE_PGM_RSRC2:TGID_X_EN: 1
; COMPUTE_PGM_RSRC2:TGID_Y_EN: 0
; COMPUTE_PGM_RSRC2:TGID_Z_EN: 0
; COMPUTE_PGM_RSRC2:TIDIG_COMP_CNT: 0
	.section	.text._ZN7rocprim17ROCPRIM_400000_NS6detail17trampoline_kernelINS0_14default_configENS1_25partition_config_selectorILNS1_17partition_subalgoE8EiNS0_10empty_typeEbEEZZNS1_14partition_implILS5_8ELb0ES3_jPKiPS6_PKS6_NS0_5tupleIJPiS6_EEENSE_IJSB_SB_EEENS0_18inequality_wrapperIN6hipcub16HIPCUB_304000_NS8EqualityEEEPlJS6_EEE10hipError_tPvRmT3_T4_T5_T6_T7_T9_mT8_P12ihipStream_tbDpT10_ENKUlT_T0_E_clISt17integral_constantIbLb1EES17_EEDaS12_S13_EUlS12_E_NS1_11comp_targetILNS1_3genE3ELNS1_11target_archE908ELNS1_3gpuE7ELNS1_3repE0EEENS1_30default_config_static_selectorELNS0_4arch9wavefront6targetE0EEEvT1_,"axG",@progbits,_ZN7rocprim17ROCPRIM_400000_NS6detail17trampoline_kernelINS0_14default_configENS1_25partition_config_selectorILNS1_17partition_subalgoE8EiNS0_10empty_typeEbEEZZNS1_14partition_implILS5_8ELb0ES3_jPKiPS6_PKS6_NS0_5tupleIJPiS6_EEENSE_IJSB_SB_EEENS0_18inequality_wrapperIN6hipcub16HIPCUB_304000_NS8EqualityEEEPlJS6_EEE10hipError_tPvRmT3_T4_T5_T6_T7_T9_mT8_P12ihipStream_tbDpT10_ENKUlT_T0_E_clISt17integral_constantIbLb1EES17_EEDaS12_S13_EUlS12_E_NS1_11comp_targetILNS1_3genE3ELNS1_11target_archE908ELNS1_3gpuE7ELNS1_3repE0EEENS1_30default_config_static_selectorELNS0_4arch9wavefront6targetE0EEEvT1_,comdat
	.protected	_ZN7rocprim17ROCPRIM_400000_NS6detail17trampoline_kernelINS0_14default_configENS1_25partition_config_selectorILNS1_17partition_subalgoE8EiNS0_10empty_typeEbEEZZNS1_14partition_implILS5_8ELb0ES3_jPKiPS6_PKS6_NS0_5tupleIJPiS6_EEENSE_IJSB_SB_EEENS0_18inequality_wrapperIN6hipcub16HIPCUB_304000_NS8EqualityEEEPlJS6_EEE10hipError_tPvRmT3_T4_T5_T6_T7_T9_mT8_P12ihipStream_tbDpT10_ENKUlT_T0_E_clISt17integral_constantIbLb1EES17_EEDaS12_S13_EUlS12_E_NS1_11comp_targetILNS1_3genE3ELNS1_11target_archE908ELNS1_3gpuE7ELNS1_3repE0EEENS1_30default_config_static_selectorELNS0_4arch9wavefront6targetE0EEEvT1_ ; -- Begin function _ZN7rocprim17ROCPRIM_400000_NS6detail17trampoline_kernelINS0_14default_configENS1_25partition_config_selectorILNS1_17partition_subalgoE8EiNS0_10empty_typeEbEEZZNS1_14partition_implILS5_8ELb0ES3_jPKiPS6_PKS6_NS0_5tupleIJPiS6_EEENSE_IJSB_SB_EEENS0_18inequality_wrapperIN6hipcub16HIPCUB_304000_NS8EqualityEEEPlJS6_EEE10hipError_tPvRmT3_T4_T5_T6_T7_T9_mT8_P12ihipStream_tbDpT10_ENKUlT_T0_E_clISt17integral_constantIbLb1EES17_EEDaS12_S13_EUlS12_E_NS1_11comp_targetILNS1_3genE3ELNS1_11target_archE908ELNS1_3gpuE7ELNS1_3repE0EEENS1_30default_config_static_selectorELNS0_4arch9wavefront6targetE0EEEvT1_
	.globl	_ZN7rocprim17ROCPRIM_400000_NS6detail17trampoline_kernelINS0_14default_configENS1_25partition_config_selectorILNS1_17partition_subalgoE8EiNS0_10empty_typeEbEEZZNS1_14partition_implILS5_8ELb0ES3_jPKiPS6_PKS6_NS0_5tupleIJPiS6_EEENSE_IJSB_SB_EEENS0_18inequality_wrapperIN6hipcub16HIPCUB_304000_NS8EqualityEEEPlJS6_EEE10hipError_tPvRmT3_T4_T5_T6_T7_T9_mT8_P12ihipStream_tbDpT10_ENKUlT_T0_E_clISt17integral_constantIbLb1EES17_EEDaS12_S13_EUlS12_E_NS1_11comp_targetILNS1_3genE3ELNS1_11target_archE908ELNS1_3gpuE7ELNS1_3repE0EEENS1_30default_config_static_selectorELNS0_4arch9wavefront6targetE0EEEvT1_
	.p2align	8
	.type	_ZN7rocprim17ROCPRIM_400000_NS6detail17trampoline_kernelINS0_14default_configENS1_25partition_config_selectorILNS1_17partition_subalgoE8EiNS0_10empty_typeEbEEZZNS1_14partition_implILS5_8ELb0ES3_jPKiPS6_PKS6_NS0_5tupleIJPiS6_EEENSE_IJSB_SB_EEENS0_18inequality_wrapperIN6hipcub16HIPCUB_304000_NS8EqualityEEEPlJS6_EEE10hipError_tPvRmT3_T4_T5_T6_T7_T9_mT8_P12ihipStream_tbDpT10_ENKUlT_T0_E_clISt17integral_constantIbLb1EES17_EEDaS12_S13_EUlS12_E_NS1_11comp_targetILNS1_3genE3ELNS1_11target_archE908ELNS1_3gpuE7ELNS1_3repE0EEENS1_30default_config_static_selectorELNS0_4arch9wavefront6targetE0EEEvT1_,@function
_ZN7rocprim17ROCPRIM_400000_NS6detail17trampoline_kernelINS0_14default_configENS1_25partition_config_selectorILNS1_17partition_subalgoE8EiNS0_10empty_typeEbEEZZNS1_14partition_implILS5_8ELb0ES3_jPKiPS6_PKS6_NS0_5tupleIJPiS6_EEENSE_IJSB_SB_EEENS0_18inequality_wrapperIN6hipcub16HIPCUB_304000_NS8EqualityEEEPlJS6_EEE10hipError_tPvRmT3_T4_T5_T6_T7_T9_mT8_P12ihipStream_tbDpT10_ENKUlT_T0_E_clISt17integral_constantIbLb1EES17_EEDaS12_S13_EUlS12_E_NS1_11comp_targetILNS1_3genE3ELNS1_11target_archE908ELNS1_3gpuE7ELNS1_3repE0EEENS1_30default_config_static_selectorELNS0_4arch9wavefront6targetE0EEEvT1_: ; @_ZN7rocprim17ROCPRIM_400000_NS6detail17trampoline_kernelINS0_14default_configENS1_25partition_config_selectorILNS1_17partition_subalgoE8EiNS0_10empty_typeEbEEZZNS1_14partition_implILS5_8ELb0ES3_jPKiPS6_PKS6_NS0_5tupleIJPiS6_EEENSE_IJSB_SB_EEENS0_18inequality_wrapperIN6hipcub16HIPCUB_304000_NS8EqualityEEEPlJS6_EEE10hipError_tPvRmT3_T4_T5_T6_T7_T9_mT8_P12ihipStream_tbDpT10_ENKUlT_T0_E_clISt17integral_constantIbLb1EES17_EEDaS12_S13_EUlS12_E_NS1_11comp_targetILNS1_3genE3ELNS1_11target_archE908ELNS1_3gpuE7ELNS1_3repE0EEENS1_30default_config_static_selectorELNS0_4arch9wavefront6targetE0EEEvT1_
; %bb.0:
	.section	.rodata,"a",@progbits
	.p2align	6, 0x0
	.amdhsa_kernel _ZN7rocprim17ROCPRIM_400000_NS6detail17trampoline_kernelINS0_14default_configENS1_25partition_config_selectorILNS1_17partition_subalgoE8EiNS0_10empty_typeEbEEZZNS1_14partition_implILS5_8ELb0ES3_jPKiPS6_PKS6_NS0_5tupleIJPiS6_EEENSE_IJSB_SB_EEENS0_18inequality_wrapperIN6hipcub16HIPCUB_304000_NS8EqualityEEEPlJS6_EEE10hipError_tPvRmT3_T4_T5_T6_T7_T9_mT8_P12ihipStream_tbDpT10_ENKUlT_T0_E_clISt17integral_constantIbLb1EES17_EEDaS12_S13_EUlS12_E_NS1_11comp_targetILNS1_3genE3ELNS1_11target_archE908ELNS1_3gpuE7ELNS1_3repE0EEENS1_30default_config_static_selectorELNS0_4arch9wavefront6targetE0EEEvT1_
		.amdhsa_group_segment_fixed_size 0
		.amdhsa_private_segment_fixed_size 0
		.amdhsa_kernarg_size 128
		.amdhsa_user_sgpr_count 2
		.amdhsa_user_sgpr_dispatch_ptr 0
		.amdhsa_user_sgpr_queue_ptr 0
		.amdhsa_user_sgpr_kernarg_segment_ptr 1
		.amdhsa_user_sgpr_dispatch_id 0
		.amdhsa_user_sgpr_kernarg_preload_length 0
		.amdhsa_user_sgpr_kernarg_preload_offset 0
		.amdhsa_user_sgpr_private_segment_size 0
		.amdhsa_wavefront_size32 1
		.amdhsa_uses_dynamic_stack 0
		.amdhsa_enable_private_segment 0
		.amdhsa_system_sgpr_workgroup_id_x 1
		.amdhsa_system_sgpr_workgroup_id_y 0
		.amdhsa_system_sgpr_workgroup_id_z 0
		.amdhsa_system_sgpr_workgroup_info 0
		.amdhsa_system_vgpr_workitem_id 0
		.amdhsa_next_free_vgpr 1
		.amdhsa_next_free_sgpr 1
		.amdhsa_named_barrier_count 0
		.amdhsa_reserve_vcc 0
		.amdhsa_float_round_mode_32 0
		.amdhsa_float_round_mode_16_64 0
		.amdhsa_float_denorm_mode_32 3
		.amdhsa_float_denorm_mode_16_64 3
		.amdhsa_fp16_overflow 0
		.amdhsa_memory_ordered 1
		.amdhsa_forward_progress 1
		.amdhsa_inst_pref_size 0
		.amdhsa_round_robin_scheduling 0
		.amdhsa_exception_fp_ieee_invalid_op 0
		.amdhsa_exception_fp_denorm_src 0
		.amdhsa_exception_fp_ieee_div_zero 0
		.amdhsa_exception_fp_ieee_overflow 0
		.amdhsa_exception_fp_ieee_underflow 0
		.amdhsa_exception_fp_ieee_inexact 0
		.amdhsa_exception_int_div_zero 0
	.end_amdhsa_kernel
	.section	.text._ZN7rocprim17ROCPRIM_400000_NS6detail17trampoline_kernelINS0_14default_configENS1_25partition_config_selectorILNS1_17partition_subalgoE8EiNS0_10empty_typeEbEEZZNS1_14partition_implILS5_8ELb0ES3_jPKiPS6_PKS6_NS0_5tupleIJPiS6_EEENSE_IJSB_SB_EEENS0_18inequality_wrapperIN6hipcub16HIPCUB_304000_NS8EqualityEEEPlJS6_EEE10hipError_tPvRmT3_T4_T5_T6_T7_T9_mT8_P12ihipStream_tbDpT10_ENKUlT_T0_E_clISt17integral_constantIbLb1EES17_EEDaS12_S13_EUlS12_E_NS1_11comp_targetILNS1_3genE3ELNS1_11target_archE908ELNS1_3gpuE7ELNS1_3repE0EEENS1_30default_config_static_selectorELNS0_4arch9wavefront6targetE0EEEvT1_,"axG",@progbits,_ZN7rocprim17ROCPRIM_400000_NS6detail17trampoline_kernelINS0_14default_configENS1_25partition_config_selectorILNS1_17partition_subalgoE8EiNS0_10empty_typeEbEEZZNS1_14partition_implILS5_8ELb0ES3_jPKiPS6_PKS6_NS0_5tupleIJPiS6_EEENSE_IJSB_SB_EEENS0_18inequality_wrapperIN6hipcub16HIPCUB_304000_NS8EqualityEEEPlJS6_EEE10hipError_tPvRmT3_T4_T5_T6_T7_T9_mT8_P12ihipStream_tbDpT10_ENKUlT_T0_E_clISt17integral_constantIbLb1EES17_EEDaS12_S13_EUlS12_E_NS1_11comp_targetILNS1_3genE3ELNS1_11target_archE908ELNS1_3gpuE7ELNS1_3repE0EEENS1_30default_config_static_selectorELNS0_4arch9wavefront6targetE0EEEvT1_,comdat
.Lfunc_end198:
	.size	_ZN7rocprim17ROCPRIM_400000_NS6detail17trampoline_kernelINS0_14default_configENS1_25partition_config_selectorILNS1_17partition_subalgoE8EiNS0_10empty_typeEbEEZZNS1_14partition_implILS5_8ELb0ES3_jPKiPS6_PKS6_NS0_5tupleIJPiS6_EEENSE_IJSB_SB_EEENS0_18inequality_wrapperIN6hipcub16HIPCUB_304000_NS8EqualityEEEPlJS6_EEE10hipError_tPvRmT3_T4_T5_T6_T7_T9_mT8_P12ihipStream_tbDpT10_ENKUlT_T0_E_clISt17integral_constantIbLb1EES17_EEDaS12_S13_EUlS12_E_NS1_11comp_targetILNS1_3genE3ELNS1_11target_archE908ELNS1_3gpuE7ELNS1_3repE0EEENS1_30default_config_static_selectorELNS0_4arch9wavefront6targetE0EEEvT1_, .Lfunc_end198-_ZN7rocprim17ROCPRIM_400000_NS6detail17trampoline_kernelINS0_14default_configENS1_25partition_config_selectorILNS1_17partition_subalgoE8EiNS0_10empty_typeEbEEZZNS1_14partition_implILS5_8ELb0ES3_jPKiPS6_PKS6_NS0_5tupleIJPiS6_EEENSE_IJSB_SB_EEENS0_18inequality_wrapperIN6hipcub16HIPCUB_304000_NS8EqualityEEEPlJS6_EEE10hipError_tPvRmT3_T4_T5_T6_T7_T9_mT8_P12ihipStream_tbDpT10_ENKUlT_T0_E_clISt17integral_constantIbLb1EES17_EEDaS12_S13_EUlS12_E_NS1_11comp_targetILNS1_3genE3ELNS1_11target_archE908ELNS1_3gpuE7ELNS1_3repE0EEENS1_30default_config_static_selectorELNS0_4arch9wavefront6targetE0EEEvT1_
                                        ; -- End function
	.set _ZN7rocprim17ROCPRIM_400000_NS6detail17trampoline_kernelINS0_14default_configENS1_25partition_config_selectorILNS1_17partition_subalgoE8EiNS0_10empty_typeEbEEZZNS1_14partition_implILS5_8ELb0ES3_jPKiPS6_PKS6_NS0_5tupleIJPiS6_EEENSE_IJSB_SB_EEENS0_18inequality_wrapperIN6hipcub16HIPCUB_304000_NS8EqualityEEEPlJS6_EEE10hipError_tPvRmT3_T4_T5_T6_T7_T9_mT8_P12ihipStream_tbDpT10_ENKUlT_T0_E_clISt17integral_constantIbLb1EES17_EEDaS12_S13_EUlS12_E_NS1_11comp_targetILNS1_3genE3ELNS1_11target_archE908ELNS1_3gpuE7ELNS1_3repE0EEENS1_30default_config_static_selectorELNS0_4arch9wavefront6targetE0EEEvT1_.num_vgpr, 0
	.set _ZN7rocprim17ROCPRIM_400000_NS6detail17trampoline_kernelINS0_14default_configENS1_25partition_config_selectorILNS1_17partition_subalgoE8EiNS0_10empty_typeEbEEZZNS1_14partition_implILS5_8ELb0ES3_jPKiPS6_PKS6_NS0_5tupleIJPiS6_EEENSE_IJSB_SB_EEENS0_18inequality_wrapperIN6hipcub16HIPCUB_304000_NS8EqualityEEEPlJS6_EEE10hipError_tPvRmT3_T4_T5_T6_T7_T9_mT8_P12ihipStream_tbDpT10_ENKUlT_T0_E_clISt17integral_constantIbLb1EES17_EEDaS12_S13_EUlS12_E_NS1_11comp_targetILNS1_3genE3ELNS1_11target_archE908ELNS1_3gpuE7ELNS1_3repE0EEENS1_30default_config_static_selectorELNS0_4arch9wavefront6targetE0EEEvT1_.num_agpr, 0
	.set _ZN7rocprim17ROCPRIM_400000_NS6detail17trampoline_kernelINS0_14default_configENS1_25partition_config_selectorILNS1_17partition_subalgoE8EiNS0_10empty_typeEbEEZZNS1_14partition_implILS5_8ELb0ES3_jPKiPS6_PKS6_NS0_5tupleIJPiS6_EEENSE_IJSB_SB_EEENS0_18inequality_wrapperIN6hipcub16HIPCUB_304000_NS8EqualityEEEPlJS6_EEE10hipError_tPvRmT3_T4_T5_T6_T7_T9_mT8_P12ihipStream_tbDpT10_ENKUlT_T0_E_clISt17integral_constantIbLb1EES17_EEDaS12_S13_EUlS12_E_NS1_11comp_targetILNS1_3genE3ELNS1_11target_archE908ELNS1_3gpuE7ELNS1_3repE0EEENS1_30default_config_static_selectorELNS0_4arch9wavefront6targetE0EEEvT1_.numbered_sgpr, 0
	.set _ZN7rocprim17ROCPRIM_400000_NS6detail17trampoline_kernelINS0_14default_configENS1_25partition_config_selectorILNS1_17partition_subalgoE8EiNS0_10empty_typeEbEEZZNS1_14partition_implILS5_8ELb0ES3_jPKiPS6_PKS6_NS0_5tupleIJPiS6_EEENSE_IJSB_SB_EEENS0_18inequality_wrapperIN6hipcub16HIPCUB_304000_NS8EqualityEEEPlJS6_EEE10hipError_tPvRmT3_T4_T5_T6_T7_T9_mT8_P12ihipStream_tbDpT10_ENKUlT_T0_E_clISt17integral_constantIbLb1EES17_EEDaS12_S13_EUlS12_E_NS1_11comp_targetILNS1_3genE3ELNS1_11target_archE908ELNS1_3gpuE7ELNS1_3repE0EEENS1_30default_config_static_selectorELNS0_4arch9wavefront6targetE0EEEvT1_.num_named_barrier, 0
	.set _ZN7rocprim17ROCPRIM_400000_NS6detail17trampoline_kernelINS0_14default_configENS1_25partition_config_selectorILNS1_17partition_subalgoE8EiNS0_10empty_typeEbEEZZNS1_14partition_implILS5_8ELb0ES3_jPKiPS6_PKS6_NS0_5tupleIJPiS6_EEENSE_IJSB_SB_EEENS0_18inequality_wrapperIN6hipcub16HIPCUB_304000_NS8EqualityEEEPlJS6_EEE10hipError_tPvRmT3_T4_T5_T6_T7_T9_mT8_P12ihipStream_tbDpT10_ENKUlT_T0_E_clISt17integral_constantIbLb1EES17_EEDaS12_S13_EUlS12_E_NS1_11comp_targetILNS1_3genE3ELNS1_11target_archE908ELNS1_3gpuE7ELNS1_3repE0EEENS1_30default_config_static_selectorELNS0_4arch9wavefront6targetE0EEEvT1_.private_seg_size, 0
	.set _ZN7rocprim17ROCPRIM_400000_NS6detail17trampoline_kernelINS0_14default_configENS1_25partition_config_selectorILNS1_17partition_subalgoE8EiNS0_10empty_typeEbEEZZNS1_14partition_implILS5_8ELb0ES3_jPKiPS6_PKS6_NS0_5tupleIJPiS6_EEENSE_IJSB_SB_EEENS0_18inequality_wrapperIN6hipcub16HIPCUB_304000_NS8EqualityEEEPlJS6_EEE10hipError_tPvRmT3_T4_T5_T6_T7_T9_mT8_P12ihipStream_tbDpT10_ENKUlT_T0_E_clISt17integral_constantIbLb1EES17_EEDaS12_S13_EUlS12_E_NS1_11comp_targetILNS1_3genE3ELNS1_11target_archE908ELNS1_3gpuE7ELNS1_3repE0EEENS1_30default_config_static_selectorELNS0_4arch9wavefront6targetE0EEEvT1_.uses_vcc, 0
	.set _ZN7rocprim17ROCPRIM_400000_NS6detail17trampoline_kernelINS0_14default_configENS1_25partition_config_selectorILNS1_17partition_subalgoE8EiNS0_10empty_typeEbEEZZNS1_14partition_implILS5_8ELb0ES3_jPKiPS6_PKS6_NS0_5tupleIJPiS6_EEENSE_IJSB_SB_EEENS0_18inequality_wrapperIN6hipcub16HIPCUB_304000_NS8EqualityEEEPlJS6_EEE10hipError_tPvRmT3_T4_T5_T6_T7_T9_mT8_P12ihipStream_tbDpT10_ENKUlT_T0_E_clISt17integral_constantIbLb1EES17_EEDaS12_S13_EUlS12_E_NS1_11comp_targetILNS1_3genE3ELNS1_11target_archE908ELNS1_3gpuE7ELNS1_3repE0EEENS1_30default_config_static_selectorELNS0_4arch9wavefront6targetE0EEEvT1_.uses_flat_scratch, 0
	.set _ZN7rocprim17ROCPRIM_400000_NS6detail17trampoline_kernelINS0_14default_configENS1_25partition_config_selectorILNS1_17partition_subalgoE8EiNS0_10empty_typeEbEEZZNS1_14partition_implILS5_8ELb0ES3_jPKiPS6_PKS6_NS0_5tupleIJPiS6_EEENSE_IJSB_SB_EEENS0_18inequality_wrapperIN6hipcub16HIPCUB_304000_NS8EqualityEEEPlJS6_EEE10hipError_tPvRmT3_T4_T5_T6_T7_T9_mT8_P12ihipStream_tbDpT10_ENKUlT_T0_E_clISt17integral_constantIbLb1EES17_EEDaS12_S13_EUlS12_E_NS1_11comp_targetILNS1_3genE3ELNS1_11target_archE908ELNS1_3gpuE7ELNS1_3repE0EEENS1_30default_config_static_selectorELNS0_4arch9wavefront6targetE0EEEvT1_.has_dyn_sized_stack, 0
	.set _ZN7rocprim17ROCPRIM_400000_NS6detail17trampoline_kernelINS0_14default_configENS1_25partition_config_selectorILNS1_17partition_subalgoE8EiNS0_10empty_typeEbEEZZNS1_14partition_implILS5_8ELb0ES3_jPKiPS6_PKS6_NS0_5tupleIJPiS6_EEENSE_IJSB_SB_EEENS0_18inequality_wrapperIN6hipcub16HIPCUB_304000_NS8EqualityEEEPlJS6_EEE10hipError_tPvRmT3_T4_T5_T6_T7_T9_mT8_P12ihipStream_tbDpT10_ENKUlT_T0_E_clISt17integral_constantIbLb1EES17_EEDaS12_S13_EUlS12_E_NS1_11comp_targetILNS1_3genE3ELNS1_11target_archE908ELNS1_3gpuE7ELNS1_3repE0EEENS1_30default_config_static_selectorELNS0_4arch9wavefront6targetE0EEEvT1_.has_recursion, 0
	.set _ZN7rocprim17ROCPRIM_400000_NS6detail17trampoline_kernelINS0_14default_configENS1_25partition_config_selectorILNS1_17partition_subalgoE8EiNS0_10empty_typeEbEEZZNS1_14partition_implILS5_8ELb0ES3_jPKiPS6_PKS6_NS0_5tupleIJPiS6_EEENSE_IJSB_SB_EEENS0_18inequality_wrapperIN6hipcub16HIPCUB_304000_NS8EqualityEEEPlJS6_EEE10hipError_tPvRmT3_T4_T5_T6_T7_T9_mT8_P12ihipStream_tbDpT10_ENKUlT_T0_E_clISt17integral_constantIbLb1EES17_EEDaS12_S13_EUlS12_E_NS1_11comp_targetILNS1_3genE3ELNS1_11target_archE908ELNS1_3gpuE7ELNS1_3repE0EEENS1_30default_config_static_selectorELNS0_4arch9wavefront6targetE0EEEvT1_.has_indirect_call, 0
	.section	.AMDGPU.csdata,"",@progbits
; Kernel info:
; codeLenInByte = 0
; TotalNumSgprs: 0
; NumVgprs: 0
; ScratchSize: 0
; MemoryBound: 0
; FloatMode: 240
; IeeeMode: 1
; LDSByteSize: 0 bytes/workgroup (compile time only)
; SGPRBlocks: 0
; VGPRBlocks: 0
; NumSGPRsForWavesPerEU: 1
; NumVGPRsForWavesPerEU: 1
; NamedBarCnt: 0
; Occupancy: 16
; WaveLimiterHint : 0
; COMPUTE_PGM_RSRC2:SCRATCH_EN: 0
; COMPUTE_PGM_RSRC2:USER_SGPR: 2
; COMPUTE_PGM_RSRC2:TRAP_HANDLER: 0
; COMPUTE_PGM_RSRC2:TGID_X_EN: 1
; COMPUTE_PGM_RSRC2:TGID_Y_EN: 0
; COMPUTE_PGM_RSRC2:TGID_Z_EN: 0
; COMPUTE_PGM_RSRC2:TIDIG_COMP_CNT: 0
	.section	.text._ZN7rocprim17ROCPRIM_400000_NS6detail17trampoline_kernelINS0_14default_configENS1_25partition_config_selectorILNS1_17partition_subalgoE8EiNS0_10empty_typeEbEEZZNS1_14partition_implILS5_8ELb0ES3_jPKiPS6_PKS6_NS0_5tupleIJPiS6_EEENSE_IJSB_SB_EEENS0_18inequality_wrapperIN6hipcub16HIPCUB_304000_NS8EqualityEEEPlJS6_EEE10hipError_tPvRmT3_T4_T5_T6_T7_T9_mT8_P12ihipStream_tbDpT10_ENKUlT_T0_E_clISt17integral_constantIbLb1EES17_EEDaS12_S13_EUlS12_E_NS1_11comp_targetILNS1_3genE2ELNS1_11target_archE906ELNS1_3gpuE6ELNS1_3repE0EEENS1_30default_config_static_selectorELNS0_4arch9wavefront6targetE0EEEvT1_,"axG",@progbits,_ZN7rocprim17ROCPRIM_400000_NS6detail17trampoline_kernelINS0_14default_configENS1_25partition_config_selectorILNS1_17partition_subalgoE8EiNS0_10empty_typeEbEEZZNS1_14partition_implILS5_8ELb0ES3_jPKiPS6_PKS6_NS0_5tupleIJPiS6_EEENSE_IJSB_SB_EEENS0_18inequality_wrapperIN6hipcub16HIPCUB_304000_NS8EqualityEEEPlJS6_EEE10hipError_tPvRmT3_T4_T5_T6_T7_T9_mT8_P12ihipStream_tbDpT10_ENKUlT_T0_E_clISt17integral_constantIbLb1EES17_EEDaS12_S13_EUlS12_E_NS1_11comp_targetILNS1_3genE2ELNS1_11target_archE906ELNS1_3gpuE6ELNS1_3repE0EEENS1_30default_config_static_selectorELNS0_4arch9wavefront6targetE0EEEvT1_,comdat
	.protected	_ZN7rocprim17ROCPRIM_400000_NS6detail17trampoline_kernelINS0_14default_configENS1_25partition_config_selectorILNS1_17partition_subalgoE8EiNS0_10empty_typeEbEEZZNS1_14partition_implILS5_8ELb0ES3_jPKiPS6_PKS6_NS0_5tupleIJPiS6_EEENSE_IJSB_SB_EEENS0_18inequality_wrapperIN6hipcub16HIPCUB_304000_NS8EqualityEEEPlJS6_EEE10hipError_tPvRmT3_T4_T5_T6_T7_T9_mT8_P12ihipStream_tbDpT10_ENKUlT_T0_E_clISt17integral_constantIbLb1EES17_EEDaS12_S13_EUlS12_E_NS1_11comp_targetILNS1_3genE2ELNS1_11target_archE906ELNS1_3gpuE6ELNS1_3repE0EEENS1_30default_config_static_selectorELNS0_4arch9wavefront6targetE0EEEvT1_ ; -- Begin function _ZN7rocprim17ROCPRIM_400000_NS6detail17trampoline_kernelINS0_14default_configENS1_25partition_config_selectorILNS1_17partition_subalgoE8EiNS0_10empty_typeEbEEZZNS1_14partition_implILS5_8ELb0ES3_jPKiPS6_PKS6_NS0_5tupleIJPiS6_EEENSE_IJSB_SB_EEENS0_18inequality_wrapperIN6hipcub16HIPCUB_304000_NS8EqualityEEEPlJS6_EEE10hipError_tPvRmT3_T4_T5_T6_T7_T9_mT8_P12ihipStream_tbDpT10_ENKUlT_T0_E_clISt17integral_constantIbLb1EES17_EEDaS12_S13_EUlS12_E_NS1_11comp_targetILNS1_3genE2ELNS1_11target_archE906ELNS1_3gpuE6ELNS1_3repE0EEENS1_30default_config_static_selectorELNS0_4arch9wavefront6targetE0EEEvT1_
	.globl	_ZN7rocprim17ROCPRIM_400000_NS6detail17trampoline_kernelINS0_14default_configENS1_25partition_config_selectorILNS1_17partition_subalgoE8EiNS0_10empty_typeEbEEZZNS1_14partition_implILS5_8ELb0ES3_jPKiPS6_PKS6_NS0_5tupleIJPiS6_EEENSE_IJSB_SB_EEENS0_18inequality_wrapperIN6hipcub16HIPCUB_304000_NS8EqualityEEEPlJS6_EEE10hipError_tPvRmT3_T4_T5_T6_T7_T9_mT8_P12ihipStream_tbDpT10_ENKUlT_T0_E_clISt17integral_constantIbLb1EES17_EEDaS12_S13_EUlS12_E_NS1_11comp_targetILNS1_3genE2ELNS1_11target_archE906ELNS1_3gpuE6ELNS1_3repE0EEENS1_30default_config_static_selectorELNS0_4arch9wavefront6targetE0EEEvT1_
	.p2align	8
	.type	_ZN7rocprim17ROCPRIM_400000_NS6detail17trampoline_kernelINS0_14default_configENS1_25partition_config_selectorILNS1_17partition_subalgoE8EiNS0_10empty_typeEbEEZZNS1_14partition_implILS5_8ELb0ES3_jPKiPS6_PKS6_NS0_5tupleIJPiS6_EEENSE_IJSB_SB_EEENS0_18inequality_wrapperIN6hipcub16HIPCUB_304000_NS8EqualityEEEPlJS6_EEE10hipError_tPvRmT3_T4_T5_T6_T7_T9_mT8_P12ihipStream_tbDpT10_ENKUlT_T0_E_clISt17integral_constantIbLb1EES17_EEDaS12_S13_EUlS12_E_NS1_11comp_targetILNS1_3genE2ELNS1_11target_archE906ELNS1_3gpuE6ELNS1_3repE0EEENS1_30default_config_static_selectorELNS0_4arch9wavefront6targetE0EEEvT1_,@function
_ZN7rocprim17ROCPRIM_400000_NS6detail17trampoline_kernelINS0_14default_configENS1_25partition_config_selectorILNS1_17partition_subalgoE8EiNS0_10empty_typeEbEEZZNS1_14partition_implILS5_8ELb0ES3_jPKiPS6_PKS6_NS0_5tupleIJPiS6_EEENSE_IJSB_SB_EEENS0_18inequality_wrapperIN6hipcub16HIPCUB_304000_NS8EqualityEEEPlJS6_EEE10hipError_tPvRmT3_T4_T5_T6_T7_T9_mT8_P12ihipStream_tbDpT10_ENKUlT_T0_E_clISt17integral_constantIbLb1EES17_EEDaS12_S13_EUlS12_E_NS1_11comp_targetILNS1_3genE2ELNS1_11target_archE906ELNS1_3gpuE6ELNS1_3repE0EEENS1_30default_config_static_selectorELNS0_4arch9wavefront6targetE0EEEvT1_: ; @_ZN7rocprim17ROCPRIM_400000_NS6detail17trampoline_kernelINS0_14default_configENS1_25partition_config_selectorILNS1_17partition_subalgoE8EiNS0_10empty_typeEbEEZZNS1_14partition_implILS5_8ELb0ES3_jPKiPS6_PKS6_NS0_5tupleIJPiS6_EEENSE_IJSB_SB_EEENS0_18inequality_wrapperIN6hipcub16HIPCUB_304000_NS8EqualityEEEPlJS6_EEE10hipError_tPvRmT3_T4_T5_T6_T7_T9_mT8_P12ihipStream_tbDpT10_ENKUlT_T0_E_clISt17integral_constantIbLb1EES17_EEDaS12_S13_EUlS12_E_NS1_11comp_targetILNS1_3genE2ELNS1_11target_archE906ELNS1_3gpuE6ELNS1_3repE0EEENS1_30default_config_static_selectorELNS0_4arch9wavefront6targetE0EEEvT1_
; %bb.0:
	.section	.rodata,"a",@progbits
	.p2align	6, 0x0
	.amdhsa_kernel _ZN7rocprim17ROCPRIM_400000_NS6detail17trampoline_kernelINS0_14default_configENS1_25partition_config_selectorILNS1_17partition_subalgoE8EiNS0_10empty_typeEbEEZZNS1_14partition_implILS5_8ELb0ES3_jPKiPS6_PKS6_NS0_5tupleIJPiS6_EEENSE_IJSB_SB_EEENS0_18inequality_wrapperIN6hipcub16HIPCUB_304000_NS8EqualityEEEPlJS6_EEE10hipError_tPvRmT3_T4_T5_T6_T7_T9_mT8_P12ihipStream_tbDpT10_ENKUlT_T0_E_clISt17integral_constantIbLb1EES17_EEDaS12_S13_EUlS12_E_NS1_11comp_targetILNS1_3genE2ELNS1_11target_archE906ELNS1_3gpuE6ELNS1_3repE0EEENS1_30default_config_static_selectorELNS0_4arch9wavefront6targetE0EEEvT1_
		.amdhsa_group_segment_fixed_size 0
		.amdhsa_private_segment_fixed_size 0
		.amdhsa_kernarg_size 128
		.amdhsa_user_sgpr_count 2
		.amdhsa_user_sgpr_dispatch_ptr 0
		.amdhsa_user_sgpr_queue_ptr 0
		.amdhsa_user_sgpr_kernarg_segment_ptr 1
		.amdhsa_user_sgpr_dispatch_id 0
		.amdhsa_user_sgpr_kernarg_preload_length 0
		.amdhsa_user_sgpr_kernarg_preload_offset 0
		.amdhsa_user_sgpr_private_segment_size 0
		.amdhsa_wavefront_size32 1
		.amdhsa_uses_dynamic_stack 0
		.amdhsa_enable_private_segment 0
		.amdhsa_system_sgpr_workgroup_id_x 1
		.amdhsa_system_sgpr_workgroup_id_y 0
		.amdhsa_system_sgpr_workgroup_id_z 0
		.amdhsa_system_sgpr_workgroup_info 0
		.amdhsa_system_vgpr_workitem_id 0
		.amdhsa_next_free_vgpr 1
		.amdhsa_next_free_sgpr 1
		.amdhsa_named_barrier_count 0
		.amdhsa_reserve_vcc 0
		.amdhsa_float_round_mode_32 0
		.amdhsa_float_round_mode_16_64 0
		.amdhsa_float_denorm_mode_32 3
		.amdhsa_float_denorm_mode_16_64 3
		.amdhsa_fp16_overflow 0
		.amdhsa_memory_ordered 1
		.amdhsa_forward_progress 1
		.amdhsa_inst_pref_size 0
		.amdhsa_round_robin_scheduling 0
		.amdhsa_exception_fp_ieee_invalid_op 0
		.amdhsa_exception_fp_denorm_src 0
		.amdhsa_exception_fp_ieee_div_zero 0
		.amdhsa_exception_fp_ieee_overflow 0
		.amdhsa_exception_fp_ieee_underflow 0
		.amdhsa_exception_fp_ieee_inexact 0
		.amdhsa_exception_int_div_zero 0
	.end_amdhsa_kernel
	.section	.text._ZN7rocprim17ROCPRIM_400000_NS6detail17trampoline_kernelINS0_14default_configENS1_25partition_config_selectorILNS1_17partition_subalgoE8EiNS0_10empty_typeEbEEZZNS1_14partition_implILS5_8ELb0ES3_jPKiPS6_PKS6_NS0_5tupleIJPiS6_EEENSE_IJSB_SB_EEENS0_18inequality_wrapperIN6hipcub16HIPCUB_304000_NS8EqualityEEEPlJS6_EEE10hipError_tPvRmT3_T4_T5_T6_T7_T9_mT8_P12ihipStream_tbDpT10_ENKUlT_T0_E_clISt17integral_constantIbLb1EES17_EEDaS12_S13_EUlS12_E_NS1_11comp_targetILNS1_3genE2ELNS1_11target_archE906ELNS1_3gpuE6ELNS1_3repE0EEENS1_30default_config_static_selectorELNS0_4arch9wavefront6targetE0EEEvT1_,"axG",@progbits,_ZN7rocprim17ROCPRIM_400000_NS6detail17trampoline_kernelINS0_14default_configENS1_25partition_config_selectorILNS1_17partition_subalgoE8EiNS0_10empty_typeEbEEZZNS1_14partition_implILS5_8ELb0ES3_jPKiPS6_PKS6_NS0_5tupleIJPiS6_EEENSE_IJSB_SB_EEENS0_18inequality_wrapperIN6hipcub16HIPCUB_304000_NS8EqualityEEEPlJS6_EEE10hipError_tPvRmT3_T4_T5_T6_T7_T9_mT8_P12ihipStream_tbDpT10_ENKUlT_T0_E_clISt17integral_constantIbLb1EES17_EEDaS12_S13_EUlS12_E_NS1_11comp_targetILNS1_3genE2ELNS1_11target_archE906ELNS1_3gpuE6ELNS1_3repE0EEENS1_30default_config_static_selectorELNS0_4arch9wavefront6targetE0EEEvT1_,comdat
.Lfunc_end199:
	.size	_ZN7rocprim17ROCPRIM_400000_NS6detail17trampoline_kernelINS0_14default_configENS1_25partition_config_selectorILNS1_17partition_subalgoE8EiNS0_10empty_typeEbEEZZNS1_14partition_implILS5_8ELb0ES3_jPKiPS6_PKS6_NS0_5tupleIJPiS6_EEENSE_IJSB_SB_EEENS0_18inequality_wrapperIN6hipcub16HIPCUB_304000_NS8EqualityEEEPlJS6_EEE10hipError_tPvRmT3_T4_T5_T6_T7_T9_mT8_P12ihipStream_tbDpT10_ENKUlT_T0_E_clISt17integral_constantIbLb1EES17_EEDaS12_S13_EUlS12_E_NS1_11comp_targetILNS1_3genE2ELNS1_11target_archE906ELNS1_3gpuE6ELNS1_3repE0EEENS1_30default_config_static_selectorELNS0_4arch9wavefront6targetE0EEEvT1_, .Lfunc_end199-_ZN7rocprim17ROCPRIM_400000_NS6detail17trampoline_kernelINS0_14default_configENS1_25partition_config_selectorILNS1_17partition_subalgoE8EiNS0_10empty_typeEbEEZZNS1_14partition_implILS5_8ELb0ES3_jPKiPS6_PKS6_NS0_5tupleIJPiS6_EEENSE_IJSB_SB_EEENS0_18inequality_wrapperIN6hipcub16HIPCUB_304000_NS8EqualityEEEPlJS6_EEE10hipError_tPvRmT3_T4_T5_T6_T7_T9_mT8_P12ihipStream_tbDpT10_ENKUlT_T0_E_clISt17integral_constantIbLb1EES17_EEDaS12_S13_EUlS12_E_NS1_11comp_targetILNS1_3genE2ELNS1_11target_archE906ELNS1_3gpuE6ELNS1_3repE0EEENS1_30default_config_static_selectorELNS0_4arch9wavefront6targetE0EEEvT1_
                                        ; -- End function
	.set _ZN7rocprim17ROCPRIM_400000_NS6detail17trampoline_kernelINS0_14default_configENS1_25partition_config_selectorILNS1_17partition_subalgoE8EiNS0_10empty_typeEbEEZZNS1_14partition_implILS5_8ELb0ES3_jPKiPS6_PKS6_NS0_5tupleIJPiS6_EEENSE_IJSB_SB_EEENS0_18inequality_wrapperIN6hipcub16HIPCUB_304000_NS8EqualityEEEPlJS6_EEE10hipError_tPvRmT3_T4_T5_T6_T7_T9_mT8_P12ihipStream_tbDpT10_ENKUlT_T0_E_clISt17integral_constantIbLb1EES17_EEDaS12_S13_EUlS12_E_NS1_11comp_targetILNS1_3genE2ELNS1_11target_archE906ELNS1_3gpuE6ELNS1_3repE0EEENS1_30default_config_static_selectorELNS0_4arch9wavefront6targetE0EEEvT1_.num_vgpr, 0
	.set _ZN7rocprim17ROCPRIM_400000_NS6detail17trampoline_kernelINS0_14default_configENS1_25partition_config_selectorILNS1_17partition_subalgoE8EiNS0_10empty_typeEbEEZZNS1_14partition_implILS5_8ELb0ES3_jPKiPS6_PKS6_NS0_5tupleIJPiS6_EEENSE_IJSB_SB_EEENS0_18inequality_wrapperIN6hipcub16HIPCUB_304000_NS8EqualityEEEPlJS6_EEE10hipError_tPvRmT3_T4_T5_T6_T7_T9_mT8_P12ihipStream_tbDpT10_ENKUlT_T0_E_clISt17integral_constantIbLb1EES17_EEDaS12_S13_EUlS12_E_NS1_11comp_targetILNS1_3genE2ELNS1_11target_archE906ELNS1_3gpuE6ELNS1_3repE0EEENS1_30default_config_static_selectorELNS0_4arch9wavefront6targetE0EEEvT1_.num_agpr, 0
	.set _ZN7rocprim17ROCPRIM_400000_NS6detail17trampoline_kernelINS0_14default_configENS1_25partition_config_selectorILNS1_17partition_subalgoE8EiNS0_10empty_typeEbEEZZNS1_14partition_implILS5_8ELb0ES3_jPKiPS6_PKS6_NS0_5tupleIJPiS6_EEENSE_IJSB_SB_EEENS0_18inequality_wrapperIN6hipcub16HIPCUB_304000_NS8EqualityEEEPlJS6_EEE10hipError_tPvRmT3_T4_T5_T6_T7_T9_mT8_P12ihipStream_tbDpT10_ENKUlT_T0_E_clISt17integral_constantIbLb1EES17_EEDaS12_S13_EUlS12_E_NS1_11comp_targetILNS1_3genE2ELNS1_11target_archE906ELNS1_3gpuE6ELNS1_3repE0EEENS1_30default_config_static_selectorELNS0_4arch9wavefront6targetE0EEEvT1_.numbered_sgpr, 0
	.set _ZN7rocprim17ROCPRIM_400000_NS6detail17trampoline_kernelINS0_14default_configENS1_25partition_config_selectorILNS1_17partition_subalgoE8EiNS0_10empty_typeEbEEZZNS1_14partition_implILS5_8ELb0ES3_jPKiPS6_PKS6_NS0_5tupleIJPiS6_EEENSE_IJSB_SB_EEENS0_18inequality_wrapperIN6hipcub16HIPCUB_304000_NS8EqualityEEEPlJS6_EEE10hipError_tPvRmT3_T4_T5_T6_T7_T9_mT8_P12ihipStream_tbDpT10_ENKUlT_T0_E_clISt17integral_constantIbLb1EES17_EEDaS12_S13_EUlS12_E_NS1_11comp_targetILNS1_3genE2ELNS1_11target_archE906ELNS1_3gpuE6ELNS1_3repE0EEENS1_30default_config_static_selectorELNS0_4arch9wavefront6targetE0EEEvT1_.num_named_barrier, 0
	.set _ZN7rocprim17ROCPRIM_400000_NS6detail17trampoline_kernelINS0_14default_configENS1_25partition_config_selectorILNS1_17partition_subalgoE8EiNS0_10empty_typeEbEEZZNS1_14partition_implILS5_8ELb0ES3_jPKiPS6_PKS6_NS0_5tupleIJPiS6_EEENSE_IJSB_SB_EEENS0_18inequality_wrapperIN6hipcub16HIPCUB_304000_NS8EqualityEEEPlJS6_EEE10hipError_tPvRmT3_T4_T5_T6_T7_T9_mT8_P12ihipStream_tbDpT10_ENKUlT_T0_E_clISt17integral_constantIbLb1EES17_EEDaS12_S13_EUlS12_E_NS1_11comp_targetILNS1_3genE2ELNS1_11target_archE906ELNS1_3gpuE6ELNS1_3repE0EEENS1_30default_config_static_selectorELNS0_4arch9wavefront6targetE0EEEvT1_.private_seg_size, 0
	.set _ZN7rocprim17ROCPRIM_400000_NS6detail17trampoline_kernelINS0_14default_configENS1_25partition_config_selectorILNS1_17partition_subalgoE8EiNS0_10empty_typeEbEEZZNS1_14partition_implILS5_8ELb0ES3_jPKiPS6_PKS6_NS0_5tupleIJPiS6_EEENSE_IJSB_SB_EEENS0_18inequality_wrapperIN6hipcub16HIPCUB_304000_NS8EqualityEEEPlJS6_EEE10hipError_tPvRmT3_T4_T5_T6_T7_T9_mT8_P12ihipStream_tbDpT10_ENKUlT_T0_E_clISt17integral_constantIbLb1EES17_EEDaS12_S13_EUlS12_E_NS1_11comp_targetILNS1_3genE2ELNS1_11target_archE906ELNS1_3gpuE6ELNS1_3repE0EEENS1_30default_config_static_selectorELNS0_4arch9wavefront6targetE0EEEvT1_.uses_vcc, 0
	.set _ZN7rocprim17ROCPRIM_400000_NS6detail17trampoline_kernelINS0_14default_configENS1_25partition_config_selectorILNS1_17partition_subalgoE8EiNS0_10empty_typeEbEEZZNS1_14partition_implILS5_8ELb0ES3_jPKiPS6_PKS6_NS0_5tupleIJPiS6_EEENSE_IJSB_SB_EEENS0_18inequality_wrapperIN6hipcub16HIPCUB_304000_NS8EqualityEEEPlJS6_EEE10hipError_tPvRmT3_T4_T5_T6_T7_T9_mT8_P12ihipStream_tbDpT10_ENKUlT_T0_E_clISt17integral_constantIbLb1EES17_EEDaS12_S13_EUlS12_E_NS1_11comp_targetILNS1_3genE2ELNS1_11target_archE906ELNS1_3gpuE6ELNS1_3repE0EEENS1_30default_config_static_selectorELNS0_4arch9wavefront6targetE0EEEvT1_.uses_flat_scratch, 0
	.set _ZN7rocprim17ROCPRIM_400000_NS6detail17trampoline_kernelINS0_14default_configENS1_25partition_config_selectorILNS1_17partition_subalgoE8EiNS0_10empty_typeEbEEZZNS1_14partition_implILS5_8ELb0ES3_jPKiPS6_PKS6_NS0_5tupleIJPiS6_EEENSE_IJSB_SB_EEENS0_18inequality_wrapperIN6hipcub16HIPCUB_304000_NS8EqualityEEEPlJS6_EEE10hipError_tPvRmT3_T4_T5_T6_T7_T9_mT8_P12ihipStream_tbDpT10_ENKUlT_T0_E_clISt17integral_constantIbLb1EES17_EEDaS12_S13_EUlS12_E_NS1_11comp_targetILNS1_3genE2ELNS1_11target_archE906ELNS1_3gpuE6ELNS1_3repE0EEENS1_30default_config_static_selectorELNS0_4arch9wavefront6targetE0EEEvT1_.has_dyn_sized_stack, 0
	.set _ZN7rocprim17ROCPRIM_400000_NS6detail17trampoline_kernelINS0_14default_configENS1_25partition_config_selectorILNS1_17partition_subalgoE8EiNS0_10empty_typeEbEEZZNS1_14partition_implILS5_8ELb0ES3_jPKiPS6_PKS6_NS0_5tupleIJPiS6_EEENSE_IJSB_SB_EEENS0_18inequality_wrapperIN6hipcub16HIPCUB_304000_NS8EqualityEEEPlJS6_EEE10hipError_tPvRmT3_T4_T5_T6_T7_T9_mT8_P12ihipStream_tbDpT10_ENKUlT_T0_E_clISt17integral_constantIbLb1EES17_EEDaS12_S13_EUlS12_E_NS1_11comp_targetILNS1_3genE2ELNS1_11target_archE906ELNS1_3gpuE6ELNS1_3repE0EEENS1_30default_config_static_selectorELNS0_4arch9wavefront6targetE0EEEvT1_.has_recursion, 0
	.set _ZN7rocprim17ROCPRIM_400000_NS6detail17trampoline_kernelINS0_14default_configENS1_25partition_config_selectorILNS1_17partition_subalgoE8EiNS0_10empty_typeEbEEZZNS1_14partition_implILS5_8ELb0ES3_jPKiPS6_PKS6_NS0_5tupleIJPiS6_EEENSE_IJSB_SB_EEENS0_18inequality_wrapperIN6hipcub16HIPCUB_304000_NS8EqualityEEEPlJS6_EEE10hipError_tPvRmT3_T4_T5_T6_T7_T9_mT8_P12ihipStream_tbDpT10_ENKUlT_T0_E_clISt17integral_constantIbLb1EES17_EEDaS12_S13_EUlS12_E_NS1_11comp_targetILNS1_3genE2ELNS1_11target_archE906ELNS1_3gpuE6ELNS1_3repE0EEENS1_30default_config_static_selectorELNS0_4arch9wavefront6targetE0EEEvT1_.has_indirect_call, 0
	.section	.AMDGPU.csdata,"",@progbits
; Kernel info:
; codeLenInByte = 0
; TotalNumSgprs: 0
; NumVgprs: 0
; ScratchSize: 0
; MemoryBound: 0
; FloatMode: 240
; IeeeMode: 1
; LDSByteSize: 0 bytes/workgroup (compile time only)
; SGPRBlocks: 0
; VGPRBlocks: 0
; NumSGPRsForWavesPerEU: 1
; NumVGPRsForWavesPerEU: 1
; NamedBarCnt: 0
; Occupancy: 16
; WaveLimiterHint : 0
; COMPUTE_PGM_RSRC2:SCRATCH_EN: 0
; COMPUTE_PGM_RSRC2:USER_SGPR: 2
; COMPUTE_PGM_RSRC2:TRAP_HANDLER: 0
; COMPUTE_PGM_RSRC2:TGID_X_EN: 1
; COMPUTE_PGM_RSRC2:TGID_Y_EN: 0
; COMPUTE_PGM_RSRC2:TGID_Z_EN: 0
; COMPUTE_PGM_RSRC2:TIDIG_COMP_CNT: 0
	.section	.text._ZN7rocprim17ROCPRIM_400000_NS6detail17trampoline_kernelINS0_14default_configENS1_25partition_config_selectorILNS1_17partition_subalgoE8EiNS0_10empty_typeEbEEZZNS1_14partition_implILS5_8ELb0ES3_jPKiPS6_PKS6_NS0_5tupleIJPiS6_EEENSE_IJSB_SB_EEENS0_18inequality_wrapperIN6hipcub16HIPCUB_304000_NS8EqualityEEEPlJS6_EEE10hipError_tPvRmT3_T4_T5_T6_T7_T9_mT8_P12ihipStream_tbDpT10_ENKUlT_T0_E_clISt17integral_constantIbLb1EES17_EEDaS12_S13_EUlS12_E_NS1_11comp_targetILNS1_3genE10ELNS1_11target_archE1200ELNS1_3gpuE4ELNS1_3repE0EEENS1_30default_config_static_selectorELNS0_4arch9wavefront6targetE0EEEvT1_,"axG",@progbits,_ZN7rocprim17ROCPRIM_400000_NS6detail17trampoline_kernelINS0_14default_configENS1_25partition_config_selectorILNS1_17partition_subalgoE8EiNS0_10empty_typeEbEEZZNS1_14partition_implILS5_8ELb0ES3_jPKiPS6_PKS6_NS0_5tupleIJPiS6_EEENSE_IJSB_SB_EEENS0_18inequality_wrapperIN6hipcub16HIPCUB_304000_NS8EqualityEEEPlJS6_EEE10hipError_tPvRmT3_T4_T5_T6_T7_T9_mT8_P12ihipStream_tbDpT10_ENKUlT_T0_E_clISt17integral_constantIbLb1EES17_EEDaS12_S13_EUlS12_E_NS1_11comp_targetILNS1_3genE10ELNS1_11target_archE1200ELNS1_3gpuE4ELNS1_3repE0EEENS1_30default_config_static_selectorELNS0_4arch9wavefront6targetE0EEEvT1_,comdat
	.protected	_ZN7rocprim17ROCPRIM_400000_NS6detail17trampoline_kernelINS0_14default_configENS1_25partition_config_selectorILNS1_17partition_subalgoE8EiNS0_10empty_typeEbEEZZNS1_14partition_implILS5_8ELb0ES3_jPKiPS6_PKS6_NS0_5tupleIJPiS6_EEENSE_IJSB_SB_EEENS0_18inequality_wrapperIN6hipcub16HIPCUB_304000_NS8EqualityEEEPlJS6_EEE10hipError_tPvRmT3_T4_T5_T6_T7_T9_mT8_P12ihipStream_tbDpT10_ENKUlT_T0_E_clISt17integral_constantIbLb1EES17_EEDaS12_S13_EUlS12_E_NS1_11comp_targetILNS1_3genE10ELNS1_11target_archE1200ELNS1_3gpuE4ELNS1_3repE0EEENS1_30default_config_static_selectorELNS0_4arch9wavefront6targetE0EEEvT1_ ; -- Begin function _ZN7rocprim17ROCPRIM_400000_NS6detail17trampoline_kernelINS0_14default_configENS1_25partition_config_selectorILNS1_17partition_subalgoE8EiNS0_10empty_typeEbEEZZNS1_14partition_implILS5_8ELb0ES3_jPKiPS6_PKS6_NS0_5tupleIJPiS6_EEENSE_IJSB_SB_EEENS0_18inequality_wrapperIN6hipcub16HIPCUB_304000_NS8EqualityEEEPlJS6_EEE10hipError_tPvRmT3_T4_T5_T6_T7_T9_mT8_P12ihipStream_tbDpT10_ENKUlT_T0_E_clISt17integral_constantIbLb1EES17_EEDaS12_S13_EUlS12_E_NS1_11comp_targetILNS1_3genE10ELNS1_11target_archE1200ELNS1_3gpuE4ELNS1_3repE0EEENS1_30default_config_static_selectorELNS0_4arch9wavefront6targetE0EEEvT1_
	.globl	_ZN7rocprim17ROCPRIM_400000_NS6detail17trampoline_kernelINS0_14default_configENS1_25partition_config_selectorILNS1_17partition_subalgoE8EiNS0_10empty_typeEbEEZZNS1_14partition_implILS5_8ELb0ES3_jPKiPS6_PKS6_NS0_5tupleIJPiS6_EEENSE_IJSB_SB_EEENS0_18inequality_wrapperIN6hipcub16HIPCUB_304000_NS8EqualityEEEPlJS6_EEE10hipError_tPvRmT3_T4_T5_T6_T7_T9_mT8_P12ihipStream_tbDpT10_ENKUlT_T0_E_clISt17integral_constantIbLb1EES17_EEDaS12_S13_EUlS12_E_NS1_11comp_targetILNS1_3genE10ELNS1_11target_archE1200ELNS1_3gpuE4ELNS1_3repE0EEENS1_30default_config_static_selectorELNS0_4arch9wavefront6targetE0EEEvT1_
	.p2align	8
	.type	_ZN7rocprim17ROCPRIM_400000_NS6detail17trampoline_kernelINS0_14default_configENS1_25partition_config_selectorILNS1_17partition_subalgoE8EiNS0_10empty_typeEbEEZZNS1_14partition_implILS5_8ELb0ES3_jPKiPS6_PKS6_NS0_5tupleIJPiS6_EEENSE_IJSB_SB_EEENS0_18inequality_wrapperIN6hipcub16HIPCUB_304000_NS8EqualityEEEPlJS6_EEE10hipError_tPvRmT3_T4_T5_T6_T7_T9_mT8_P12ihipStream_tbDpT10_ENKUlT_T0_E_clISt17integral_constantIbLb1EES17_EEDaS12_S13_EUlS12_E_NS1_11comp_targetILNS1_3genE10ELNS1_11target_archE1200ELNS1_3gpuE4ELNS1_3repE0EEENS1_30default_config_static_selectorELNS0_4arch9wavefront6targetE0EEEvT1_,@function
_ZN7rocprim17ROCPRIM_400000_NS6detail17trampoline_kernelINS0_14default_configENS1_25partition_config_selectorILNS1_17partition_subalgoE8EiNS0_10empty_typeEbEEZZNS1_14partition_implILS5_8ELb0ES3_jPKiPS6_PKS6_NS0_5tupleIJPiS6_EEENSE_IJSB_SB_EEENS0_18inequality_wrapperIN6hipcub16HIPCUB_304000_NS8EqualityEEEPlJS6_EEE10hipError_tPvRmT3_T4_T5_T6_T7_T9_mT8_P12ihipStream_tbDpT10_ENKUlT_T0_E_clISt17integral_constantIbLb1EES17_EEDaS12_S13_EUlS12_E_NS1_11comp_targetILNS1_3genE10ELNS1_11target_archE1200ELNS1_3gpuE4ELNS1_3repE0EEENS1_30default_config_static_selectorELNS0_4arch9wavefront6targetE0EEEvT1_: ; @_ZN7rocprim17ROCPRIM_400000_NS6detail17trampoline_kernelINS0_14default_configENS1_25partition_config_selectorILNS1_17partition_subalgoE8EiNS0_10empty_typeEbEEZZNS1_14partition_implILS5_8ELb0ES3_jPKiPS6_PKS6_NS0_5tupleIJPiS6_EEENSE_IJSB_SB_EEENS0_18inequality_wrapperIN6hipcub16HIPCUB_304000_NS8EqualityEEEPlJS6_EEE10hipError_tPvRmT3_T4_T5_T6_T7_T9_mT8_P12ihipStream_tbDpT10_ENKUlT_T0_E_clISt17integral_constantIbLb1EES17_EEDaS12_S13_EUlS12_E_NS1_11comp_targetILNS1_3genE10ELNS1_11target_archE1200ELNS1_3gpuE4ELNS1_3repE0EEENS1_30default_config_static_selectorELNS0_4arch9wavefront6targetE0EEEvT1_
; %bb.0:
	.section	.rodata,"a",@progbits
	.p2align	6, 0x0
	.amdhsa_kernel _ZN7rocprim17ROCPRIM_400000_NS6detail17trampoline_kernelINS0_14default_configENS1_25partition_config_selectorILNS1_17partition_subalgoE8EiNS0_10empty_typeEbEEZZNS1_14partition_implILS5_8ELb0ES3_jPKiPS6_PKS6_NS0_5tupleIJPiS6_EEENSE_IJSB_SB_EEENS0_18inequality_wrapperIN6hipcub16HIPCUB_304000_NS8EqualityEEEPlJS6_EEE10hipError_tPvRmT3_T4_T5_T6_T7_T9_mT8_P12ihipStream_tbDpT10_ENKUlT_T0_E_clISt17integral_constantIbLb1EES17_EEDaS12_S13_EUlS12_E_NS1_11comp_targetILNS1_3genE10ELNS1_11target_archE1200ELNS1_3gpuE4ELNS1_3repE0EEENS1_30default_config_static_selectorELNS0_4arch9wavefront6targetE0EEEvT1_
		.amdhsa_group_segment_fixed_size 0
		.amdhsa_private_segment_fixed_size 0
		.amdhsa_kernarg_size 128
		.amdhsa_user_sgpr_count 2
		.amdhsa_user_sgpr_dispatch_ptr 0
		.amdhsa_user_sgpr_queue_ptr 0
		.amdhsa_user_sgpr_kernarg_segment_ptr 1
		.amdhsa_user_sgpr_dispatch_id 0
		.amdhsa_user_sgpr_kernarg_preload_length 0
		.amdhsa_user_sgpr_kernarg_preload_offset 0
		.amdhsa_user_sgpr_private_segment_size 0
		.amdhsa_wavefront_size32 1
		.amdhsa_uses_dynamic_stack 0
		.amdhsa_enable_private_segment 0
		.amdhsa_system_sgpr_workgroup_id_x 1
		.amdhsa_system_sgpr_workgroup_id_y 0
		.amdhsa_system_sgpr_workgroup_id_z 0
		.amdhsa_system_sgpr_workgroup_info 0
		.amdhsa_system_vgpr_workitem_id 0
		.amdhsa_next_free_vgpr 1
		.amdhsa_next_free_sgpr 1
		.amdhsa_named_barrier_count 0
		.amdhsa_reserve_vcc 0
		.amdhsa_float_round_mode_32 0
		.amdhsa_float_round_mode_16_64 0
		.amdhsa_float_denorm_mode_32 3
		.amdhsa_float_denorm_mode_16_64 3
		.amdhsa_fp16_overflow 0
		.amdhsa_memory_ordered 1
		.amdhsa_forward_progress 1
		.amdhsa_inst_pref_size 0
		.amdhsa_round_robin_scheduling 0
		.amdhsa_exception_fp_ieee_invalid_op 0
		.amdhsa_exception_fp_denorm_src 0
		.amdhsa_exception_fp_ieee_div_zero 0
		.amdhsa_exception_fp_ieee_overflow 0
		.amdhsa_exception_fp_ieee_underflow 0
		.amdhsa_exception_fp_ieee_inexact 0
		.amdhsa_exception_int_div_zero 0
	.end_amdhsa_kernel
	.section	.text._ZN7rocprim17ROCPRIM_400000_NS6detail17trampoline_kernelINS0_14default_configENS1_25partition_config_selectorILNS1_17partition_subalgoE8EiNS0_10empty_typeEbEEZZNS1_14partition_implILS5_8ELb0ES3_jPKiPS6_PKS6_NS0_5tupleIJPiS6_EEENSE_IJSB_SB_EEENS0_18inequality_wrapperIN6hipcub16HIPCUB_304000_NS8EqualityEEEPlJS6_EEE10hipError_tPvRmT3_T4_T5_T6_T7_T9_mT8_P12ihipStream_tbDpT10_ENKUlT_T0_E_clISt17integral_constantIbLb1EES17_EEDaS12_S13_EUlS12_E_NS1_11comp_targetILNS1_3genE10ELNS1_11target_archE1200ELNS1_3gpuE4ELNS1_3repE0EEENS1_30default_config_static_selectorELNS0_4arch9wavefront6targetE0EEEvT1_,"axG",@progbits,_ZN7rocprim17ROCPRIM_400000_NS6detail17trampoline_kernelINS0_14default_configENS1_25partition_config_selectorILNS1_17partition_subalgoE8EiNS0_10empty_typeEbEEZZNS1_14partition_implILS5_8ELb0ES3_jPKiPS6_PKS6_NS0_5tupleIJPiS6_EEENSE_IJSB_SB_EEENS0_18inequality_wrapperIN6hipcub16HIPCUB_304000_NS8EqualityEEEPlJS6_EEE10hipError_tPvRmT3_T4_T5_T6_T7_T9_mT8_P12ihipStream_tbDpT10_ENKUlT_T0_E_clISt17integral_constantIbLb1EES17_EEDaS12_S13_EUlS12_E_NS1_11comp_targetILNS1_3genE10ELNS1_11target_archE1200ELNS1_3gpuE4ELNS1_3repE0EEENS1_30default_config_static_selectorELNS0_4arch9wavefront6targetE0EEEvT1_,comdat
.Lfunc_end200:
	.size	_ZN7rocprim17ROCPRIM_400000_NS6detail17trampoline_kernelINS0_14default_configENS1_25partition_config_selectorILNS1_17partition_subalgoE8EiNS0_10empty_typeEbEEZZNS1_14partition_implILS5_8ELb0ES3_jPKiPS6_PKS6_NS0_5tupleIJPiS6_EEENSE_IJSB_SB_EEENS0_18inequality_wrapperIN6hipcub16HIPCUB_304000_NS8EqualityEEEPlJS6_EEE10hipError_tPvRmT3_T4_T5_T6_T7_T9_mT8_P12ihipStream_tbDpT10_ENKUlT_T0_E_clISt17integral_constantIbLb1EES17_EEDaS12_S13_EUlS12_E_NS1_11comp_targetILNS1_3genE10ELNS1_11target_archE1200ELNS1_3gpuE4ELNS1_3repE0EEENS1_30default_config_static_selectorELNS0_4arch9wavefront6targetE0EEEvT1_, .Lfunc_end200-_ZN7rocprim17ROCPRIM_400000_NS6detail17trampoline_kernelINS0_14default_configENS1_25partition_config_selectorILNS1_17partition_subalgoE8EiNS0_10empty_typeEbEEZZNS1_14partition_implILS5_8ELb0ES3_jPKiPS6_PKS6_NS0_5tupleIJPiS6_EEENSE_IJSB_SB_EEENS0_18inequality_wrapperIN6hipcub16HIPCUB_304000_NS8EqualityEEEPlJS6_EEE10hipError_tPvRmT3_T4_T5_T6_T7_T9_mT8_P12ihipStream_tbDpT10_ENKUlT_T0_E_clISt17integral_constantIbLb1EES17_EEDaS12_S13_EUlS12_E_NS1_11comp_targetILNS1_3genE10ELNS1_11target_archE1200ELNS1_3gpuE4ELNS1_3repE0EEENS1_30default_config_static_selectorELNS0_4arch9wavefront6targetE0EEEvT1_
                                        ; -- End function
	.set _ZN7rocprim17ROCPRIM_400000_NS6detail17trampoline_kernelINS0_14default_configENS1_25partition_config_selectorILNS1_17partition_subalgoE8EiNS0_10empty_typeEbEEZZNS1_14partition_implILS5_8ELb0ES3_jPKiPS6_PKS6_NS0_5tupleIJPiS6_EEENSE_IJSB_SB_EEENS0_18inequality_wrapperIN6hipcub16HIPCUB_304000_NS8EqualityEEEPlJS6_EEE10hipError_tPvRmT3_T4_T5_T6_T7_T9_mT8_P12ihipStream_tbDpT10_ENKUlT_T0_E_clISt17integral_constantIbLb1EES17_EEDaS12_S13_EUlS12_E_NS1_11comp_targetILNS1_3genE10ELNS1_11target_archE1200ELNS1_3gpuE4ELNS1_3repE0EEENS1_30default_config_static_selectorELNS0_4arch9wavefront6targetE0EEEvT1_.num_vgpr, 0
	.set _ZN7rocprim17ROCPRIM_400000_NS6detail17trampoline_kernelINS0_14default_configENS1_25partition_config_selectorILNS1_17partition_subalgoE8EiNS0_10empty_typeEbEEZZNS1_14partition_implILS5_8ELb0ES3_jPKiPS6_PKS6_NS0_5tupleIJPiS6_EEENSE_IJSB_SB_EEENS0_18inequality_wrapperIN6hipcub16HIPCUB_304000_NS8EqualityEEEPlJS6_EEE10hipError_tPvRmT3_T4_T5_T6_T7_T9_mT8_P12ihipStream_tbDpT10_ENKUlT_T0_E_clISt17integral_constantIbLb1EES17_EEDaS12_S13_EUlS12_E_NS1_11comp_targetILNS1_3genE10ELNS1_11target_archE1200ELNS1_3gpuE4ELNS1_3repE0EEENS1_30default_config_static_selectorELNS0_4arch9wavefront6targetE0EEEvT1_.num_agpr, 0
	.set _ZN7rocprim17ROCPRIM_400000_NS6detail17trampoline_kernelINS0_14default_configENS1_25partition_config_selectorILNS1_17partition_subalgoE8EiNS0_10empty_typeEbEEZZNS1_14partition_implILS5_8ELb0ES3_jPKiPS6_PKS6_NS0_5tupleIJPiS6_EEENSE_IJSB_SB_EEENS0_18inequality_wrapperIN6hipcub16HIPCUB_304000_NS8EqualityEEEPlJS6_EEE10hipError_tPvRmT3_T4_T5_T6_T7_T9_mT8_P12ihipStream_tbDpT10_ENKUlT_T0_E_clISt17integral_constantIbLb1EES17_EEDaS12_S13_EUlS12_E_NS1_11comp_targetILNS1_3genE10ELNS1_11target_archE1200ELNS1_3gpuE4ELNS1_3repE0EEENS1_30default_config_static_selectorELNS0_4arch9wavefront6targetE0EEEvT1_.numbered_sgpr, 0
	.set _ZN7rocprim17ROCPRIM_400000_NS6detail17trampoline_kernelINS0_14default_configENS1_25partition_config_selectorILNS1_17partition_subalgoE8EiNS0_10empty_typeEbEEZZNS1_14partition_implILS5_8ELb0ES3_jPKiPS6_PKS6_NS0_5tupleIJPiS6_EEENSE_IJSB_SB_EEENS0_18inequality_wrapperIN6hipcub16HIPCUB_304000_NS8EqualityEEEPlJS6_EEE10hipError_tPvRmT3_T4_T5_T6_T7_T9_mT8_P12ihipStream_tbDpT10_ENKUlT_T0_E_clISt17integral_constantIbLb1EES17_EEDaS12_S13_EUlS12_E_NS1_11comp_targetILNS1_3genE10ELNS1_11target_archE1200ELNS1_3gpuE4ELNS1_3repE0EEENS1_30default_config_static_selectorELNS0_4arch9wavefront6targetE0EEEvT1_.num_named_barrier, 0
	.set _ZN7rocprim17ROCPRIM_400000_NS6detail17trampoline_kernelINS0_14default_configENS1_25partition_config_selectorILNS1_17partition_subalgoE8EiNS0_10empty_typeEbEEZZNS1_14partition_implILS5_8ELb0ES3_jPKiPS6_PKS6_NS0_5tupleIJPiS6_EEENSE_IJSB_SB_EEENS0_18inequality_wrapperIN6hipcub16HIPCUB_304000_NS8EqualityEEEPlJS6_EEE10hipError_tPvRmT3_T4_T5_T6_T7_T9_mT8_P12ihipStream_tbDpT10_ENKUlT_T0_E_clISt17integral_constantIbLb1EES17_EEDaS12_S13_EUlS12_E_NS1_11comp_targetILNS1_3genE10ELNS1_11target_archE1200ELNS1_3gpuE4ELNS1_3repE0EEENS1_30default_config_static_selectorELNS0_4arch9wavefront6targetE0EEEvT1_.private_seg_size, 0
	.set _ZN7rocprim17ROCPRIM_400000_NS6detail17trampoline_kernelINS0_14default_configENS1_25partition_config_selectorILNS1_17partition_subalgoE8EiNS0_10empty_typeEbEEZZNS1_14partition_implILS5_8ELb0ES3_jPKiPS6_PKS6_NS0_5tupleIJPiS6_EEENSE_IJSB_SB_EEENS0_18inequality_wrapperIN6hipcub16HIPCUB_304000_NS8EqualityEEEPlJS6_EEE10hipError_tPvRmT3_T4_T5_T6_T7_T9_mT8_P12ihipStream_tbDpT10_ENKUlT_T0_E_clISt17integral_constantIbLb1EES17_EEDaS12_S13_EUlS12_E_NS1_11comp_targetILNS1_3genE10ELNS1_11target_archE1200ELNS1_3gpuE4ELNS1_3repE0EEENS1_30default_config_static_selectorELNS0_4arch9wavefront6targetE0EEEvT1_.uses_vcc, 0
	.set _ZN7rocprim17ROCPRIM_400000_NS6detail17trampoline_kernelINS0_14default_configENS1_25partition_config_selectorILNS1_17partition_subalgoE8EiNS0_10empty_typeEbEEZZNS1_14partition_implILS5_8ELb0ES3_jPKiPS6_PKS6_NS0_5tupleIJPiS6_EEENSE_IJSB_SB_EEENS0_18inequality_wrapperIN6hipcub16HIPCUB_304000_NS8EqualityEEEPlJS6_EEE10hipError_tPvRmT3_T4_T5_T6_T7_T9_mT8_P12ihipStream_tbDpT10_ENKUlT_T0_E_clISt17integral_constantIbLb1EES17_EEDaS12_S13_EUlS12_E_NS1_11comp_targetILNS1_3genE10ELNS1_11target_archE1200ELNS1_3gpuE4ELNS1_3repE0EEENS1_30default_config_static_selectorELNS0_4arch9wavefront6targetE0EEEvT1_.uses_flat_scratch, 0
	.set _ZN7rocprim17ROCPRIM_400000_NS6detail17trampoline_kernelINS0_14default_configENS1_25partition_config_selectorILNS1_17partition_subalgoE8EiNS0_10empty_typeEbEEZZNS1_14partition_implILS5_8ELb0ES3_jPKiPS6_PKS6_NS0_5tupleIJPiS6_EEENSE_IJSB_SB_EEENS0_18inequality_wrapperIN6hipcub16HIPCUB_304000_NS8EqualityEEEPlJS6_EEE10hipError_tPvRmT3_T4_T5_T6_T7_T9_mT8_P12ihipStream_tbDpT10_ENKUlT_T0_E_clISt17integral_constantIbLb1EES17_EEDaS12_S13_EUlS12_E_NS1_11comp_targetILNS1_3genE10ELNS1_11target_archE1200ELNS1_3gpuE4ELNS1_3repE0EEENS1_30default_config_static_selectorELNS0_4arch9wavefront6targetE0EEEvT1_.has_dyn_sized_stack, 0
	.set _ZN7rocprim17ROCPRIM_400000_NS6detail17trampoline_kernelINS0_14default_configENS1_25partition_config_selectorILNS1_17partition_subalgoE8EiNS0_10empty_typeEbEEZZNS1_14partition_implILS5_8ELb0ES3_jPKiPS6_PKS6_NS0_5tupleIJPiS6_EEENSE_IJSB_SB_EEENS0_18inequality_wrapperIN6hipcub16HIPCUB_304000_NS8EqualityEEEPlJS6_EEE10hipError_tPvRmT3_T4_T5_T6_T7_T9_mT8_P12ihipStream_tbDpT10_ENKUlT_T0_E_clISt17integral_constantIbLb1EES17_EEDaS12_S13_EUlS12_E_NS1_11comp_targetILNS1_3genE10ELNS1_11target_archE1200ELNS1_3gpuE4ELNS1_3repE0EEENS1_30default_config_static_selectorELNS0_4arch9wavefront6targetE0EEEvT1_.has_recursion, 0
	.set _ZN7rocprim17ROCPRIM_400000_NS6detail17trampoline_kernelINS0_14default_configENS1_25partition_config_selectorILNS1_17partition_subalgoE8EiNS0_10empty_typeEbEEZZNS1_14partition_implILS5_8ELb0ES3_jPKiPS6_PKS6_NS0_5tupleIJPiS6_EEENSE_IJSB_SB_EEENS0_18inequality_wrapperIN6hipcub16HIPCUB_304000_NS8EqualityEEEPlJS6_EEE10hipError_tPvRmT3_T4_T5_T6_T7_T9_mT8_P12ihipStream_tbDpT10_ENKUlT_T0_E_clISt17integral_constantIbLb1EES17_EEDaS12_S13_EUlS12_E_NS1_11comp_targetILNS1_3genE10ELNS1_11target_archE1200ELNS1_3gpuE4ELNS1_3repE0EEENS1_30default_config_static_selectorELNS0_4arch9wavefront6targetE0EEEvT1_.has_indirect_call, 0
	.section	.AMDGPU.csdata,"",@progbits
; Kernel info:
; codeLenInByte = 0
; TotalNumSgprs: 0
; NumVgprs: 0
; ScratchSize: 0
; MemoryBound: 0
; FloatMode: 240
; IeeeMode: 1
; LDSByteSize: 0 bytes/workgroup (compile time only)
; SGPRBlocks: 0
; VGPRBlocks: 0
; NumSGPRsForWavesPerEU: 1
; NumVGPRsForWavesPerEU: 1
; NamedBarCnt: 0
; Occupancy: 16
; WaveLimiterHint : 0
; COMPUTE_PGM_RSRC2:SCRATCH_EN: 0
; COMPUTE_PGM_RSRC2:USER_SGPR: 2
; COMPUTE_PGM_RSRC2:TRAP_HANDLER: 0
; COMPUTE_PGM_RSRC2:TGID_X_EN: 1
; COMPUTE_PGM_RSRC2:TGID_Y_EN: 0
; COMPUTE_PGM_RSRC2:TGID_Z_EN: 0
; COMPUTE_PGM_RSRC2:TIDIG_COMP_CNT: 0
	.section	.text._ZN7rocprim17ROCPRIM_400000_NS6detail17trampoline_kernelINS0_14default_configENS1_25partition_config_selectorILNS1_17partition_subalgoE8EiNS0_10empty_typeEbEEZZNS1_14partition_implILS5_8ELb0ES3_jPKiPS6_PKS6_NS0_5tupleIJPiS6_EEENSE_IJSB_SB_EEENS0_18inequality_wrapperIN6hipcub16HIPCUB_304000_NS8EqualityEEEPlJS6_EEE10hipError_tPvRmT3_T4_T5_T6_T7_T9_mT8_P12ihipStream_tbDpT10_ENKUlT_T0_E_clISt17integral_constantIbLb1EES17_EEDaS12_S13_EUlS12_E_NS1_11comp_targetILNS1_3genE9ELNS1_11target_archE1100ELNS1_3gpuE3ELNS1_3repE0EEENS1_30default_config_static_selectorELNS0_4arch9wavefront6targetE0EEEvT1_,"axG",@progbits,_ZN7rocprim17ROCPRIM_400000_NS6detail17trampoline_kernelINS0_14default_configENS1_25partition_config_selectorILNS1_17partition_subalgoE8EiNS0_10empty_typeEbEEZZNS1_14partition_implILS5_8ELb0ES3_jPKiPS6_PKS6_NS0_5tupleIJPiS6_EEENSE_IJSB_SB_EEENS0_18inequality_wrapperIN6hipcub16HIPCUB_304000_NS8EqualityEEEPlJS6_EEE10hipError_tPvRmT3_T4_T5_T6_T7_T9_mT8_P12ihipStream_tbDpT10_ENKUlT_T0_E_clISt17integral_constantIbLb1EES17_EEDaS12_S13_EUlS12_E_NS1_11comp_targetILNS1_3genE9ELNS1_11target_archE1100ELNS1_3gpuE3ELNS1_3repE0EEENS1_30default_config_static_selectorELNS0_4arch9wavefront6targetE0EEEvT1_,comdat
	.protected	_ZN7rocprim17ROCPRIM_400000_NS6detail17trampoline_kernelINS0_14default_configENS1_25partition_config_selectorILNS1_17partition_subalgoE8EiNS0_10empty_typeEbEEZZNS1_14partition_implILS5_8ELb0ES3_jPKiPS6_PKS6_NS0_5tupleIJPiS6_EEENSE_IJSB_SB_EEENS0_18inequality_wrapperIN6hipcub16HIPCUB_304000_NS8EqualityEEEPlJS6_EEE10hipError_tPvRmT3_T4_T5_T6_T7_T9_mT8_P12ihipStream_tbDpT10_ENKUlT_T0_E_clISt17integral_constantIbLb1EES17_EEDaS12_S13_EUlS12_E_NS1_11comp_targetILNS1_3genE9ELNS1_11target_archE1100ELNS1_3gpuE3ELNS1_3repE0EEENS1_30default_config_static_selectorELNS0_4arch9wavefront6targetE0EEEvT1_ ; -- Begin function _ZN7rocprim17ROCPRIM_400000_NS6detail17trampoline_kernelINS0_14default_configENS1_25partition_config_selectorILNS1_17partition_subalgoE8EiNS0_10empty_typeEbEEZZNS1_14partition_implILS5_8ELb0ES3_jPKiPS6_PKS6_NS0_5tupleIJPiS6_EEENSE_IJSB_SB_EEENS0_18inequality_wrapperIN6hipcub16HIPCUB_304000_NS8EqualityEEEPlJS6_EEE10hipError_tPvRmT3_T4_T5_T6_T7_T9_mT8_P12ihipStream_tbDpT10_ENKUlT_T0_E_clISt17integral_constantIbLb1EES17_EEDaS12_S13_EUlS12_E_NS1_11comp_targetILNS1_3genE9ELNS1_11target_archE1100ELNS1_3gpuE3ELNS1_3repE0EEENS1_30default_config_static_selectorELNS0_4arch9wavefront6targetE0EEEvT1_
	.globl	_ZN7rocprim17ROCPRIM_400000_NS6detail17trampoline_kernelINS0_14default_configENS1_25partition_config_selectorILNS1_17partition_subalgoE8EiNS0_10empty_typeEbEEZZNS1_14partition_implILS5_8ELb0ES3_jPKiPS6_PKS6_NS0_5tupleIJPiS6_EEENSE_IJSB_SB_EEENS0_18inequality_wrapperIN6hipcub16HIPCUB_304000_NS8EqualityEEEPlJS6_EEE10hipError_tPvRmT3_T4_T5_T6_T7_T9_mT8_P12ihipStream_tbDpT10_ENKUlT_T0_E_clISt17integral_constantIbLb1EES17_EEDaS12_S13_EUlS12_E_NS1_11comp_targetILNS1_3genE9ELNS1_11target_archE1100ELNS1_3gpuE3ELNS1_3repE0EEENS1_30default_config_static_selectorELNS0_4arch9wavefront6targetE0EEEvT1_
	.p2align	8
	.type	_ZN7rocprim17ROCPRIM_400000_NS6detail17trampoline_kernelINS0_14default_configENS1_25partition_config_selectorILNS1_17partition_subalgoE8EiNS0_10empty_typeEbEEZZNS1_14partition_implILS5_8ELb0ES3_jPKiPS6_PKS6_NS0_5tupleIJPiS6_EEENSE_IJSB_SB_EEENS0_18inequality_wrapperIN6hipcub16HIPCUB_304000_NS8EqualityEEEPlJS6_EEE10hipError_tPvRmT3_T4_T5_T6_T7_T9_mT8_P12ihipStream_tbDpT10_ENKUlT_T0_E_clISt17integral_constantIbLb1EES17_EEDaS12_S13_EUlS12_E_NS1_11comp_targetILNS1_3genE9ELNS1_11target_archE1100ELNS1_3gpuE3ELNS1_3repE0EEENS1_30default_config_static_selectorELNS0_4arch9wavefront6targetE0EEEvT1_,@function
_ZN7rocprim17ROCPRIM_400000_NS6detail17trampoline_kernelINS0_14default_configENS1_25partition_config_selectorILNS1_17partition_subalgoE8EiNS0_10empty_typeEbEEZZNS1_14partition_implILS5_8ELb0ES3_jPKiPS6_PKS6_NS0_5tupleIJPiS6_EEENSE_IJSB_SB_EEENS0_18inequality_wrapperIN6hipcub16HIPCUB_304000_NS8EqualityEEEPlJS6_EEE10hipError_tPvRmT3_T4_T5_T6_T7_T9_mT8_P12ihipStream_tbDpT10_ENKUlT_T0_E_clISt17integral_constantIbLb1EES17_EEDaS12_S13_EUlS12_E_NS1_11comp_targetILNS1_3genE9ELNS1_11target_archE1100ELNS1_3gpuE3ELNS1_3repE0EEENS1_30default_config_static_selectorELNS0_4arch9wavefront6targetE0EEEvT1_: ; @_ZN7rocprim17ROCPRIM_400000_NS6detail17trampoline_kernelINS0_14default_configENS1_25partition_config_selectorILNS1_17partition_subalgoE8EiNS0_10empty_typeEbEEZZNS1_14partition_implILS5_8ELb0ES3_jPKiPS6_PKS6_NS0_5tupleIJPiS6_EEENSE_IJSB_SB_EEENS0_18inequality_wrapperIN6hipcub16HIPCUB_304000_NS8EqualityEEEPlJS6_EEE10hipError_tPvRmT3_T4_T5_T6_T7_T9_mT8_P12ihipStream_tbDpT10_ENKUlT_T0_E_clISt17integral_constantIbLb1EES17_EEDaS12_S13_EUlS12_E_NS1_11comp_targetILNS1_3genE9ELNS1_11target_archE1100ELNS1_3gpuE3ELNS1_3repE0EEENS1_30default_config_static_selectorELNS0_4arch9wavefront6targetE0EEEvT1_
; %bb.0:
	.section	.rodata,"a",@progbits
	.p2align	6, 0x0
	.amdhsa_kernel _ZN7rocprim17ROCPRIM_400000_NS6detail17trampoline_kernelINS0_14default_configENS1_25partition_config_selectorILNS1_17partition_subalgoE8EiNS0_10empty_typeEbEEZZNS1_14partition_implILS5_8ELb0ES3_jPKiPS6_PKS6_NS0_5tupleIJPiS6_EEENSE_IJSB_SB_EEENS0_18inequality_wrapperIN6hipcub16HIPCUB_304000_NS8EqualityEEEPlJS6_EEE10hipError_tPvRmT3_T4_T5_T6_T7_T9_mT8_P12ihipStream_tbDpT10_ENKUlT_T0_E_clISt17integral_constantIbLb1EES17_EEDaS12_S13_EUlS12_E_NS1_11comp_targetILNS1_3genE9ELNS1_11target_archE1100ELNS1_3gpuE3ELNS1_3repE0EEENS1_30default_config_static_selectorELNS0_4arch9wavefront6targetE0EEEvT1_
		.amdhsa_group_segment_fixed_size 0
		.amdhsa_private_segment_fixed_size 0
		.amdhsa_kernarg_size 128
		.amdhsa_user_sgpr_count 2
		.amdhsa_user_sgpr_dispatch_ptr 0
		.amdhsa_user_sgpr_queue_ptr 0
		.amdhsa_user_sgpr_kernarg_segment_ptr 1
		.amdhsa_user_sgpr_dispatch_id 0
		.amdhsa_user_sgpr_kernarg_preload_length 0
		.amdhsa_user_sgpr_kernarg_preload_offset 0
		.amdhsa_user_sgpr_private_segment_size 0
		.amdhsa_wavefront_size32 1
		.amdhsa_uses_dynamic_stack 0
		.amdhsa_enable_private_segment 0
		.amdhsa_system_sgpr_workgroup_id_x 1
		.amdhsa_system_sgpr_workgroup_id_y 0
		.amdhsa_system_sgpr_workgroup_id_z 0
		.amdhsa_system_sgpr_workgroup_info 0
		.amdhsa_system_vgpr_workitem_id 0
		.amdhsa_next_free_vgpr 1
		.amdhsa_next_free_sgpr 1
		.amdhsa_named_barrier_count 0
		.amdhsa_reserve_vcc 0
		.amdhsa_float_round_mode_32 0
		.amdhsa_float_round_mode_16_64 0
		.amdhsa_float_denorm_mode_32 3
		.amdhsa_float_denorm_mode_16_64 3
		.amdhsa_fp16_overflow 0
		.amdhsa_memory_ordered 1
		.amdhsa_forward_progress 1
		.amdhsa_inst_pref_size 0
		.amdhsa_round_robin_scheduling 0
		.amdhsa_exception_fp_ieee_invalid_op 0
		.amdhsa_exception_fp_denorm_src 0
		.amdhsa_exception_fp_ieee_div_zero 0
		.amdhsa_exception_fp_ieee_overflow 0
		.amdhsa_exception_fp_ieee_underflow 0
		.amdhsa_exception_fp_ieee_inexact 0
		.amdhsa_exception_int_div_zero 0
	.end_amdhsa_kernel
	.section	.text._ZN7rocprim17ROCPRIM_400000_NS6detail17trampoline_kernelINS0_14default_configENS1_25partition_config_selectorILNS1_17partition_subalgoE8EiNS0_10empty_typeEbEEZZNS1_14partition_implILS5_8ELb0ES3_jPKiPS6_PKS6_NS0_5tupleIJPiS6_EEENSE_IJSB_SB_EEENS0_18inequality_wrapperIN6hipcub16HIPCUB_304000_NS8EqualityEEEPlJS6_EEE10hipError_tPvRmT3_T4_T5_T6_T7_T9_mT8_P12ihipStream_tbDpT10_ENKUlT_T0_E_clISt17integral_constantIbLb1EES17_EEDaS12_S13_EUlS12_E_NS1_11comp_targetILNS1_3genE9ELNS1_11target_archE1100ELNS1_3gpuE3ELNS1_3repE0EEENS1_30default_config_static_selectorELNS0_4arch9wavefront6targetE0EEEvT1_,"axG",@progbits,_ZN7rocprim17ROCPRIM_400000_NS6detail17trampoline_kernelINS0_14default_configENS1_25partition_config_selectorILNS1_17partition_subalgoE8EiNS0_10empty_typeEbEEZZNS1_14partition_implILS5_8ELb0ES3_jPKiPS6_PKS6_NS0_5tupleIJPiS6_EEENSE_IJSB_SB_EEENS0_18inequality_wrapperIN6hipcub16HIPCUB_304000_NS8EqualityEEEPlJS6_EEE10hipError_tPvRmT3_T4_T5_T6_T7_T9_mT8_P12ihipStream_tbDpT10_ENKUlT_T0_E_clISt17integral_constantIbLb1EES17_EEDaS12_S13_EUlS12_E_NS1_11comp_targetILNS1_3genE9ELNS1_11target_archE1100ELNS1_3gpuE3ELNS1_3repE0EEENS1_30default_config_static_selectorELNS0_4arch9wavefront6targetE0EEEvT1_,comdat
.Lfunc_end201:
	.size	_ZN7rocprim17ROCPRIM_400000_NS6detail17trampoline_kernelINS0_14default_configENS1_25partition_config_selectorILNS1_17partition_subalgoE8EiNS0_10empty_typeEbEEZZNS1_14partition_implILS5_8ELb0ES3_jPKiPS6_PKS6_NS0_5tupleIJPiS6_EEENSE_IJSB_SB_EEENS0_18inequality_wrapperIN6hipcub16HIPCUB_304000_NS8EqualityEEEPlJS6_EEE10hipError_tPvRmT3_T4_T5_T6_T7_T9_mT8_P12ihipStream_tbDpT10_ENKUlT_T0_E_clISt17integral_constantIbLb1EES17_EEDaS12_S13_EUlS12_E_NS1_11comp_targetILNS1_3genE9ELNS1_11target_archE1100ELNS1_3gpuE3ELNS1_3repE0EEENS1_30default_config_static_selectorELNS0_4arch9wavefront6targetE0EEEvT1_, .Lfunc_end201-_ZN7rocprim17ROCPRIM_400000_NS6detail17trampoline_kernelINS0_14default_configENS1_25partition_config_selectorILNS1_17partition_subalgoE8EiNS0_10empty_typeEbEEZZNS1_14partition_implILS5_8ELb0ES3_jPKiPS6_PKS6_NS0_5tupleIJPiS6_EEENSE_IJSB_SB_EEENS0_18inequality_wrapperIN6hipcub16HIPCUB_304000_NS8EqualityEEEPlJS6_EEE10hipError_tPvRmT3_T4_T5_T6_T7_T9_mT8_P12ihipStream_tbDpT10_ENKUlT_T0_E_clISt17integral_constantIbLb1EES17_EEDaS12_S13_EUlS12_E_NS1_11comp_targetILNS1_3genE9ELNS1_11target_archE1100ELNS1_3gpuE3ELNS1_3repE0EEENS1_30default_config_static_selectorELNS0_4arch9wavefront6targetE0EEEvT1_
                                        ; -- End function
	.set _ZN7rocprim17ROCPRIM_400000_NS6detail17trampoline_kernelINS0_14default_configENS1_25partition_config_selectorILNS1_17partition_subalgoE8EiNS0_10empty_typeEbEEZZNS1_14partition_implILS5_8ELb0ES3_jPKiPS6_PKS6_NS0_5tupleIJPiS6_EEENSE_IJSB_SB_EEENS0_18inequality_wrapperIN6hipcub16HIPCUB_304000_NS8EqualityEEEPlJS6_EEE10hipError_tPvRmT3_T4_T5_T6_T7_T9_mT8_P12ihipStream_tbDpT10_ENKUlT_T0_E_clISt17integral_constantIbLb1EES17_EEDaS12_S13_EUlS12_E_NS1_11comp_targetILNS1_3genE9ELNS1_11target_archE1100ELNS1_3gpuE3ELNS1_3repE0EEENS1_30default_config_static_selectorELNS0_4arch9wavefront6targetE0EEEvT1_.num_vgpr, 0
	.set _ZN7rocprim17ROCPRIM_400000_NS6detail17trampoline_kernelINS0_14default_configENS1_25partition_config_selectorILNS1_17partition_subalgoE8EiNS0_10empty_typeEbEEZZNS1_14partition_implILS5_8ELb0ES3_jPKiPS6_PKS6_NS0_5tupleIJPiS6_EEENSE_IJSB_SB_EEENS0_18inequality_wrapperIN6hipcub16HIPCUB_304000_NS8EqualityEEEPlJS6_EEE10hipError_tPvRmT3_T4_T5_T6_T7_T9_mT8_P12ihipStream_tbDpT10_ENKUlT_T0_E_clISt17integral_constantIbLb1EES17_EEDaS12_S13_EUlS12_E_NS1_11comp_targetILNS1_3genE9ELNS1_11target_archE1100ELNS1_3gpuE3ELNS1_3repE0EEENS1_30default_config_static_selectorELNS0_4arch9wavefront6targetE0EEEvT1_.num_agpr, 0
	.set _ZN7rocprim17ROCPRIM_400000_NS6detail17trampoline_kernelINS0_14default_configENS1_25partition_config_selectorILNS1_17partition_subalgoE8EiNS0_10empty_typeEbEEZZNS1_14partition_implILS5_8ELb0ES3_jPKiPS6_PKS6_NS0_5tupleIJPiS6_EEENSE_IJSB_SB_EEENS0_18inequality_wrapperIN6hipcub16HIPCUB_304000_NS8EqualityEEEPlJS6_EEE10hipError_tPvRmT3_T4_T5_T6_T7_T9_mT8_P12ihipStream_tbDpT10_ENKUlT_T0_E_clISt17integral_constantIbLb1EES17_EEDaS12_S13_EUlS12_E_NS1_11comp_targetILNS1_3genE9ELNS1_11target_archE1100ELNS1_3gpuE3ELNS1_3repE0EEENS1_30default_config_static_selectorELNS0_4arch9wavefront6targetE0EEEvT1_.numbered_sgpr, 0
	.set _ZN7rocprim17ROCPRIM_400000_NS6detail17trampoline_kernelINS0_14default_configENS1_25partition_config_selectorILNS1_17partition_subalgoE8EiNS0_10empty_typeEbEEZZNS1_14partition_implILS5_8ELb0ES3_jPKiPS6_PKS6_NS0_5tupleIJPiS6_EEENSE_IJSB_SB_EEENS0_18inequality_wrapperIN6hipcub16HIPCUB_304000_NS8EqualityEEEPlJS6_EEE10hipError_tPvRmT3_T4_T5_T6_T7_T9_mT8_P12ihipStream_tbDpT10_ENKUlT_T0_E_clISt17integral_constantIbLb1EES17_EEDaS12_S13_EUlS12_E_NS1_11comp_targetILNS1_3genE9ELNS1_11target_archE1100ELNS1_3gpuE3ELNS1_3repE0EEENS1_30default_config_static_selectorELNS0_4arch9wavefront6targetE0EEEvT1_.num_named_barrier, 0
	.set _ZN7rocprim17ROCPRIM_400000_NS6detail17trampoline_kernelINS0_14default_configENS1_25partition_config_selectorILNS1_17partition_subalgoE8EiNS0_10empty_typeEbEEZZNS1_14partition_implILS5_8ELb0ES3_jPKiPS6_PKS6_NS0_5tupleIJPiS6_EEENSE_IJSB_SB_EEENS0_18inequality_wrapperIN6hipcub16HIPCUB_304000_NS8EqualityEEEPlJS6_EEE10hipError_tPvRmT3_T4_T5_T6_T7_T9_mT8_P12ihipStream_tbDpT10_ENKUlT_T0_E_clISt17integral_constantIbLb1EES17_EEDaS12_S13_EUlS12_E_NS1_11comp_targetILNS1_3genE9ELNS1_11target_archE1100ELNS1_3gpuE3ELNS1_3repE0EEENS1_30default_config_static_selectorELNS0_4arch9wavefront6targetE0EEEvT1_.private_seg_size, 0
	.set _ZN7rocprim17ROCPRIM_400000_NS6detail17trampoline_kernelINS0_14default_configENS1_25partition_config_selectorILNS1_17partition_subalgoE8EiNS0_10empty_typeEbEEZZNS1_14partition_implILS5_8ELb0ES3_jPKiPS6_PKS6_NS0_5tupleIJPiS6_EEENSE_IJSB_SB_EEENS0_18inequality_wrapperIN6hipcub16HIPCUB_304000_NS8EqualityEEEPlJS6_EEE10hipError_tPvRmT3_T4_T5_T6_T7_T9_mT8_P12ihipStream_tbDpT10_ENKUlT_T0_E_clISt17integral_constantIbLb1EES17_EEDaS12_S13_EUlS12_E_NS1_11comp_targetILNS1_3genE9ELNS1_11target_archE1100ELNS1_3gpuE3ELNS1_3repE0EEENS1_30default_config_static_selectorELNS0_4arch9wavefront6targetE0EEEvT1_.uses_vcc, 0
	.set _ZN7rocprim17ROCPRIM_400000_NS6detail17trampoline_kernelINS0_14default_configENS1_25partition_config_selectorILNS1_17partition_subalgoE8EiNS0_10empty_typeEbEEZZNS1_14partition_implILS5_8ELb0ES3_jPKiPS6_PKS6_NS0_5tupleIJPiS6_EEENSE_IJSB_SB_EEENS0_18inequality_wrapperIN6hipcub16HIPCUB_304000_NS8EqualityEEEPlJS6_EEE10hipError_tPvRmT3_T4_T5_T6_T7_T9_mT8_P12ihipStream_tbDpT10_ENKUlT_T0_E_clISt17integral_constantIbLb1EES17_EEDaS12_S13_EUlS12_E_NS1_11comp_targetILNS1_3genE9ELNS1_11target_archE1100ELNS1_3gpuE3ELNS1_3repE0EEENS1_30default_config_static_selectorELNS0_4arch9wavefront6targetE0EEEvT1_.uses_flat_scratch, 0
	.set _ZN7rocprim17ROCPRIM_400000_NS6detail17trampoline_kernelINS0_14default_configENS1_25partition_config_selectorILNS1_17partition_subalgoE8EiNS0_10empty_typeEbEEZZNS1_14partition_implILS5_8ELb0ES3_jPKiPS6_PKS6_NS0_5tupleIJPiS6_EEENSE_IJSB_SB_EEENS0_18inequality_wrapperIN6hipcub16HIPCUB_304000_NS8EqualityEEEPlJS6_EEE10hipError_tPvRmT3_T4_T5_T6_T7_T9_mT8_P12ihipStream_tbDpT10_ENKUlT_T0_E_clISt17integral_constantIbLb1EES17_EEDaS12_S13_EUlS12_E_NS1_11comp_targetILNS1_3genE9ELNS1_11target_archE1100ELNS1_3gpuE3ELNS1_3repE0EEENS1_30default_config_static_selectorELNS0_4arch9wavefront6targetE0EEEvT1_.has_dyn_sized_stack, 0
	.set _ZN7rocprim17ROCPRIM_400000_NS6detail17trampoline_kernelINS0_14default_configENS1_25partition_config_selectorILNS1_17partition_subalgoE8EiNS0_10empty_typeEbEEZZNS1_14partition_implILS5_8ELb0ES3_jPKiPS6_PKS6_NS0_5tupleIJPiS6_EEENSE_IJSB_SB_EEENS0_18inequality_wrapperIN6hipcub16HIPCUB_304000_NS8EqualityEEEPlJS6_EEE10hipError_tPvRmT3_T4_T5_T6_T7_T9_mT8_P12ihipStream_tbDpT10_ENKUlT_T0_E_clISt17integral_constantIbLb1EES17_EEDaS12_S13_EUlS12_E_NS1_11comp_targetILNS1_3genE9ELNS1_11target_archE1100ELNS1_3gpuE3ELNS1_3repE0EEENS1_30default_config_static_selectorELNS0_4arch9wavefront6targetE0EEEvT1_.has_recursion, 0
	.set _ZN7rocprim17ROCPRIM_400000_NS6detail17trampoline_kernelINS0_14default_configENS1_25partition_config_selectorILNS1_17partition_subalgoE8EiNS0_10empty_typeEbEEZZNS1_14partition_implILS5_8ELb0ES3_jPKiPS6_PKS6_NS0_5tupleIJPiS6_EEENSE_IJSB_SB_EEENS0_18inequality_wrapperIN6hipcub16HIPCUB_304000_NS8EqualityEEEPlJS6_EEE10hipError_tPvRmT3_T4_T5_T6_T7_T9_mT8_P12ihipStream_tbDpT10_ENKUlT_T0_E_clISt17integral_constantIbLb1EES17_EEDaS12_S13_EUlS12_E_NS1_11comp_targetILNS1_3genE9ELNS1_11target_archE1100ELNS1_3gpuE3ELNS1_3repE0EEENS1_30default_config_static_selectorELNS0_4arch9wavefront6targetE0EEEvT1_.has_indirect_call, 0
	.section	.AMDGPU.csdata,"",@progbits
; Kernel info:
; codeLenInByte = 0
; TotalNumSgprs: 0
; NumVgprs: 0
; ScratchSize: 0
; MemoryBound: 0
; FloatMode: 240
; IeeeMode: 1
; LDSByteSize: 0 bytes/workgroup (compile time only)
; SGPRBlocks: 0
; VGPRBlocks: 0
; NumSGPRsForWavesPerEU: 1
; NumVGPRsForWavesPerEU: 1
; NamedBarCnt: 0
; Occupancy: 16
; WaveLimiterHint : 0
; COMPUTE_PGM_RSRC2:SCRATCH_EN: 0
; COMPUTE_PGM_RSRC2:USER_SGPR: 2
; COMPUTE_PGM_RSRC2:TRAP_HANDLER: 0
; COMPUTE_PGM_RSRC2:TGID_X_EN: 1
; COMPUTE_PGM_RSRC2:TGID_Y_EN: 0
; COMPUTE_PGM_RSRC2:TGID_Z_EN: 0
; COMPUTE_PGM_RSRC2:TIDIG_COMP_CNT: 0
	.section	.text._ZN7rocprim17ROCPRIM_400000_NS6detail17trampoline_kernelINS0_14default_configENS1_25partition_config_selectorILNS1_17partition_subalgoE8EiNS0_10empty_typeEbEEZZNS1_14partition_implILS5_8ELb0ES3_jPKiPS6_PKS6_NS0_5tupleIJPiS6_EEENSE_IJSB_SB_EEENS0_18inequality_wrapperIN6hipcub16HIPCUB_304000_NS8EqualityEEEPlJS6_EEE10hipError_tPvRmT3_T4_T5_T6_T7_T9_mT8_P12ihipStream_tbDpT10_ENKUlT_T0_E_clISt17integral_constantIbLb1EES17_EEDaS12_S13_EUlS12_E_NS1_11comp_targetILNS1_3genE8ELNS1_11target_archE1030ELNS1_3gpuE2ELNS1_3repE0EEENS1_30default_config_static_selectorELNS0_4arch9wavefront6targetE0EEEvT1_,"axG",@progbits,_ZN7rocprim17ROCPRIM_400000_NS6detail17trampoline_kernelINS0_14default_configENS1_25partition_config_selectorILNS1_17partition_subalgoE8EiNS0_10empty_typeEbEEZZNS1_14partition_implILS5_8ELb0ES3_jPKiPS6_PKS6_NS0_5tupleIJPiS6_EEENSE_IJSB_SB_EEENS0_18inequality_wrapperIN6hipcub16HIPCUB_304000_NS8EqualityEEEPlJS6_EEE10hipError_tPvRmT3_T4_T5_T6_T7_T9_mT8_P12ihipStream_tbDpT10_ENKUlT_T0_E_clISt17integral_constantIbLb1EES17_EEDaS12_S13_EUlS12_E_NS1_11comp_targetILNS1_3genE8ELNS1_11target_archE1030ELNS1_3gpuE2ELNS1_3repE0EEENS1_30default_config_static_selectorELNS0_4arch9wavefront6targetE0EEEvT1_,comdat
	.protected	_ZN7rocprim17ROCPRIM_400000_NS6detail17trampoline_kernelINS0_14default_configENS1_25partition_config_selectorILNS1_17partition_subalgoE8EiNS0_10empty_typeEbEEZZNS1_14partition_implILS5_8ELb0ES3_jPKiPS6_PKS6_NS0_5tupleIJPiS6_EEENSE_IJSB_SB_EEENS0_18inequality_wrapperIN6hipcub16HIPCUB_304000_NS8EqualityEEEPlJS6_EEE10hipError_tPvRmT3_T4_T5_T6_T7_T9_mT8_P12ihipStream_tbDpT10_ENKUlT_T0_E_clISt17integral_constantIbLb1EES17_EEDaS12_S13_EUlS12_E_NS1_11comp_targetILNS1_3genE8ELNS1_11target_archE1030ELNS1_3gpuE2ELNS1_3repE0EEENS1_30default_config_static_selectorELNS0_4arch9wavefront6targetE0EEEvT1_ ; -- Begin function _ZN7rocprim17ROCPRIM_400000_NS6detail17trampoline_kernelINS0_14default_configENS1_25partition_config_selectorILNS1_17partition_subalgoE8EiNS0_10empty_typeEbEEZZNS1_14partition_implILS5_8ELb0ES3_jPKiPS6_PKS6_NS0_5tupleIJPiS6_EEENSE_IJSB_SB_EEENS0_18inequality_wrapperIN6hipcub16HIPCUB_304000_NS8EqualityEEEPlJS6_EEE10hipError_tPvRmT3_T4_T5_T6_T7_T9_mT8_P12ihipStream_tbDpT10_ENKUlT_T0_E_clISt17integral_constantIbLb1EES17_EEDaS12_S13_EUlS12_E_NS1_11comp_targetILNS1_3genE8ELNS1_11target_archE1030ELNS1_3gpuE2ELNS1_3repE0EEENS1_30default_config_static_selectorELNS0_4arch9wavefront6targetE0EEEvT1_
	.globl	_ZN7rocprim17ROCPRIM_400000_NS6detail17trampoline_kernelINS0_14default_configENS1_25partition_config_selectorILNS1_17partition_subalgoE8EiNS0_10empty_typeEbEEZZNS1_14partition_implILS5_8ELb0ES3_jPKiPS6_PKS6_NS0_5tupleIJPiS6_EEENSE_IJSB_SB_EEENS0_18inequality_wrapperIN6hipcub16HIPCUB_304000_NS8EqualityEEEPlJS6_EEE10hipError_tPvRmT3_T4_T5_T6_T7_T9_mT8_P12ihipStream_tbDpT10_ENKUlT_T0_E_clISt17integral_constantIbLb1EES17_EEDaS12_S13_EUlS12_E_NS1_11comp_targetILNS1_3genE8ELNS1_11target_archE1030ELNS1_3gpuE2ELNS1_3repE0EEENS1_30default_config_static_selectorELNS0_4arch9wavefront6targetE0EEEvT1_
	.p2align	8
	.type	_ZN7rocprim17ROCPRIM_400000_NS6detail17trampoline_kernelINS0_14default_configENS1_25partition_config_selectorILNS1_17partition_subalgoE8EiNS0_10empty_typeEbEEZZNS1_14partition_implILS5_8ELb0ES3_jPKiPS6_PKS6_NS0_5tupleIJPiS6_EEENSE_IJSB_SB_EEENS0_18inequality_wrapperIN6hipcub16HIPCUB_304000_NS8EqualityEEEPlJS6_EEE10hipError_tPvRmT3_T4_T5_T6_T7_T9_mT8_P12ihipStream_tbDpT10_ENKUlT_T0_E_clISt17integral_constantIbLb1EES17_EEDaS12_S13_EUlS12_E_NS1_11comp_targetILNS1_3genE8ELNS1_11target_archE1030ELNS1_3gpuE2ELNS1_3repE0EEENS1_30default_config_static_selectorELNS0_4arch9wavefront6targetE0EEEvT1_,@function
_ZN7rocprim17ROCPRIM_400000_NS6detail17trampoline_kernelINS0_14default_configENS1_25partition_config_selectorILNS1_17partition_subalgoE8EiNS0_10empty_typeEbEEZZNS1_14partition_implILS5_8ELb0ES3_jPKiPS6_PKS6_NS0_5tupleIJPiS6_EEENSE_IJSB_SB_EEENS0_18inequality_wrapperIN6hipcub16HIPCUB_304000_NS8EqualityEEEPlJS6_EEE10hipError_tPvRmT3_T4_T5_T6_T7_T9_mT8_P12ihipStream_tbDpT10_ENKUlT_T0_E_clISt17integral_constantIbLb1EES17_EEDaS12_S13_EUlS12_E_NS1_11comp_targetILNS1_3genE8ELNS1_11target_archE1030ELNS1_3gpuE2ELNS1_3repE0EEENS1_30default_config_static_selectorELNS0_4arch9wavefront6targetE0EEEvT1_: ; @_ZN7rocprim17ROCPRIM_400000_NS6detail17trampoline_kernelINS0_14default_configENS1_25partition_config_selectorILNS1_17partition_subalgoE8EiNS0_10empty_typeEbEEZZNS1_14partition_implILS5_8ELb0ES3_jPKiPS6_PKS6_NS0_5tupleIJPiS6_EEENSE_IJSB_SB_EEENS0_18inequality_wrapperIN6hipcub16HIPCUB_304000_NS8EqualityEEEPlJS6_EEE10hipError_tPvRmT3_T4_T5_T6_T7_T9_mT8_P12ihipStream_tbDpT10_ENKUlT_T0_E_clISt17integral_constantIbLb1EES17_EEDaS12_S13_EUlS12_E_NS1_11comp_targetILNS1_3genE8ELNS1_11target_archE1030ELNS1_3gpuE2ELNS1_3repE0EEENS1_30default_config_static_selectorELNS0_4arch9wavefront6targetE0EEEvT1_
; %bb.0:
	.section	.rodata,"a",@progbits
	.p2align	6, 0x0
	.amdhsa_kernel _ZN7rocprim17ROCPRIM_400000_NS6detail17trampoline_kernelINS0_14default_configENS1_25partition_config_selectorILNS1_17partition_subalgoE8EiNS0_10empty_typeEbEEZZNS1_14partition_implILS5_8ELb0ES3_jPKiPS6_PKS6_NS0_5tupleIJPiS6_EEENSE_IJSB_SB_EEENS0_18inequality_wrapperIN6hipcub16HIPCUB_304000_NS8EqualityEEEPlJS6_EEE10hipError_tPvRmT3_T4_T5_T6_T7_T9_mT8_P12ihipStream_tbDpT10_ENKUlT_T0_E_clISt17integral_constantIbLb1EES17_EEDaS12_S13_EUlS12_E_NS1_11comp_targetILNS1_3genE8ELNS1_11target_archE1030ELNS1_3gpuE2ELNS1_3repE0EEENS1_30default_config_static_selectorELNS0_4arch9wavefront6targetE0EEEvT1_
		.amdhsa_group_segment_fixed_size 0
		.amdhsa_private_segment_fixed_size 0
		.amdhsa_kernarg_size 128
		.amdhsa_user_sgpr_count 2
		.amdhsa_user_sgpr_dispatch_ptr 0
		.amdhsa_user_sgpr_queue_ptr 0
		.amdhsa_user_sgpr_kernarg_segment_ptr 1
		.amdhsa_user_sgpr_dispatch_id 0
		.amdhsa_user_sgpr_kernarg_preload_length 0
		.amdhsa_user_sgpr_kernarg_preload_offset 0
		.amdhsa_user_sgpr_private_segment_size 0
		.amdhsa_wavefront_size32 1
		.amdhsa_uses_dynamic_stack 0
		.amdhsa_enable_private_segment 0
		.amdhsa_system_sgpr_workgroup_id_x 1
		.amdhsa_system_sgpr_workgroup_id_y 0
		.amdhsa_system_sgpr_workgroup_id_z 0
		.amdhsa_system_sgpr_workgroup_info 0
		.amdhsa_system_vgpr_workitem_id 0
		.amdhsa_next_free_vgpr 1
		.amdhsa_next_free_sgpr 1
		.amdhsa_named_barrier_count 0
		.amdhsa_reserve_vcc 0
		.amdhsa_float_round_mode_32 0
		.amdhsa_float_round_mode_16_64 0
		.amdhsa_float_denorm_mode_32 3
		.amdhsa_float_denorm_mode_16_64 3
		.amdhsa_fp16_overflow 0
		.amdhsa_memory_ordered 1
		.amdhsa_forward_progress 1
		.amdhsa_inst_pref_size 0
		.amdhsa_round_robin_scheduling 0
		.amdhsa_exception_fp_ieee_invalid_op 0
		.amdhsa_exception_fp_denorm_src 0
		.amdhsa_exception_fp_ieee_div_zero 0
		.amdhsa_exception_fp_ieee_overflow 0
		.amdhsa_exception_fp_ieee_underflow 0
		.amdhsa_exception_fp_ieee_inexact 0
		.amdhsa_exception_int_div_zero 0
	.end_amdhsa_kernel
	.section	.text._ZN7rocprim17ROCPRIM_400000_NS6detail17trampoline_kernelINS0_14default_configENS1_25partition_config_selectorILNS1_17partition_subalgoE8EiNS0_10empty_typeEbEEZZNS1_14partition_implILS5_8ELb0ES3_jPKiPS6_PKS6_NS0_5tupleIJPiS6_EEENSE_IJSB_SB_EEENS0_18inequality_wrapperIN6hipcub16HIPCUB_304000_NS8EqualityEEEPlJS6_EEE10hipError_tPvRmT3_T4_T5_T6_T7_T9_mT8_P12ihipStream_tbDpT10_ENKUlT_T0_E_clISt17integral_constantIbLb1EES17_EEDaS12_S13_EUlS12_E_NS1_11comp_targetILNS1_3genE8ELNS1_11target_archE1030ELNS1_3gpuE2ELNS1_3repE0EEENS1_30default_config_static_selectorELNS0_4arch9wavefront6targetE0EEEvT1_,"axG",@progbits,_ZN7rocprim17ROCPRIM_400000_NS6detail17trampoline_kernelINS0_14default_configENS1_25partition_config_selectorILNS1_17partition_subalgoE8EiNS0_10empty_typeEbEEZZNS1_14partition_implILS5_8ELb0ES3_jPKiPS6_PKS6_NS0_5tupleIJPiS6_EEENSE_IJSB_SB_EEENS0_18inequality_wrapperIN6hipcub16HIPCUB_304000_NS8EqualityEEEPlJS6_EEE10hipError_tPvRmT3_T4_T5_T6_T7_T9_mT8_P12ihipStream_tbDpT10_ENKUlT_T0_E_clISt17integral_constantIbLb1EES17_EEDaS12_S13_EUlS12_E_NS1_11comp_targetILNS1_3genE8ELNS1_11target_archE1030ELNS1_3gpuE2ELNS1_3repE0EEENS1_30default_config_static_selectorELNS0_4arch9wavefront6targetE0EEEvT1_,comdat
.Lfunc_end202:
	.size	_ZN7rocprim17ROCPRIM_400000_NS6detail17trampoline_kernelINS0_14default_configENS1_25partition_config_selectorILNS1_17partition_subalgoE8EiNS0_10empty_typeEbEEZZNS1_14partition_implILS5_8ELb0ES3_jPKiPS6_PKS6_NS0_5tupleIJPiS6_EEENSE_IJSB_SB_EEENS0_18inequality_wrapperIN6hipcub16HIPCUB_304000_NS8EqualityEEEPlJS6_EEE10hipError_tPvRmT3_T4_T5_T6_T7_T9_mT8_P12ihipStream_tbDpT10_ENKUlT_T0_E_clISt17integral_constantIbLb1EES17_EEDaS12_S13_EUlS12_E_NS1_11comp_targetILNS1_3genE8ELNS1_11target_archE1030ELNS1_3gpuE2ELNS1_3repE0EEENS1_30default_config_static_selectorELNS0_4arch9wavefront6targetE0EEEvT1_, .Lfunc_end202-_ZN7rocprim17ROCPRIM_400000_NS6detail17trampoline_kernelINS0_14default_configENS1_25partition_config_selectorILNS1_17partition_subalgoE8EiNS0_10empty_typeEbEEZZNS1_14partition_implILS5_8ELb0ES3_jPKiPS6_PKS6_NS0_5tupleIJPiS6_EEENSE_IJSB_SB_EEENS0_18inequality_wrapperIN6hipcub16HIPCUB_304000_NS8EqualityEEEPlJS6_EEE10hipError_tPvRmT3_T4_T5_T6_T7_T9_mT8_P12ihipStream_tbDpT10_ENKUlT_T0_E_clISt17integral_constantIbLb1EES17_EEDaS12_S13_EUlS12_E_NS1_11comp_targetILNS1_3genE8ELNS1_11target_archE1030ELNS1_3gpuE2ELNS1_3repE0EEENS1_30default_config_static_selectorELNS0_4arch9wavefront6targetE0EEEvT1_
                                        ; -- End function
	.set _ZN7rocprim17ROCPRIM_400000_NS6detail17trampoline_kernelINS0_14default_configENS1_25partition_config_selectorILNS1_17partition_subalgoE8EiNS0_10empty_typeEbEEZZNS1_14partition_implILS5_8ELb0ES3_jPKiPS6_PKS6_NS0_5tupleIJPiS6_EEENSE_IJSB_SB_EEENS0_18inequality_wrapperIN6hipcub16HIPCUB_304000_NS8EqualityEEEPlJS6_EEE10hipError_tPvRmT3_T4_T5_T6_T7_T9_mT8_P12ihipStream_tbDpT10_ENKUlT_T0_E_clISt17integral_constantIbLb1EES17_EEDaS12_S13_EUlS12_E_NS1_11comp_targetILNS1_3genE8ELNS1_11target_archE1030ELNS1_3gpuE2ELNS1_3repE0EEENS1_30default_config_static_selectorELNS0_4arch9wavefront6targetE0EEEvT1_.num_vgpr, 0
	.set _ZN7rocprim17ROCPRIM_400000_NS6detail17trampoline_kernelINS0_14default_configENS1_25partition_config_selectorILNS1_17partition_subalgoE8EiNS0_10empty_typeEbEEZZNS1_14partition_implILS5_8ELb0ES3_jPKiPS6_PKS6_NS0_5tupleIJPiS6_EEENSE_IJSB_SB_EEENS0_18inequality_wrapperIN6hipcub16HIPCUB_304000_NS8EqualityEEEPlJS6_EEE10hipError_tPvRmT3_T4_T5_T6_T7_T9_mT8_P12ihipStream_tbDpT10_ENKUlT_T0_E_clISt17integral_constantIbLb1EES17_EEDaS12_S13_EUlS12_E_NS1_11comp_targetILNS1_3genE8ELNS1_11target_archE1030ELNS1_3gpuE2ELNS1_3repE0EEENS1_30default_config_static_selectorELNS0_4arch9wavefront6targetE0EEEvT1_.num_agpr, 0
	.set _ZN7rocprim17ROCPRIM_400000_NS6detail17trampoline_kernelINS0_14default_configENS1_25partition_config_selectorILNS1_17partition_subalgoE8EiNS0_10empty_typeEbEEZZNS1_14partition_implILS5_8ELb0ES3_jPKiPS6_PKS6_NS0_5tupleIJPiS6_EEENSE_IJSB_SB_EEENS0_18inequality_wrapperIN6hipcub16HIPCUB_304000_NS8EqualityEEEPlJS6_EEE10hipError_tPvRmT3_T4_T5_T6_T7_T9_mT8_P12ihipStream_tbDpT10_ENKUlT_T0_E_clISt17integral_constantIbLb1EES17_EEDaS12_S13_EUlS12_E_NS1_11comp_targetILNS1_3genE8ELNS1_11target_archE1030ELNS1_3gpuE2ELNS1_3repE0EEENS1_30default_config_static_selectorELNS0_4arch9wavefront6targetE0EEEvT1_.numbered_sgpr, 0
	.set _ZN7rocprim17ROCPRIM_400000_NS6detail17trampoline_kernelINS0_14default_configENS1_25partition_config_selectorILNS1_17partition_subalgoE8EiNS0_10empty_typeEbEEZZNS1_14partition_implILS5_8ELb0ES3_jPKiPS6_PKS6_NS0_5tupleIJPiS6_EEENSE_IJSB_SB_EEENS0_18inequality_wrapperIN6hipcub16HIPCUB_304000_NS8EqualityEEEPlJS6_EEE10hipError_tPvRmT3_T4_T5_T6_T7_T9_mT8_P12ihipStream_tbDpT10_ENKUlT_T0_E_clISt17integral_constantIbLb1EES17_EEDaS12_S13_EUlS12_E_NS1_11comp_targetILNS1_3genE8ELNS1_11target_archE1030ELNS1_3gpuE2ELNS1_3repE0EEENS1_30default_config_static_selectorELNS0_4arch9wavefront6targetE0EEEvT1_.num_named_barrier, 0
	.set _ZN7rocprim17ROCPRIM_400000_NS6detail17trampoline_kernelINS0_14default_configENS1_25partition_config_selectorILNS1_17partition_subalgoE8EiNS0_10empty_typeEbEEZZNS1_14partition_implILS5_8ELb0ES3_jPKiPS6_PKS6_NS0_5tupleIJPiS6_EEENSE_IJSB_SB_EEENS0_18inequality_wrapperIN6hipcub16HIPCUB_304000_NS8EqualityEEEPlJS6_EEE10hipError_tPvRmT3_T4_T5_T6_T7_T9_mT8_P12ihipStream_tbDpT10_ENKUlT_T0_E_clISt17integral_constantIbLb1EES17_EEDaS12_S13_EUlS12_E_NS1_11comp_targetILNS1_3genE8ELNS1_11target_archE1030ELNS1_3gpuE2ELNS1_3repE0EEENS1_30default_config_static_selectorELNS0_4arch9wavefront6targetE0EEEvT1_.private_seg_size, 0
	.set _ZN7rocprim17ROCPRIM_400000_NS6detail17trampoline_kernelINS0_14default_configENS1_25partition_config_selectorILNS1_17partition_subalgoE8EiNS0_10empty_typeEbEEZZNS1_14partition_implILS5_8ELb0ES3_jPKiPS6_PKS6_NS0_5tupleIJPiS6_EEENSE_IJSB_SB_EEENS0_18inequality_wrapperIN6hipcub16HIPCUB_304000_NS8EqualityEEEPlJS6_EEE10hipError_tPvRmT3_T4_T5_T6_T7_T9_mT8_P12ihipStream_tbDpT10_ENKUlT_T0_E_clISt17integral_constantIbLb1EES17_EEDaS12_S13_EUlS12_E_NS1_11comp_targetILNS1_3genE8ELNS1_11target_archE1030ELNS1_3gpuE2ELNS1_3repE0EEENS1_30default_config_static_selectorELNS0_4arch9wavefront6targetE0EEEvT1_.uses_vcc, 0
	.set _ZN7rocprim17ROCPRIM_400000_NS6detail17trampoline_kernelINS0_14default_configENS1_25partition_config_selectorILNS1_17partition_subalgoE8EiNS0_10empty_typeEbEEZZNS1_14partition_implILS5_8ELb0ES3_jPKiPS6_PKS6_NS0_5tupleIJPiS6_EEENSE_IJSB_SB_EEENS0_18inequality_wrapperIN6hipcub16HIPCUB_304000_NS8EqualityEEEPlJS6_EEE10hipError_tPvRmT3_T4_T5_T6_T7_T9_mT8_P12ihipStream_tbDpT10_ENKUlT_T0_E_clISt17integral_constantIbLb1EES17_EEDaS12_S13_EUlS12_E_NS1_11comp_targetILNS1_3genE8ELNS1_11target_archE1030ELNS1_3gpuE2ELNS1_3repE0EEENS1_30default_config_static_selectorELNS0_4arch9wavefront6targetE0EEEvT1_.uses_flat_scratch, 0
	.set _ZN7rocprim17ROCPRIM_400000_NS6detail17trampoline_kernelINS0_14default_configENS1_25partition_config_selectorILNS1_17partition_subalgoE8EiNS0_10empty_typeEbEEZZNS1_14partition_implILS5_8ELb0ES3_jPKiPS6_PKS6_NS0_5tupleIJPiS6_EEENSE_IJSB_SB_EEENS0_18inequality_wrapperIN6hipcub16HIPCUB_304000_NS8EqualityEEEPlJS6_EEE10hipError_tPvRmT3_T4_T5_T6_T7_T9_mT8_P12ihipStream_tbDpT10_ENKUlT_T0_E_clISt17integral_constantIbLb1EES17_EEDaS12_S13_EUlS12_E_NS1_11comp_targetILNS1_3genE8ELNS1_11target_archE1030ELNS1_3gpuE2ELNS1_3repE0EEENS1_30default_config_static_selectorELNS0_4arch9wavefront6targetE0EEEvT1_.has_dyn_sized_stack, 0
	.set _ZN7rocprim17ROCPRIM_400000_NS6detail17trampoline_kernelINS0_14default_configENS1_25partition_config_selectorILNS1_17partition_subalgoE8EiNS0_10empty_typeEbEEZZNS1_14partition_implILS5_8ELb0ES3_jPKiPS6_PKS6_NS0_5tupleIJPiS6_EEENSE_IJSB_SB_EEENS0_18inequality_wrapperIN6hipcub16HIPCUB_304000_NS8EqualityEEEPlJS6_EEE10hipError_tPvRmT3_T4_T5_T6_T7_T9_mT8_P12ihipStream_tbDpT10_ENKUlT_T0_E_clISt17integral_constantIbLb1EES17_EEDaS12_S13_EUlS12_E_NS1_11comp_targetILNS1_3genE8ELNS1_11target_archE1030ELNS1_3gpuE2ELNS1_3repE0EEENS1_30default_config_static_selectorELNS0_4arch9wavefront6targetE0EEEvT1_.has_recursion, 0
	.set _ZN7rocprim17ROCPRIM_400000_NS6detail17trampoline_kernelINS0_14default_configENS1_25partition_config_selectorILNS1_17partition_subalgoE8EiNS0_10empty_typeEbEEZZNS1_14partition_implILS5_8ELb0ES3_jPKiPS6_PKS6_NS0_5tupleIJPiS6_EEENSE_IJSB_SB_EEENS0_18inequality_wrapperIN6hipcub16HIPCUB_304000_NS8EqualityEEEPlJS6_EEE10hipError_tPvRmT3_T4_T5_T6_T7_T9_mT8_P12ihipStream_tbDpT10_ENKUlT_T0_E_clISt17integral_constantIbLb1EES17_EEDaS12_S13_EUlS12_E_NS1_11comp_targetILNS1_3genE8ELNS1_11target_archE1030ELNS1_3gpuE2ELNS1_3repE0EEENS1_30default_config_static_selectorELNS0_4arch9wavefront6targetE0EEEvT1_.has_indirect_call, 0
	.section	.AMDGPU.csdata,"",@progbits
; Kernel info:
; codeLenInByte = 0
; TotalNumSgprs: 0
; NumVgprs: 0
; ScratchSize: 0
; MemoryBound: 0
; FloatMode: 240
; IeeeMode: 1
; LDSByteSize: 0 bytes/workgroup (compile time only)
; SGPRBlocks: 0
; VGPRBlocks: 0
; NumSGPRsForWavesPerEU: 1
; NumVGPRsForWavesPerEU: 1
; NamedBarCnt: 0
; Occupancy: 16
; WaveLimiterHint : 0
; COMPUTE_PGM_RSRC2:SCRATCH_EN: 0
; COMPUTE_PGM_RSRC2:USER_SGPR: 2
; COMPUTE_PGM_RSRC2:TRAP_HANDLER: 0
; COMPUTE_PGM_RSRC2:TGID_X_EN: 1
; COMPUTE_PGM_RSRC2:TGID_Y_EN: 0
; COMPUTE_PGM_RSRC2:TGID_Z_EN: 0
; COMPUTE_PGM_RSRC2:TIDIG_COMP_CNT: 0
	.section	.text._ZN7rocprim17ROCPRIM_400000_NS6detail31init_lookback_scan_state_kernelINS1_19lookback_scan_stateIjLb1ELb1EEENS1_16block_id_wrapperIjLb0EEEEEvT_jT0_jPNS7_10value_typeE,"axG",@progbits,_ZN7rocprim17ROCPRIM_400000_NS6detail31init_lookback_scan_state_kernelINS1_19lookback_scan_stateIjLb1ELb1EEENS1_16block_id_wrapperIjLb0EEEEEvT_jT0_jPNS7_10value_typeE,comdat
	.protected	_ZN7rocprim17ROCPRIM_400000_NS6detail31init_lookback_scan_state_kernelINS1_19lookback_scan_stateIjLb1ELb1EEENS1_16block_id_wrapperIjLb0EEEEEvT_jT0_jPNS7_10value_typeE ; -- Begin function _ZN7rocprim17ROCPRIM_400000_NS6detail31init_lookback_scan_state_kernelINS1_19lookback_scan_stateIjLb1ELb1EEENS1_16block_id_wrapperIjLb0EEEEEvT_jT0_jPNS7_10value_typeE
	.globl	_ZN7rocprim17ROCPRIM_400000_NS6detail31init_lookback_scan_state_kernelINS1_19lookback_scan_stateIjLb1ELb1EEENS1_16block_id_wrapperIjLb0EEEEEvT_jT0_jPNS7_10value_typeE
	.p2align	8
	.type	_ZN7rocprim17ROCPRIM_400000_NS6detail31init_lookback_scan_state_kernelINS1_19lookback_scan_stateIjLb1ELb1EEENS1_16block_id_wrapperIjLb0EEEEEvT_jT0_jPNS7_10value_typeE,@function
_ZN7rocprim17ROCPRIM_400000_NS6detail31init_lookback_scan_state_kernelINS1_19lookback_scan_stateIjLb1ELb1EEENS1_16block_id_wrapperIjLb0EEEEEvT_jT0_jPNS7_10value_typeE: ; @_ZN7rocprim17ROCPRIM_400000_NS6detail31init_lookback_scan_state_kernelINS1_19lookback_scan_stateIjLb1ELb1EEENS1_16block_id_wrapperIjLb0EEEEEvT_jT0_jPNS7_10value_typeE
; %bb.0:
	s_clause 0x2
	s_load_b32 s7, s[0:1], 0x2c
	s_load_b96 s[4:6], s[0:1], 0x0
	s_load_b64 s[2:3], s[0:1], 0x18
	s_bfe_u32 s8, ttmp6, 0x4000c
	s_and_b32 s9, ttmp6, 15
	s_add_co_i32 s8, s8, 1
	s_getreg_b32 s10, hwreg(HW_REG_IB_STS2, 6, 4)
	s_mul_i32 s8, ttmp9, s8
	s_delay_alu instid0(SALU_CYCLE_1)
	s_add_co_i32 s9, s9, s8
	s_wait_kmcnt 0x0
	s_and_b32 s7, s7, 0xffff
	s_cmp_eq_u32 s10, 0
	s_cselect_b32 s8, ttmp9, s9
	s_cmp_eq_u64 s[2:3], 0
	v_mad_u32 v4, s8, s7, v0
	s_cbranch_scc1 .LBB203_9
; %bb.1:
	s_load_b32 s0, s[0:1], 0x10
	s_mov_b32 s7, exec_lo
	s_wait_kmcnt 0x0
	s_cmp_lt_u32 s0, s6
	s_cselect_b32 s1, s0, 0
	s_delay_alu instid0(VALU_DEP_1) | instid1(SALU_CYCLE_1)
	v_cmpx_eq_u32_e64 s1, v4
	s_cbranch_execz .LBB203_8
; %bb.2:
	s_add_co_i32 s0, s0, 32
	s_delay_alu instid0(SALU_CYCLE_1)
	v_mov_b32_e32 v0, s0
	global_load_b64 v[2:3], v0, s[4:5] scale_offset scope:SCOPE_DEV
	s_wait_xcnt 0x0
	v_mov_b32_e32 v0, 0
	s_wait_loadcnt 0x0
	v_and_b32_e32 v1, 0xff, v3
	s_delay_alu instid0(VALU_DEP_1)
	v_cmp_ne_u64_e32 vcc_lo, 0, v[0:1]
	s_cbranch_vccnz .LBB203_7
; %bb.3:
	s_mov_b32 s1, 0
	s_mov_b32 s8, 1
	s_lshl_b64 s[0:1], s[0:1], 3
	s_delay_alu instid0(SALU_CYCLE_1)
	s_add_nc_u64 s[0:1], s[4:5], s[0:1]
.LBB203_4:                              ; =>This Loop Header: Depth=1
                                        ;     Child Loop BB203_5 Depth 2
	s_mov_b32 s9, s8
.LBB203_5:                              ;   Parent Loop BB203_4 Depth=1
                                        ; =>  This Inner Loop Header: Depth=2
	s_delay_alu instid0(SALU_CYCLE_1)
	s_add_co_i32 s9, s9, -1
	s_sleep 1
	s_cmp_eq_u32 s9, 0
	s_cbranch_scc0 .LBB203_5
; %bb.6:                                ;   in Loop: Header=BB203_4 Depth=1
	global_load_b64 v[2:3], v0, s[0:1] scope:SCOPE_DEV
	s_cmp_lt_u32 s8, 32
	s_cselect_b32 s9, -1, 0
	s_delay_alu instid0(SALU_CYCLE_1) | instskip(SKIP_3) | instid1(VALU_DEP_1)
	s_cmp_lg_u32 s9, 0
	s_add_co_ci_u32 s8, s8, 0
	s_wait_loadcnt 0x0
	v_and_b32_e32 v1, 0xff, v3
	v_cmp_ne_u64_e32 vcc_lo, 0, v[0:1]
	s_cbranch_vccz .LBB203_4
.LBB203_7:
	v_mov_b32_e32 v0, 0
	global_store_b32 v0, v2, s[2:3]
.LBB203_8:
	s_wait_xcnt 0x0
	s_or_b32 exec_lo, exec_lo, s7
.LBB203_9:
	s_delay_alu instid0(SALU_CYCLE_1) | instskip(NEXT) | instid1(VALU_DEP_1)
	s_mov_b32 s0, exec_lo
	v_cmpx_gt_u32_e64 s6, v4
	s_cbranch_execz .LBB203_11
; %bb.10:
	v_mov_b64_e32 v[0:1], 0
	v_add_nc_u32_e32 v2, 32, v4
	global_store_b64 v2, v[0:1], s[4:5] scale_offset
.LBB203_11:
	s_wait_xcnt 0x0
	s_or_b32 exec_lo, exec_lo, s0
	s_delay_alu instid0(SALU_CYCLE_1)
	s_mov_b32 s0, exec_lo
	v_cmpx_gt_u32_e32 32, v4
	s_cbranch_execz .LBB203_13
; %bb.12:
	v_mov_b64_e32 v[0:1], 0xff00000000
	global_store_b64 v4, v[0:1], s[4:5] scale_offset
.LBB203_13:
	s_endpgm
	.section	.rodata,"a",@progbits
	.p2align	6, 0x0
	.amdhsa_kernel _ZN7rocprim17ROCPRIM_400000_NS6detail31init_lookback_scan_state_kernelINS1_19lookback_scan_stateIjLb1ELb1EEENS1_16block_id_wrapperIjLb0EEEEEvT_jT0_jPNS7_10value_typeE
		.amdhsa_group_segment_fixed_size 0
		.amdhsa_private_segment_fixed_size 0
		.amdhsa_kernarg_size 288
		.amdhsa_user_sgpr_count 2
		.amdhsa_user_sgpr_dispatch_ptr 0
		.amdhsa_user_sgpr_queue_ptr 0
		.amdhsa_user_sgpr_kernarg_segment_ptr 1
		.amdhsa_user_sgpr_dispatch_id 0
		.amdhsa_user_sgpr_kernarg_preload_length 0
		.amdhsa_user_sgpr_kernarg_preload_offset 0
		.amdhsa_user_sgpr_private_segment_size 0
		.amdhsa_wavefront_size32 1
		.amdhsa_uses_dynamic_stack 0
		.amdhsa_enable_private_segment 0
		.amdhsa_system_sgpr_workgroup_id_x 1
		.amdhsa_system_sgpr_workgroup_id_y 0
		.amdhsa_system_sgpr_workgroup_id_z 0
		.amdhsa_system_sgpr_workgroup_info 0
		.amdhsa_system_vgpr_workitem_id 0
		.amdhsa_next_free_vgpr 5
		.amdhsa_next_free_sgpr 11
		.amdhsa_named_barrier_count 0
		.amdhsa_reserve_vcc 1
		.amdhsa_float_round_mode_32 0
		.amdhsa_float_round_mode_16_64 0
		.amdhsa_float_denorm_mode_32 3
		.amdhsa_float_denorm_mode_16_64 3
		.amdhsa_fp16_overflow 0
		.amdhsa_memory_ordered 1
		.amdhsa_forward_progress 1
		.amdhsa_inst_pref_size 4
		.amdhsa_round_robin_scheduling 0
		.amdhsa_exception_fp_ieee_invalid_op 0
		.amdhsa_exception_fp_denorm_src 0
		.amdhsa_exception_fp_ieee_div_zero 0
		.amdhsa_exception_fp_ieee_overflow 0
		.amdhsa_exception_fp_ieee_underflow 0
		.amdhsa_exception_fp_ieee_inexact 0
		.amdhsa_exception_int_div_zero 0
	.end_amdhsa_kernel
	.section	.text._ZN7rocprim17ROCPRIM_400000_NS6detail31init_lookback_scan_state_kernelINS1_19lookback_scan_stateIjLb1ELb1EEENS1_16block_id_wrapperIjLb0EEEEEvT_jT0_jPNS7_10value_typeE,"axG",@progbits,_ZN7rocprim17ROCPRIM_400000_NS6detail31init_lookback_scan_state_kernelINS1_19lookback_scan_stateIjLb1ELb1EEENS1_16block_id_wrapperIjLb0EEEEEvT_jT0_jPNS7_10value_typeE,comdat
.Lfunc_end203:
	.size	_ZN7rocprim17ROCPRIM_400000_NS6detail31init_lookback_scan_state_kernelINS1_19lookback_scan_stateIjLb1ELb1EEENS1_16block_id_wrapperIjLb0EEEEEvT_jT0_jPNS7_10value_typeE, .Lfunc_end203-_ZN7rocprim17ROCPRIM_400000_NS6detail31init_lookback_scan_state_kernelINS1_19lookback_scan_stateIjLb1ELb1EEENS1_16block_id_wrapperIjLb0EEEEEvT_jT0_jPNS7_10value_typeE
                                        ; -- End function
	.set _ZN7rocprim17ROCPRIM_400000_NS6detail31init_lookback_scan_state_kernelINS1_19lookback_scan_stateIjLb1ELb1EEENS1_16block_id_wrapperIjLb0EEEEEvT_jT0_jPNS7_10value_typeE.num_vgpr, 5
	.set _ZN7rocprim17ROCPRIM_400000_NS6detail31init_lookback_scan_state_kernelINS1_19lookback_scan_stateIjLb1ELb1EEENS1_16block_id_wrapperIjLb0EEEEEvT_jT0_jPNS7_10value_typeE.num_agpr, 0
	.set _ZN7rocprim17ROCPRIM_400000_NS6detail31init_lookback_scan_state_kernelINS1_19lookback_scan_stateIjLb1ELb1EEENS1_16block_id_wrapperIjLb0EEEEEvT_jT0_jPNS7_10value_typeE.numbered_sgpr, 11
	.set _ZN7rocprim17ROCPRIM_400000_NS6detail31init_lookback_scan_state_kernelINS1_19lookback_scan_stateIjLb1ELb1EEENS1_16block_id_wrapperIjLb0EEEEEvT_jT0_jPNS7_10value_typeE.num_named_barrier, 0
	.set _ZN7rocprim17ROCPRIM_400000_NS6detail31init_lookback_scan_state_kernelINS1_19lookback_scan_stateIjLb1ELb1EEENS1_16block_id_wrapperIjLb0EEEEEvT_jT0_jPNS7_10value_typeE.private_seg_size, 0
	.set _ZN7rocprim17ROCPRIM_400000_NS6detail31init_lookback_scan_state_kernelINS1_19lookback_scan_stateIjLb1ELb1EEENS1_16block_id_wrapperIjLb0EEEEEvT_jT0_jPNS7_10value_typeE.uses_vcc, 1
	.set _ZN7rocprim17ROCPRIM_400000_NS6detail31init_lookback_scan_state_kernelINS1_19lookback_scan_stateIjLb1ELb1EEENS1_16block_id_wrapperIjLb0EEEEEvT_jT0_jPNS7_10value_typeE.uses_flat_scratch, 0
	.set _ZN7rocprim17ROCPRIM_400000_NS6detail31init_lookback_scan_state_kernelINS1_19lookback_scan_stateIjLb1ELb1EEENS1_16block_id_wrapperIjLb0EEEEEvT_jT0_jPNS7_10value_typeE.has_dyn_sized_stack, 0
	.set _ZN7rocprim17ROCPRIM_400000_NS6detail31init_lookback_scan_state_kernelINS1_19lookback_scan_stateIjLb1ELb1EEENS1_16block_id_wrapperIjLb0EEEEEvT_jT0_jPNS7_10value_typeE.has_recursion, 0
	.set _ZN7rocprim17ROCPRIM_400000_NS6detail31init_lookback_scan_state_kernelINS1_19lookback_scan_stateIjLb1ELb1EEENS1_16block_id_wrapperIjLb0EEEEEvT_jT0_jPNS7_10value_typeE.has_indirect_call, 0
	.section	.AMDGPU.csdata,"",@progbits
; Kernel info:
; codeLenInByte = 404
; TotalNumSgprs: 13
; NumVgprs: 5
; ScratchSize: 0
; MemoryBound: 0
; FloatMode: 240
; IeeeMode: 1
; LDSByteSize: 0 bytes/workgroup (compile time only)
; SGPRBlocks: 0
; VGPRBlocks: 0
; NumSGPRsForWavesPerEU: 13
; NumVGPRsForWavesPerEU: 5
; NamedBarCnt: 0
; Occupancy: 16
; WaveLimiterHint : 0
; COMPUTE_PGM_RSRC2:SCRATCH_EN: 0
; COMPUTE_PGM_RSRC2:USER_SGPR: 2
; COMPUTE_PGM_RSRC2:TRAP_HANDLER: 0
; COMPUTE_PGM_RSRC2:TGID_X_EN: 1
; COMPUTE_PGM_RSRC2:TGID_Y_EN: 0
; COMPUTE_PGM_RSRC2:TGID_Z_EN: 0
; COMPUTE_PGM_RSRC2:TIDIG_COMP_CNT: 0
	.section	.text._ZN7rocprim17ROCPRIM_400000_NS6detail17trampoline_kernelINS0_14default_configENS1_25partition_config_selectorILNS1_17partition_subalgoE8EiNS0_10empty_typeEbEEZZNS1_14partition_implILS5_8ELb0ES3_jPKiPS6_PKS6_NS0_5tupleIJPiS6_EEENSE_IJSB_SB_EEENS0_18inequality_wrapperIN6hipcub16HIPCUB_304000_NS8EqualityEEEPlJS6_EEE10hipError_tPvRmT3_T4_T5_T6_T7_T9_mT8_P12ihipStream_tbDpT10_ENKUlT_T0_E_clISt17integral_constantIbLb1EES16_IbLb0EEEEDaS12_S13_EUlS12_E_NS1_11comp_targetILNS1_3genE0ELNS1_11target_archE4294967295ELNS1_3gpuE0ELNS1_3repE0EEENS1_30default_config_static_selectorELNS0_4arch9wavefront6targetE0EEEvT1_,"axG",@progbits,_ZN7rocprim17ROCPRIM_400000_NS6detail17trampoline_kernelINS0_14default_configENS1_25partition_config_selectorILNS1_17partition_subalgoE8EiNS0_10empty_typeEbEEZZNS1_14partition_implILS5_8ELb0ES3_jPKiPS6_PKS6_NS0_5tupleIJPiS6_EEENSE_IJSB_SB_EEENS0_18inequality_wrapperIN6hipcub16HIPCUB_304000_NS8EqualityEEEPlJS6_EEE10hipError_tPvRmT3_T4_T5_T6_T7_T9_mT8_P12ihipStream_tbDpT10_ENKUlT_T0_E_clISt17integral_constantIbLb1EES16_IbLb0EEEEDaS12_S13_EUlS12_E_NS1_11comp_targetILNS1_3genE0ELNS1_11target_archE4294967295ELNS1_3gpuE0ELNS1_3repE0EEENS1_30default_config_static_selectorELNS0_4arch9wavefront6targetE0EEEvT1_,comdat
	.protected	_ZN7rocprim17ROCPRIM_400000_NS6detail17trampoline_kernelINS0_14default_configENS1_25partition_config_selectorILNS1_17partition_subalgoE8EiNS0_10empty_typeEbEEZZNS1_14partition_implILS5_8ELb0ES3_jPKiPS6_PKS6_NS0_5tupleIJPiS6_EEENSE_IJSB_SB_EEENS0_18inequality_wrapperIN6hipcub16HIPCUB_304000_NS8EqualityEEEPlJS6_EEE10hipError_tPvRmT3_T4_T5_T6_T7_T9_mT8_P12ihipStream_tbDpT10_ENKUlT_T0_E_clISt17integral_constantIbLb1EES16_IbLb0EEEEDaS12_S13_EUlS12_E_NS1_11comp_targetILNS1_3genE0ELNS1_11target_archE4294967295ELNS1_3gpuE0ELNS1_3repE0EEENS1_30default_config_static_selectorELNS0_4arch9wavefront6targetE0EEEvT1_ ; -- Begin function _ZN7rocprim17ROCPRIM_400000_NS6detail17trampoline_kernelINS0_14default_configENS1_25partition_config_selectorILNS1_17partition_subalgoE8EiNS0_10empty_typeEbEEZZNS1_14partition_implILS5_8ELb0ES3_jPKiPS6_PKS6_NS0_5tupleIJPiS6_EEENSE_IJSB_SB_EEENS0_18inequality_wrapperIN6hipcub16HIPCUB_304000_NS8EqualityEEEPlJS6_EEE10hipError_tPvRmT3_T4_T5_T6_T7_T9_mT8_P12ihipStream_tbDpT10_ENKUlT_T0_E_clISt17integral_constantIbLb1EES16_IbLb0EEEEDaS12_S13_EUlS12_E_NS1_11comp_targetILNS1_3genE0ELNS1_11target_archE4294967295ELNS1_3gpuE0ELNS1_3repE0EEENS1_30default_config_static_selectorELNS0_4arch9wavefront6targetE0EEEvT1_
	.globl	_ZN7rocprim17ROCPRIM_400000_NS6detail17trampoline_kernelINS0_14default_configENS1_25partition_config_selectorILNS1_17partition_subalgoE8EiNS0_10empty_typeEbEEZZNS1_14partition_implILS5_8ELb0ES3_jPKiPS6_PKS6_NS0_5tupleIJPiS6_EEENSE_IJSB_SB_EEENS0_18inequality_wrapperIN6hipcub16HIPCUB_304000_NS8EqualityEEEPlJS6_EEE10hipError_tPvRmT3_T4_T5_T6_T7_T9_mT8_P12ihipStream_tbDpT10_ENKUlT_T0_E_clISt17integral_constantIbLb1EES16_IbLb0EEEEDaS12_S13_EUlS12_E_NS1_11comp_targetILNS1_3genE0ELNS1_11target_archE4294967295ELNS1_3gpuE0ELNS1_3repE0EEENS1_30default_config_static_selectorELNS0_4arch9wavefront6targetE0EEEvT1_
	.p2align	8
	.type	_ZN7rocprim17ROCPRIM_400000_NS6detail17trampoline_kernelINS0_14default_configENS1_25partition_config_selectorILNS1_17partition_subalgoE8EiNS0_10empty_typeEbEEZZNS1_14partition_implILS5_8ELb0ES3_jPKiPS6_PKS6_NS0_5tupleIJPiS6_EEENSE_IJSB_SB_EEENS0_18inequality_wrapperIN6hipcub16HIPCUB_304000_NS8EqualityEEEPlJS6_EEE10hipError_tPvRmT3_T4_T5_T6_T7_T9_mT8_P12ihipStream_tbDpT10_ENKUlT_T0_E_clISt17integral_constantIbLb1EES16_IbLb0EEEEDaS12_S13_EUlS12_E_NS1_11comp_targetILNS1_3genE0ELNS1_11target_archE4294967295ELNS1_3gpuE0ELNS1_3repE0EEENS1_30default_config_static_selectorELNS0_4arch9wavefront6targetE0EEEvT1_,@function
_ZN7rocprim17ROCPRIM_400000_NS6detail17trampoline_kernelINS0_14default_configENS1_25partition_config_selectorILNS1_17partition_subalgoE8EiNS0_10empty_typeEbEEZZNS1_14partition_implILS5_8ELb0ES3_jPKiPS6_PKS6_NS0_5tupleIJPiS6_EEENSE_IJSB_SB_EEENS0_18inequality_wrapperIN6hipcub16HIPCUB_304000_NS8EqualityEEEPlJS6_EEE10hipError_tPvRmT3_T4_T5_T6_T7_T9_mT8_P12ihipStream_tbDpT10_ENKUlT_T0_E_clISt17integral_constantIbLb1EES16_IbLb0EEEEDaS12_S13_EUlS12_E_NS1_11comp_targetILNS1_3genE0ELNS1_11target_archE4294967295ELNS1_3gpuE0ELNS1_3repE0EEENS1_30default_config_static_selectorELNS0_4arch9wavefront6targetE0EEEvT1_: ; @_ZN7rocprim17ROCPRIM_400000_NS6detail17trampoline_kernelINS0_14default_configENS1_25partition_config_selectorILNS1_17partition_subalgoE8EiNS0_10empty_typeEbEEZZNS1_14partition_implILS5_8ELb0ES3_jPKiPS6_PKS6_NS0_5tupleIJPiS6_EEENSE_IJSB_SB_EEENS0_18inequality_wrapperIN6hipcub16HIPCUB_304000_NS8EqualityEEEPlJS6_EEE10hipError_tPvRmT3_T4_T5_T6_T7_T9_mT8_P12ihipStream_tbDpT10_ENKUlT_T0_E_clISt17integral_constantIbLb1EES16_IbLb0EEEEDaS12_S13_EUlS12_E_NS1_11comp_targetILNS1_3genE0ELNS1_11target_archE4294967295ELNS1_3gpuE0ELNS1_3repE0EEENS1_30default_config_static_selectorELNS0_4arch9wavefront6targetE0EEEvT1_
; %bb.0:
	s_endpgm
	.section	.rodata,"a",@progbits
	.p2align	6, 0x0
	.amdhsa_kernel _ZN7rocprim17ROCPRIM_400000_NS6detail17trampoline_kernelINS0_14default_configENS1_25partition_config_selectorILNS1_17partition_subalgoE8EiNS0_10empty_typeEbEEZZNS1_14partition_implILS5_8ELb0ES3_jPKiPS6_PKS6_NS0_5tupleIJPiS6_EEENSE_IJSB_SB_EEENS0_18inequality_wrapperIN6hipcub16HIPCUB_304000_NS8EqualityEEEPlJS6_EEE10hipError_tPvRmT3_T4_T5_T6_T7_T9_mT8_P12ihipStream_tbDpT10_ENKUlT_T0_E_clISt17integral_constantIbLb1EES16_IbLb0EEEEDaS12_S13_EUlS12_E_NS1_11comp_targetILNS1_3genE0ELNS1_11target_archE4294967295ELNS1_3gpuE0ELNS1_3repE0EEENS1_30default_config_static_selectorELNS0_4arch9wavefront6targetE0EEEvT1_
		.amdhsa_group_segment_fixed_size 0
		.amdhsa_private_segment_fixed_size 0
		.amdhsa_kernarg_size 112
		.amdhsa_user_sgpr_count 2
		.amdhsa_user_sgpr_dispatch_ptr 0
		.amdhsa_user_sgpr_queue_ptr 0
		.amdhsa_user_sgpr_kernarg_segment_ptr 1
		.amdhsa_user_sgpr_dispatch_id 0
		.amdhsa_user_sgpr_kernarg_preload_length 0
		.amdhsa_user_sgpr_kernarg_preload_offset 0
		.amdhsa_user_sgpr_private_segment_size 0
		.amdhsa_wavefront_size32 1
		.amdhsa_uses_dynamic_stack 0
		.amdhsa_enable_private_segment 0
		.amdhsa_system_sgpr_workgroup_id_x 1
		.amdhsa_system_sgpr_workgroup_id_y 0
		.amdhsa_system_sgpr_workgroup_id_z 0
		.amdhsa_system_sgpr_workgroup_info 0
		.amdhsa_system_vgpr_workitem_id 0
		.amdhsa_next_free_vgpr 1
		.amdhsa_next_free_sgpr 1
		.amdhsa_named_barrier_count 0
		.amdhsa_reserve_vcc 0
		.amdhsa_float_round_mode_32 0
		.amdhsa_float_round_mode_16_64 0
		.amdhsa_float_denorm_mode_32 3
		.amdhsa_float_denorm_mode_16_64 3
		.amdhsa_fp16_overflow 0
		.amdhsa_memory_ordered 1
		.amdhsa_forward_progress 1
		.amdhsa_inst_pref_size 1
		.amdhsa_round_robin_scheduling 0
		.amdhsa_exception_fp_ieee_invalid_op 0
		.amdhsa_exception_fp_denorm_src 0
		.amdhsa_exception_fp_ieee_div_zero 0
		.amdhsa_exception_fp_ieee_overflow 0
		.amdhsa_exception_fp_ieee_underflow 0
		.amdhsa_exception_fp_ieee_inexact 0
		.amdhsa_exception_int_div_zero 0
	.end_amdhsa_kernel
	.section	.text._ZN7rocprim17ROCPRIM_400000_NS6detail17trampoline_kernelINS0_14default_configENS1_25partition_config_selectorILNS1_17partition_subalgoE8EiNS0_10empty_typeEbEEZZNS1_14partition_implILS5_8ELb0ES3_jPKiPS6_PKS6_NS0_5tupleIJPiS6_EEENSE_IJSB_SB_EEENS0_18inequality_wrapperIN6hipcub16HIPCUB_304000_NS8EqualityEEEPlJS6_EEE10hipError_tPvRmT3_T4_T5_T6_T7_T9_mT8_P12ihipStream_tbDpT10_ENKUlT_T0_E_clISt17integral_constantIbLb1EES16_IbLb0EEEEDaS12_S13_EUlS12_E_NS1_11comp_targetILNS1_3genE0ELNS1_11target_archE4294967295ELNS1_3gpuE0ELNS1_3repE0EEENS1_30default_config_static_selectorELNS0_4arch9wavefront6targetE0EEEvT1_,"axG",@progbits,_ZN7rocprim17ROCPRIM_400000_NS6detail17trampoline_kernelINS0_14default_configENS1_25partition_config_selectorILNS1_17partition_subalgoE8EiNS0_10empty_typeEbEEZZNS1_14partition_implILS5_8ELb0ES3_jPKiPS6_PKS6_NS0_5tupleIJPiS6_EEENSE_IJSB_SB_EEENS0_18inequality_wrapperIN6hipcub16HIPCUB_304000_NS8EqualityEEEPlJS6_EEE10hipError_tPvRmT3_T4_T5_T6_T7_T9_mT8_P12ihipStream_tbDpT10_ENKUlT_T0_E_clISt17integral_constantIbLb1EES16_IbLb0EEEEDaS12_S13_EUlS12_E_NS1_11comp_targetILNS1_3genE0ELNS1_11target_archE4294967295ELNS1_3gpuE0ELNS1_3repE0EEENS1_30default_config_static_selectorELNS0_4arch9wavefront6targetE0EEEvT1_,comdat
.Lfunc_end204:
	.size	_ZN7rocprim17ROCPRIM_400000_NS6detail17trampoline_kernelINS0_14default_configENS1_25partition_config_selectorILNS1_17partition_subalgoE8EiNS0_10empty_typeEbEEZZNS1_14partition_implILS5_8ELb0ES3_jPKiPS6_PKS6_NS0_5tupleIJPiS6_EEENSE_IJSB_SB_EEENS0_18inequality_wrapperIN6hipcub16HIPCUB_304000_NS8EqualityEEEPlJS6_EEE10hipError_tPvRmT3_T4_T5_T6_T7_T9_mT8_P12ihipStream_tbDpT10_ENKUlT_T0_E_clISt17integral_constantIbLb1EES16_IbLb0EEEEDaS12_S13_EUlS12_E_NS1_11comp_targetILNS1_3genE0ELNS1_11target_archE4294967295ELNS1_3gpuE0ELNS1_3repE0EEENS1_30default_config_static_selectorELNS0_4arch9wavefront6targetE0EEEvT1_, .Lfunc_end204-_ZN7rocprim17ROCPRIM_400000_NS6detail17trampoline_kernelINS0_14default_configENS1_25partition_config_selectorILNS1_17partition_subalgoE8EiNS0_10empty_typeEbEEZZNS1_14partition_implILS5_8ELb0ES3_jPKiPS6_PKS6_NS0_5tupleIJPiS6_EEENSE_IJSB_SB_EEENS0_18inequality_wrapperIN6hipcub16HIPCUB_304000_NS8EqualityEEEPlJS6_EEE10hipError_tPvRmT3_T4_T5_T6_T7_T9_mT8_P12ihipStream_tbDpT10_ENKUlT_T0_E_clISt17integral_constantIbLb1EES16_IbLb0EEEEDaS12_S13_EUlS12_E_NS1_11comp_targetILNS1_3genE0ELNS1_11target_archE4294967295ELNS1_3gpuE0ELNS1_3repE0EEENS1_30default_config_static_selectorELNS0_4arch9wavefront6targetE0EEEvT1_
                                        ; -- End function
	.set _ZN7rocprim17ROCPRIM_400000_NS6detail17trampoline_kernelINS0_14default_configENS1_25partition_config_selectorILNS1_17partition_subalgoE8EiNS0_10empty_typeEbEEZZNS1_14partition_implILS5_8ELb0ES3_jPKiPS6_PKS6_NS0_5tupleIJPiS6_EEENSE_IJSB_SB_EEENS0_18inequality_wrapperIN6hipcub16HIPCUB_304000_NS8EqualityEEEPlJS6_EEE10hipError_tPvRmT3_T4_T5_T6_T7_T9_mT8_P12ihipStream_tbDpT10_ENKUlT_T0_E_clISt17integral_constantIbLb1EES16_IbLb0EEEEDaS12_S13_EUlS12_E_NS1_11comp_targetILNS1_3genE0ELNS1_11target_archE4294967295ELNS1_3gpuE0ELNS1_3repE0EEENS1_30default_config_static_selectorELNS0_4arch9wavefront6targetE0EEEvT1_.num_vgpr, 0
	.set _ZN7rocprim17ROCPRIM_400000_NS6detail17trampoline_kernelINS0_14default_configENS1_25partition_config_selectorILNS1_17partition_subalgoE8EiNS0_10empty_typeEbEEZZNS1_14partition_implILS5_8ELb0ES3_jPKiPS6_PKS6_NS0_5tupleIJPiS6_EEENSE_IJSB_SB_EEENS0_18inequality_wrapperIN6hipcub16HIPCUB_304000_NS8EqualityEEEPlJS6_EEE10hipError_tPvRmT3_T4_T5_T6_T7_T9_mT8_P12ihipStream_tbDpT10_ENKUlT_T0_E_clISt17integral_constantIbLb1EES16_IbLb0EEEEDaS12_S13_EUlS12_E_NS1_11comp_targetILNS1_3genE0ELNS1_11target_archE4294967295ELNS1_3gpuE0ELNS1_3repE0EEENS1_30default_config_static_selectorELNS0_4arch9wavefront6targetE0EEEvT1_.num_agpr, 0
	.set _ZN7rocprim17ROCPRIM_400000_NS6detail17trampoline_kernelINS0_14default_configENS1_25partition_config_selectorILNS1_17partition_subalgoE8EiNS0_10empty_typeEbEEZZNS1_14partition_implILS5_8ELb0ES3_jPKiPS6_PKS6_NS0_5tupleIJPiS6_EEENSE_IJSB_SB_EEENS0_18inequality_wrapperIN6hipcub16HIPCUB_304000_NS8EqualityEEEPlJS6_EEE10hipError_tPvRmT3_T4_T5_T6_T7_T9_mT8_P12ihipStream_tbDpT10_ENKUlT_T0_E_clISt17integral_constantIbLb1EES16_IbLb0EEEEDaS12_S13_EUlS12_E_NS1_11comp_targetILNS1_3genE0ELNS1_11target_archE4294967295ELNS1_3gpuE0ELNS1_3repE0EEENS1_30default_config_static_selectorELNS0_4arch9wavefront6targetE0EEEvT1_.numbered_sgpr, 0
	.set _ZN7rocprim17ROCPRIM_400000_NS6detail17trampoline_kernelINS0_14default_configENS1_25partition_config_selectorILNS1_17partition_subalgoE8EiNS0_10empty_typeEbEEZZNS1_14partition_implILS5_8ELb0ES3_jPKiPS6_PKS6_NS0_5tupleIJPiS6_EEENSE_IJSB_SB_EEENS0_18inequality_wrapperIN6hipcub16HIPCUB_304000_NS8EqualityEEEPlJS6_EEE10hipError_tPvRmT3_T4_T5_T6_T7_T9_mT8_P12ihipStream_tbDpT10_ENKUlT_T0_E_clISt17integral_constantIbLb1EES16_IbLb0EEEEDaS12_S13_EUlS12_E_NS1_11comp_targetILNS1_3genE0ELNS1_11target_archE4294967295ELNS1_3gpuE0ELNS1_3repE0EEENS1_30default_config_static_selectorELNS0_4arch9wavefront6targetE0EEEvT1_.num_named_barrier, 0
	.set _ZN7rocprim17ROCPRIM_400000_NS6detail17trampoline_kernelINS0_14default_configENS1_25partition_config_selectorILNS1_17partition_subalgoE8EiNS0_10empty_typeEbEEZZNS1_14partition_implILS5_8ELb0ES3_jPKiPS6_PKS6_NS0_5tupleIJPiS6_EEENSE_IJSB_SB_EEENS0_18inequality_wrapperIN6hipcub16HIPCUB_304000_NS8EqualityEEEPlJS6_EEE10hipError_tPvRmT3_T4_T5_T6_T7_T9_mT8_P12ihipStream_tbDpT10_ENKUlT_T0_E_clISt17integral_constantIbLb1EES16_IbLb0EEEEDaS12_S13_EUlS12_E_NS1_11comp_targetILNS1_3genE0ELNS1_11target_archE4294967295ELNS1_3gpuE0ELNS1_3repE0EEENS1_30default_config_static_selectorELNS0_4arch9wavefront6targetE0EEEvT1_.private_seg_size, 0
	.set _ZN7rocprim17ROCPRIM_400000_NS6detail17trampoline_kernelINS0_14default_configENS1_25partition_config_selectorILNS1_17partition_subalgoE8EiNS0_10empty_typeEbEEZZNS1_14partition_implILS5_8ELb0ES3_jPKiPS6_PKS6_NS0_5tupleIJPiS6_EEENSE_IJSB_SB_EEENS0_18inequality_wrapperIN6hipcub16HIPCUB_304000_NS8EqualityEEEPlJS6_EEE10hipError_tPvRmT3_T4_T5_T6_T7_T9_mT8_P12ihipStream_tbDpT10_ENKUlT_T0_E_clISt17integral_constantIbLb1EES16_IbLb0EEEEDaS12_S13_EUlS12_E_NS1_11comp_targetILNS1_3genE0ELNS1_11target_archE4294967295ELNS1_3gpuE0ELNS1_3repE0EEENS1_30default_config_static_selectorELNS0_4arch9wavefront6targetE0EEEvT1_.uses_vcc, 0
	.set _ZN7rocprim17ROCPRIM_400000_NS6detail17trampoline_kernelINS0_14default_configENS1_25partition_config_selectorILNS1_17partition_subalgoE8EiNS0_10empty_typeEbEEZZNS1_14partition_implILS5_8ELb0ES3_jPKiPS6_PKS6_NS0_5tupleIJPiS6_EEENSE_IJSB_SB_EEENS0_18inequality_wrapperIN6hipcub16HIPCUB_304000_NS8EqualityEEEPlJS6_EEE10hipError_tPvRmT3_T4_T5_T6_T7_T9_mT8_P12ihipStream_tbDpT10_ENKUlT_T0_E_clISt17integral_constantIbLb1EES16_IbLb0EEEEDaS12_S13_EUlS12_E_NS1_11comp_targetILNS1_3genE0ELNS1_11target_archE4294967295ELNS1_3gpuE0ELNS1_3repE0EEENS1_30default_config_static_selectorELNS0_4arch9wavefront6targetE0EEEvT1_.uses_flat_scratch, 0
	.set _ZN7rocprim17ROCPRIM_400000_NS6detail17trampoline_kernelINS0_14default_configENS1_25partition_config_selectorILNS1_17partition_subalgoE8EiNS0_10empty_typeEbEEZZNS1_14partition_implILS5_8ELb0ES3_jPKiPS6_PKS6_NS0_5tupleIJPiS6_EEENSE_IJSB_SB_EEENS0_18inequality_wrapperIN6hipcub16HIPCUB_304000_NS8EqualityEEEPlJS6_EEE10hipError_tPvRmT3_T4_T5_T6_T7_T9_mT8_P12ihipStream_tbDpT10_ENKUlT_T0_E_clISt17integral_constantIbLb1EES16_IbLb0EEEEDaS12_S13_EUlS12_E_NS1_11comp_targetILNS1_3genE0ELNS1_11target_archE4294967295ELNS1_3gpuE0ELNS1_3repE0EEENS1_30default_config_static_selectorELNS0_4arch9wavefront6targetE0EEEvT1_.has_dyn_sized_stack, 0
	.set _ZN7rocprim17ROCPRIM_400000_NS6detail17trampoline_kernelINS0_14default_configENS1_25partition_config_selectorILNS1_17partition_subalgoE8EiNS0_10empty_typeEbEEZZNS1_14partition_implILS5_8ELb0ES3_jPKiPS6_PKS6_NS0_5tupleIJPiS6_EEENSE_IJSB_SB_EEENS0_18inequality_wrapperIN6hipcub16HIPCUB_304000_NS8EqualityEEEPlJS6_EEE10hipError_tPvRmT3_T4_T5_T6_T7_T9_mT8_P12ihipStream_tbDpT10_ENKUlT_T0_E_clISt17integral_constantIbLb1EES16_IbLb0EEEEDaS12_S13_EUlS12_E_NS1_11comp_targetILNS1_3genE0ELNS1_11target_archE4294967295ELNS1_3gpuE0ELNS1_3repE0EEENS1_30default_config_static_selectorELNS0_4arch9wavefront6targetE0EEEvT1_.has_recursion, 0
	.set _ZN7rocprim17ROCPRIM_400000_NS6detail17trampoline_kernelINS0_14default_configENS1_25partition_config_selectorILNS1_17partition_subalgoE8EiNS0_10empty_typeEbEEZZNS1_14partition_implILS5_8ELb0ES3_jPKiPS6_PKS6_NS0_5tupleIJPiS6_EEENSE_IJSB_SB_EEENS0_18inequality_wrapperIN6hipcub16HIPCUB_304000_NS8EqualityEEEPlJS6_EEE10hipError_tPvRmT3_T4_T5_T6_T7_T9_mT8_P12ihipStream_tbDpT10_ENKUlT_T0_E_clISt17integral_constantIbLb1EES16_IbLb0EEEEDaS12_S13_EUlS12_E_NS1_11comp_targetILNS1_3genE0ELNS1_11target_archE4294967295ELNS1_3gpuE0ELNS1_3repE0EEENS1_30default_config_static_selectorELNS0_4arch9wavefront6targetE0EEEvT1_.has_indirect_call, 0
	.section	.AMDGPU.csdata,"",@progbits
; Kernel info:
; codeLenInByte = 4
; TotalNumSgprs: 0
; NumVgprs: 0
; ScratchSize: 0
; MemoryBound: 0
; FloatMode: 240
; IeeeMode: 1
; LDSByteSize: 0 bytes/workgroup (compile time only)
; SGPRBlocks: 0
; VGPRBlocks: 0
; NumSGPRsForWavesPerEU: 1
; NumVGPRsForWavesPerEU: 1
; NamedBarCnt: 0
; Occupancy: 16
; WaveLimiterHint : 0
; COMPUTE_PGM_RSRC2:SCRATCH_EN: 0
; COMPUTE_PGM_RSRC2:USER_SGPR: 2
; COMPUTE_PGM_RSRC2:TRAP_HANDLER: 0
; COMPUTE_PGM_RSRC2:TGID_X_EN: 1
; COMPUTE_PGM_RSRC2:TGID_Y_EN: 0
; COMPUTE_PGM_RSRC2:TGID_Z_EN: 0
; COMPUTE_PGM_RSRC2:TIDIG_COMP_CNT: 0
	.section	.text._ZN7rocprim17ROCPRIM_400000_NS6detail17trampoline_kernelINS0_14default_configENS1_25partition_config_selectorILNS1_17partition_subalgoE8EiNS0_10empty_typeEbEEZZNS1_14partition_implILS5_8ELb0ES3_jPKiPS6_PKS6_NS0_5tupleIJPiS6_EEENSE_IJSB_SB_EEENS0_18inequality_wrapperIN6hipcub16HIPCUB_304000_NS8EqualityEEEPlJS6_EEE10hipError_tPvRmT3_T4_T5_T6_T7_T9_mT8_P12ihipStream_tbDpT10_ENKUlT_T0_E_clISt17integral_constantIbLb1EES16_IbLb0EEEEDaS12_S13_EUlS12_E_NS1_11comp_targetILNS1_3genE5ELNS1_11target_archE942ELNS1_3gpuE9ELNS1_3repE0EEENS1_30default_config_static_selectorELNS0_4arch9wavefront6targetE0EEEvT1_,"axG",@progbits,_ZN7rocprim17ROCPRIM_400000_NS6detail17trampoline_kernelINS0_14default_configENS1_25partition_config_selectorILNS1_17partition_subalgoE8EiNS0_10empty_typeEbEEZZNS1_14partition_implILS5_8ELb0ES3_jPKiPS6_PKS6_NS0_5tupleIJPiS6_EEENSE_IJSB_SB_EEENS0_18inequality_wrapperIN6hipcub16HIPCUB_304000_NS8EqualityEEEPlJS6_EEE10hipError_tPvRmT3_T4_T5_T6_T7_T9_mT8_P12ihipStream_tbDpT10_ENKUlT_T0_E_clISt17integral_constantIbLb1EES16_IbLb0EEEEDaS12_S13_EUlS12_E_NS1_11comp_targetILNS1_3genE5ELNS1_11target_archE942ELNS1_3gpuE9ELNS1_3repE0EEENS1_30default_config_static_selectorELNS0_4arch9wavefront6targetE0EEEvT1_,comdat
	.protected	_ZN7rocprim17ROCPRIM_400000_NS6detail17trampoline_kernelINS0_14default_configENS1_25partition_config_selectorILNS1_17partition_subalgoE8EiNS0_10empty_typeEbEEZZNS1_14partition_implILS5_8ELb0ES3_jPKiPS6_PKS6_NS0_5tupleIJPiS6_EEENSE_IJSB_SB_EEENS0_18inequality_wrapperIN6hipcub16HIPCUB_304000_NS8EqualityEEEPlJS6_EEE10hipError_tPvRmT3_T4_T5_T6_T7_T9_mT8_P12ihipStream_tbDpT10_ENKUlT_T0_E_clISt17integral_constantIbLb1EES16_IbLb0EEEEDaS12_S13_EUlS12_E_NS1_11comp_targetILNS1_3genE5ELNS1_11target_archE942ELNS1_3gpuE9ELNS1_3repE0EEENS1_30default_config_static_selectorELNS0_4arch9wavefront6targetE0EEEvT1_ ; -- Begin function _ZN7rocprim17ROCPRIM_400000_NS6detail17trampoline_kernelINS0_14default_configENS1_25partition_config_selectorILNS1_17partition_subalgoE8EiNS0_10empty_typeEbEEZZNS1_14partition_implILS5_8ELb0ES3_jPKiPS6_PKS6_NS0_5tupleIJPiS6_EEENSE_IJSB_SB_EEENS0_18inequality_wrapperIN6hipcub16HIPCUB_304000_NS8EqualityEEEPlJS6_EEE10hipError_tPvRmT3_T4_T5_T6_T7_T9_mT8_P12ihipStream_tbDpT10_ENKUlT_T0_E_clISt17integral_constantIbLb1EES16_IbLb0EEEEDaS12_S13_EUlS12_E_NS1_11comp_targetILNS1_3genE5ELNS1_11target_archE942ELNS1_3gpuE9ELNS1_3repE0EEENS1_30default_config_static_selectorELNS0_4arch9wavefront6targetE0EEEvT1_
	.globl	_ZN7rocprim17ROCPRIM_400000_NS6detail17trampoline_kernelINS0_14default_configENS1_25partition_config_selectorILNS1_17partition_subalgoE8EiNS0_10empty_typeEbEEZZNS1_14partition_implILS5_8ELb0ES3_jPKiPS6_PKS6_NS0_5tupleIJPiS6_EEENSE_IJSB_SB_EEENS0_18inequality_wrapperIN6hipcub16HIPCUB_304000_NS8EqualityEEEPlJS6_EEE10hipError_tPvRmT3_T4_T5_T6_T7_T9_mT8_P12ihipStream_tbDpT10_ENKUlT_T0_E_clISt17integral_constantIbLb1EES16_IbLb0EEEEDaS12_S13_EUlS12_E_NS1_11comp_targetILNS1_3genE5ELNS1_11target_archE942ELNS1_3gpuE9ELNS1_3repE0EEENS1_30default_config_static_selectorELNS0_4arch9wavefront6targetE0EEEvT1_
	.p2align	8
	.type	_ZN7rocprim17ROCPRIM_400000_NS6detail17trampoline_kernelINS0_14default_configENS1_25partition_config_selectorILNS1_17partition_subalgoE8EiNS0_10empty_typeEbEEZZNS1_14partition_implILS5_8ELb0ES3_jPKiPS6_PKS6_NS0_5tupleIJPiS6_EEENSE_IJSB_SB_EEENS0_18inequality_wrapperIN6hipcub16HIPCUB_304000_NS8EqualityEEEPlJS6_EEE10hipError_tPvRmT3_T4_T5_T6_T7_T9_mT8_P12ihipStream_tbDpT10_ENKUlT_T0_E_clISt17integral_constantIbLb1EES16_IbLb0EEEEDaS12_S13_EUlS12_E_NS1_11comp_targetILNS1_3genE5ELNS1_11target_archE942ELNS1_3gpuE9ELNS1_3repE0EEENS1_30default_config_static_selectorELNS0_4arch9wavefront6targetE0EEEvT1_,@function
_ZN7rocprim17ROCPRIM_400000_NS6detail17trampoline_kernelINS0_14default_configENS1_25partition_config_selectorILNS1_17partition_subalgoE8EiNS0_10empty_typeEbEEZZNS1_14partition_implILS5_8ELb0ES3_jPKiPS6_PKS6_NS0_5tupleIJPiS6_EEENSE_IJSB_SB_EEENS0_18inequality_wrapperIN6hipcub16HIPCUB_304000_NS8EqualityEEEPlJS6_EEE10hipError_tPvRmT3_T4_T5_T6_T7_T9_mT8_P12ihipStream_tbDpT10_ENKUlT_T0_E_clISt17integral_constantIbLb1EES16_IbLb0EEEEDaS12_S13_EUlS12_E_NS1_11comp_targetILNS1_3genE5ELNS1_11target_archE942ELNS1_3gpuE9ELNS1_3repE0EEENS1_30default_config_static_selectorELNS0_4arch9wavefront6targetE0EEEvT1_: ; @_ZN7rocprim17ROCPRIM_400000_NS6detail17trampoline_kernelINS0_14default_configENS1_25partition_config_selectorILNS1_17partition_subalgoE8EiNS0_10empty_typeEbEEZZNS1_14partition_implILS5_8ELb0ES3_jPKiPS6_PKS6_NS0_5tupleIJPiS6_EEENSE_IJSB_SB_EEENS0_18inequality_wrapperIN6hipcub16HIPCUB_304000_NS8EqualityEEEPlJS6_EEE10hipError_tPvRmT3_T4_T5_T6_T7_T9_mT8_P12ihipStream_tbDpT10_ENKUlT_T0_E_clISt17integral_constantIbLb1EES16_IbLb0EEEEDaS12_S13_EUlS12_E_NS1_11comp_targetILNS1_3genE5ELNS1_11target_archE942ELNS1_3gpuE9ELNS1_3repE0EEENS1_30default_config_static_selectorELNS0_4arch9wavefront6targetE0EEEvT1_
; %bb.0:
	.section	.rodata,"a",@progbits
	.p2align	6, 0x0
	.amdhsa_kernel _ZN7rocprim17ROCPRIM_400000_NS6detail17trampoline_kernelINS0_14default_configENS1_25partition_config_selectorILNS1_17partition_subalgoE8EiNS0_10empty_typeEbEEZZNS1_14partition_implILS5_8ELb0ES3_jPKiPS6_PKS6_NS0_5tupleIJPiS6_EEENSE_IJSB_SB_EEENS0_18inequality_wrapperIN6hipcub16HIPCUB_304000_NS8EqualityEEEPlJS6_EEE10hipError_tPvRmT3_T4_T5_T6_T7_T9_mT8_P12ihipStream_tbDpT10_ENKUlT_T0_E_clISt17integral_constantIbLb1EES16_IbLb0EEEEDaS12_S13_EUlS12_E_NS1_11comp_targetILNS1_3genE5ELNS1_11target_archE942ELNS1_3gpuE9ELNS1_3repE0EEENS1_30default_config_static_selectorELNS0_4arch9wavefront6targetE0EEEvT1_
		.amdhsa_group_segment_fixed_size 0
		.amdhsa_private_segment_fixed_size 0
		.amdhsa_kernarg_size 112
		.amdhsa_user_sgpr_count 2
		.amdhsa_user_sgpr_dispatch_ptr 0
		.amdhsa_user_sgpr_queue_ptr 0
		.amdhsa_user_sgpr_kernarg_segment_ptr 1
		.amdhsa_user_sgpr_dispatch_id 0
		.amdhsa_user_sgpr_kernarg_preload_length 0
		.amdhsa_user_sgpr_kernarg_preload_offset 0
		.amdhsa_user_sgpr_private_segment_size 0
		.amdhsa_wavefront_size32 1
		.amdhsa_uses_dynamic_stack 0
		.amdhsa_enable_private_segment 0
		.amdhsa_system_sgpr_workgroup_id_x 1
		.amdhsa_system_sgpr_workgroup_id_y 0
		.amdhsa_system_sgpr_workgroup_id_z 0
		.amdhsa_system_sgpr_workgroup_info 0
		.amdhsa_system_vgpr_workitem_id 0
		.amdhsa_next_free_vgpr 1
		.amdhsa_next_free_sgpr 1
		.amdhsa_named_barrier_count 0
		.amdhsa_reserve_vcc 0
		.amdhsa_float_round_mode_32 0
		.amdhsa_float_round_mode_16_64 0
		.amdhsa_float_denorm_mode_32 3
		.amdhsa_float_denorm_mode_16_64 3
		.amdhsa_fp16_overflow 0
		.amdhsa_memory_ordered 1
		.amdhsa_forward_progress 1
		.amdhsa_inst_pref_size 0
		.amdhsa_round_robin_scheduling 0
		.amdhsa_exception_fp_ieee_invalid_op 0
		.amdhsa_exception_fp_denorm_src 0
		.amdhsa_exception_fp_ieee_div_zero 0
		.amdhsa_exception_fp_ieee_overflow 0
		.amdhsa_exception_fp_ieee_underflow 0
		.amdhsa_exception_fp_ieee_inexact 0
		.amdhsa_exception_int_div_zero 0
	.end_amdhsa_kernel
	.section	.text._ZN7rocprim17ROCPRIM_400000_NS6detail17trampoline_kernelINS0_14default_configENS1_25partition_config_selectorILNS1_17partition_subalgoE8EiNS0_10empty_typeEbEEZZNS1_14partition_implILS5_8ELb0ES3_jPKiPS6_PKS6_NS0_5tupleIJPiS6_EEENSE_IJSB_SB_EEENS0_18inequality_wrapperIN6hipcub16HIPCUB_304000_NS8EqualityEEEPlJS6_EEE10hipError_tPvRmT3_T4_T5_T6_T7_T9_mT8_P12ihipStream_tbDpT10_ENKUlT_T0_E_clISt17integral_constantIbLb1EES16_IbLb0EEEEDaS12_S13_EUlS12_E_NS1_11comp_targetILNS1_3genE5ELNS1_11target_archE942ELNS1_3gpuE9ELNS1_3repE0EEENS1_30default_config_static_selectorELNS0_4arch9wavefront6targetE0EEEvT1_,"axG",@progbits,_ZN7rocprim17ROCPRIM_400000_NS6detail17trampoline_kernelINS0_14default_configENS1_25partition_config_selectorILNS1_17partition_subalgoE8EiNS0_10empty_typeEbEEZZNS1_14partition_implILS5_8ELb0ES3_jPKiPS6_PKS6_NS0_5tupleIJPiS6_EEENSE_IJSB_SB_EEENS0_18inequality_wrapperIN6hipcub16HIPCUB_304000_NS8EqualityEEEPlJS6_EEE10hipError_tPvRmT3_T4_T5_T6_T7_T9_mT8_P12ihipStream_tbDpT10_ENKUlT_T0_E_clISt17integral_constantIbLb1EES16_IbLb0EEEEDaS12_S13_EUlS12_E_NS1_11comp_targetILNS1_3genE5ELNS1_11target_archE942ELNS1_3gpuE9ELNS1_3repE0EEENS1_30default_config_static_selectorELNS0_4arch9wavefront6targetE0EEEvT1_,comdat
.Lfunc_end205:
	.size	_ZN7rocprim17ROCPRIM_400000_NS6detail17trampoline_kernelINS0_14default_configENS1_25partition_config_selectorILNS1_17partition_subalgoE8EiNS0_10empty_typeEbEEZZNS1_14partition_implILS5_8ELb0ES3_jPKiPS6_PKS6_NS0_5tupleIJPiS6_EEENSE_IJSB_SB_EEENS0_18inequality_wrapperIN6hipcub16HIPCUB_304000_NS8EqualityEEEPlJS6_EEE10hipError_tPvRmT3_T4_T5_T6_T7_T9_mT8_P12ihipStream_tbDpT10_ENKUlT_T0_E_clISt17integral_constantIbLb1EES16_IbLb0EEEEDaS12_S13_EUlS12_E_NS1_11comp_targetILNS1_3genE5ELNS1_11target_archE942ELNS1_3gpuE9ELNS1_3repE0EEENS1_30default_config_static_selectorELNS0_4arch9wavefront6targetE0EEEvT1_, .Lfunc_end205-_ZN7rocprim17ROCPRIM_400000_NS6detail17trampoline_kernelINS0_14default_configENS1_25partition_config_selectorILNS1_17partition_subalgoE8EiNS0_10empty_typeEbEEZZNS1_14partition_implILS5_8ELb0ES3_jPKiPS6_PKS6_NS0_5tupleIJPiS6_EEENSE_IJSB_SB_EEENS0_18inequality_wrapperIN6hipcub16HIPCUB_304000_NS8EqualityEEEPlJS6_EEE10hipError_tPvRmT3_T4_T5_T6_T7_T9_mT8_P12ihipStream_tbDpT10_ENKUlT_T0_E_clISt17integral_constantIbLb1EES16_IbLb0EEEEDaS12_S13_EUlS12_E_NS1_11comp_targetILNS1_3genE5ELNS1_11target_archE942ELNS1_3gpuE9ELNS1_3repE0EEENS1_30default_config_static_selectorELNS0_4arch9wavefront6targetE0EEEvT1_
                                        ; -- End function
	.set _ZN7rocprim17ROCPRIM_400000_NS6detail17trampoline_kernelINS0_14default_configENS1_25partition_config_selectorILNS1_17partition_subalgoE8EiNS0_10empty_typeEbEEZZNS1_14partition_implILS5_8ELb0ES3_jPKiPS6_PKS6_NS0_5tupleIJPiS6_EEENSE_IJSB_SB_EEENS0_18inequality_wrapperIN6hipcub16HIPCUB_304000_NS8EqualityEEEPlJS6_EEE10hipError_tPvRmT3_T4_T5_T6_T7_T9_mT8_P12ihipStream_tbDpT10_ENKUlT_T0_E_clISt17integral_constantIbLb1EES16_IbLb0EEEEDaS12_S13_EUlS12_E_NS1_11comp_targetILNS1_3genE5ELNS1_11target_archE942ELNS1_3gpuE9ELNS1_3repE0EEENS1_30default_config_static_selectorELNS0_4arch9wavefront6targetE0EEEvT1_.num_vgpr, 0
	.set _ZN7rocprim17ROCPRIM_400000_NS6detail17trampoline_kernelINS0_14default_configENS1_25partition_config_selectorILNS1_17partition_subalgoE8EiNS0_10empty_typeEbEEZZNS1_14partition_implILS5_8ELb0ES3_jPKiPS6_PKS6_NS0_5tupleIJPiS6_EEENSE_IJSB_SB_EEENS0_18inequality_wrapperIN6hipcub16HIPCUB_304000_NS8EqualityEEEPlJS6_EEE10hipError_tPvRmT3_T4_T5_T6_T7_T9_mT8_P12ihipStream_tbDpT10_ENKUlT_T0_E_clISt17integral_constantIbLb1EES16_IbLb0EEEEDaS12_S13_EUlS12_E_NS1_11comp_targetILNS1_3genE5ELNS1_11target_archE942ELNS1_3gpuE9ELNS1_3repE0EEENS1_30default_config_static_selectorELNS0_4arch9wavefront6targetE0EEEvT1_.num_agpr, 0
	.set _ZN7rocprim17ROCPRIM_400000_NS6detail17trampoline_kernelINS0_14default_configENS1_25partition_config_selectorILNS1_17partition_subalgoE8EiNS0_10empty_typeEbEEZZNS1_14partition_implILS5_8ELb0ES3_jPKiPS6_PKS6_NS0_5tupleIJPiS6_EEENSE_IJSB_SB_EEENS0_18inequality_wrapperIN6hipcub16HIPCUB_304000_NS8EqualityEEEPlJS6_EEE10hipError_tPvRmT3_T4_T5_T6_T7_T9_mT8_P12ihipStream_tbDpT10_ENKUlT_T0_E_clISt17integral_constantIbLb1EES16_IbLb0EEEEDaS12_S13_EUlS12_E_NS1_11comp_targetILNS1_3genE5ELNS1_11target_archE942ELNS1_3gpuE9ELNS1_3repE0EEENS1_30default_config_static_selectorELNS0_4arch9wavefront6targetE0EEEvT1_.numbered_sgpr, 0
	.set _ZN7rocprim17ROCPRIM_400000_NS6detail17trampoline_kernelINS0_14default_configENS1_25partition_config_selectorILNS1_17partition_subalgoE8EiNS0_10empty_typeEbEEZZNS1_14partition_implILS5_8ELb0ES3_jPKiPS6_PKS6_NS0_5tupleIJPiS6_EEENSE_IJSB_SB_EEENS0_18inequality_wrapperIN6hipcub16HIPCUB_304000_NS8EqualityEEEPlJS6_EEE10hipError_tPvRmT3_T4_T5_T6_T7_T9_mT8_P12ihipStream_tbDpT10_ENKUlT_T0_E_clISt17integral_constantIbLb1EES16_IbLb0EEEEDaS12_S13_EUlS12_E_NS1_11comp_targetILNS1_3genE5ELNS1_11target_archE942ELNS1_3gpuE9ELNS1_3repE0EEENS1_30default_config_static_selectorELNS0_4arch9wavefront6targetE0EEEvT1_.num_named_barrier, 0
	.set _ZN7rocprim17ROCPRIM_400000_NS6detail17trampoline_kernelINS0_14default_configENS1_25partition_config_selectorILNS1_17partition_subalgoE8EiNS0_10empty_typeEbEEZZNS1_14partition_implILS5_8ELb0ES3_jPKiPS6_PKS6_NS0_5tupleIJPiS6_EEENSE_IJSB_SB_EEENS0_18inequality_wrapperIN6hipcub16HIPCUB_304000_NS8EqualityEEEPlJS6_EEE10hipError_tPvRmT3_T4_T5_T6_T7_T9_mT8_P12ihipStream_tbDpT10_ENKUlT_T0_E_clISt17integral_constantIbLb1EES16_IbLb0EEEEDaS12_S13_EUlS12_E_NS1_11comp_targetILNS1_3genE5ELNS1_11target_archE942ELNS1_3gpuE9ELNS1_3repE0EEENS1_30default_config_static_selectorELNS0_4arch9wavefront6targetE0EEEvT1_.private_seg_size, 0
	.set _ZN7rocprim17ROCPRIM_400000_NS6detail17trampoline_kernelINS0_14default_configENS1_25partition_config_selectorILNS1_17partition_subalgoE8EiNS0_10empty_typeEbEEZZNS1_14partition_implILS5_8ELb0ES3_jPKiPS6_PKS6_NS0_5tupleIJPiS6_EEENSE_IJSB_SB_EEENS0_18inequality_wrapperIN6hipcub16HIPCUB_304000_NS8EqualityEEEPlJS6_EEE10hipError_tPvRmT3_T4_T5_T6_T7_T9_mT8_P12ihipStream_tbDpT10_ENKUlT_T0_E_clISt17integral_constantIbLb1EES16_IbLb0EEEEDaS12_S13_EUlS12_E_NS1_11comp_targetILNS1_3genE5ELNS1_11target_archE942ELNS1_3gpuE9ELNS1_3repE0EEENS1_30default_config_static_selectorELNS0_4arch9wavefront6targetE0EEEvT1_.uses_vcc, 0
	.set _ZN7rocprim17ROCPRIM_400000_NS6detail17trampoline_kernelINS0_14default_configENS1_25partition_config_selectorILNS1_17partition_subalgoE8EiNS0_10empty_typeEbEEZZNS1_14partition_implILS5_8ELb0ES3_jPKiPS6_PKS6_NS0_5tupleIJPiS6_EEENSE_IJSB_SB_EEENS0_18inequality_wrapperIN6hipcub16HIPCUB_304000_NS8EqualityEEEPlJS6_EEE10hipError_tPvRmT3_T4_T5_T6_T7_T9_mT8_P12ihipStream_tbDpT10_ENKUlT_T0_E_clISt17integral_constantIbLb1EES16_IbLb0EEEEDaS12_S13_EUlS12_E_NS1_11comp_targetILNS1_3genE5ELNS1_11target_archE942ELNS1_3gpuE9ELNS1_3repE0EEENS1_30default_config_static_selectorELNS0_4arch9wavefront6targetE0EEEvT1_.uses_flat_scratch, 0
	.set _ZN7rocprim17ROCPRIM_400000_NS6detail17trampoline_kernelINS0_14default_configENS1_25partition_config_selectorILNS1_17partition_subalgoE8EiNS0_10empty_typeEbEEZZNS1_14partition_implILS5_8ELb0ES3_jPKiPS6_PKS6_NS0_5tupleIJPiS6_EEENSE_IJSB_SB_EEENS0_18inequality_wrapperIN6hipcub16HIPCUB_304000_NS8EqualityEEEPlJS6_EEE10hipError_tPvRmT3_T4_T5_T6_T7_T9_mT8_P12ihipStream_tbDpT10_ENKUlT_T0_E_clISt17integral_constantIbLb1EES16_IbLb0EEEEDaS12_S13_EUlS12_E_NS1_11comp_targetILNS1_3genE5ELNS1_11target_archE942ELNS1_3gpuE9ELNS1_3repE0EEENS1_30default_config_static_selectorELNS0_4arch9wavefront6targetE0EEEvT1_.has_dyn_sized_stack, 0
	.set _ZN7rocprim17ROCPRIM_400000_NS6detail17trampoline_kernelINS0_14default_configENS1_25partition_config_selectorILNS1_17partition_subalgoE8EiNS0_10empty_typeEbEEZZNS1_14partition_implILS5_8ELb0ES3_jPKiPS6_PKS6_NS0_5tupleIJPiS6_EEENSE_IJSB_SB_EEENS0_18inequality_wrapperIN6hipcub16HIPCUB_304000_NS8EqualityEEEPlJS6_EEE10hipError_tPvRmT3_T4_T5_T6_T7_T9_mT8_P12ihipStream_tbDpT10_ENKUlT_T0_E_clISt17integral_constantIbLb1EES16_IbLb0EEEEDaS12_S13_EUlS12_E_NS1_11comp_targetILNS1_3genE5ELNS1_11target_archE942ELNS1_3gpuE9ELNS1_3repE0EEENS1_30default_config_static_selectorELNS0_4arch9wavefront6targetE0EEEvT1_.has_recursion, 0
	.set _ZN7rocprim17ROCPRIM_400000_NS6detail17trampoline_kernelINS0_14default_configENS1_25partition_config_selectorILNS1_17partition_subalgoE8EiNS0_10empty_typeEbEEZZNS1_14partition_implILS5_8ELb0ES3_jPKiPS6_PKS6_NS0_5tupleIJPiS6_EEENSE_IJSB_SB_EEENS0_18inequality_wrapperIN6hipcub16HIPCUB_304000_NS8EqualityEEEPlJS6_EEE10hipError_tPvRmT3_T4_T5_T6_T7_T9_mT8_P12ihipStream_tbDpT10_ENKUlT_T0_E_clISt17integral_constantIbLb1EES16_IbLb0EEEEDaS12_S13_EUlS12_E_NS1_11comp_targetILNS1_3genE5ELNS1_11target_archE942ELNS1_3gpuE9ELNS1_3repE0EEENS1_30default_config_static_selectorELNS0_4arch9wavefront6targetE0EEEvT1_.has_indirect_call, 0
	.section	.AMDGPU.csdata,"",@progbits
; Kernel info:
; codeLenInByte = 0
; TotalNumSgprs: 0
; NumVgprs: 0
; ScratchSize: 0
; MemoryBound: 0
; FloatMode: 240
; IeeeMode: 1
; LDSByteSize: 0 bytes/workgroup (compile time only)
; SGPRBlocks: 0
; VGPRBlocks: 0
; NumSGPRsForWavesPerEU: 1
; NumVGPRsForWavesPerEU: 1
; NamedBarCnt: 0
; Occupancy: 16
; WaveLimiterHint : 0
; COMPUTE_PGM_RSRC2:SCRATCH_EN: 0
; COMPUTE_PGM_RSRC2:USER_SGPR: 2
; COMPUTE_PGM_RSRC2:TRAP_HANDLER: 0
; COMPUTE_PGM_RSRC2:TGID_X_EN: 1
; COMPUTE_PGM_RSRC2:TGID_Y_EN: 0
; COMPUTE_PGM_RSRC2:TGID_Z_EN: 0
; COMPUTE_PGM_RSRC2:TIDIG_COMP_CNT: 0
	.section	.text._ZN7rocprim17ROCPRIM_400000_NS6detail17trampoline_kernelINS0_14default_configENS1_25partition_config_selectorILNS1_17partition_subalgoE8EiNS0_10empty_typeEbEEZZNS1_14partition_implILS5_8ELb0ES3_jPKiPS6_PKS6_NS0_5tupleIJPiS6_EEENSE_IJSB_SB_EEENS0_18inequality_wrapperIN6hipcub16HIPCUB_304000_NS8EqualityEEEPlJS6_EEE10hipError_tPvRmT3_T4_T5_T6_T7_T9_mT8_P12ihipStream_tbDpT10_ENKUlT_T0_E_clISt17integral_constantIbLb1EES16_IbLb0EEEEDaS12_S13_EUlS12_E_NS1_11comp_targetILNS1_3genE4ELNS1_11target_archE910ELNS1_3gpuE8ELNS1_3repE0EEENS1_30default_config_static_selectorELNS0_4arch9wavefront6targetE0EEEvT1_,"axG",@progbits,_ZN7rocprim17ROCPRIM_400000_NS6detail17trampoline_kernelINS0_14default_configENS1_25partition_config_selectorILNS1_17partition_subalgoE8EiNS0_10empty_typeEbEEZZNS1_14partition_implILS5_8ELb0ES3_jPKiPS6_PKS6_NS0_5tupleIJPiS6_EEENSE_IJSB_SB_EEENS0_18inequality_wrapperIN6hipcub16HIPCUB_304000_NS8EqualityEEEPlJS6_EEE10hipError_tPvRmT3_T4_T5_T6_T7_T9_mT8_P12ihipStream_tbDpT10_ENKUlT_T0_E_clISt17integral_constantIbLb1EES16_IbLb0EEEEDaS12_S13_EUlS12_E_NS1_11comp_targetILNS1_3genE4ELNS1_11target_archE910ELNS1_3gpuE8ELNS1_3repE0EEENS1_30default_config_static_selectorELNS0_4arch9wavefront6targetE0EEEvT1_,comdat
	.protected	_ZN7rocprim17ROCPRIM_400000_NS6detail17trampoline_kernelINS0_14default_configENS1_25partition_config_selectorILNS1_17partition_subalgoE8EiNS0_10empty_typeEbEEZZNS1_14partition_implILS5_8ELb0ES3_jPKiPS6_PKS6_NS0_5tupleIJPiS6_EEENSE_IJSB_SB_EEENS0_18inequality_wrapperIN6hipcub16HIPCUB_304000_NS8EqualityEEEPlJS6_EEE10hipError_tPvRmT3_T4_T5_T6_T7_T9_mT8_P12ihipStream_tbDpT10_ENKUlT_T0_E_clISt17integral_constantIbLb1EES16_IbLb0EEEEDaS12_S13_EUlS12_E_NS1_11comp_targetILNS1_3genE4ELNS1_11target_archE910ELNS1_3gpuE8ELNS1_3repE0EEENS1_30default_config_static_selectorELNS0_4arch9wavefront6targetE0EEEvT1_ ; -- Begin function _ZN7rocprim17ROCPRIM_400000_NS6detail17trampoline_kernelINS0_14default_configENS1_25partition_config_selectorILNS1_17partition_subalgoE8EiNS0_10empty_typeEbEEZZNS1_14partition_implILS5_8ELb0ES3_jPKiPS6_PKS6_NS0_5tupleIJPiS6_EEENSE_IJSB_SB_EEENS0_18inequality_wrapperIN6hipcub16HIPCUB_304000_NS8EqualityEEEPlJS6_EEE10hipError_tPvRmT3_T4_T5_T6_T7_T9_mT8_P12ihipStream_tbDpT10_ENKUlT_T0_E_clISt17integral_constantIbLb1EES16_IbLb0EEEEDaS12_S13_EUlS12_E_NS1_11comp_targetILNS1_3genE4ELNS1_11target_archE910ELNS1_3gpuE8ELNS1_3repE0EEENS1_30default_config_static_selectorELNS0_4arch9wavefront6targetE0EEEvT1_
	.globl	_ZN7rocprim17ROCPRIM_400000_NS6detail17trampoline_kernelINS0_14default_configENS1_25partition_config_selectorILNS1_17partition_subalgoE8EiNS0_10empty_typeEbEEZZNS1_14partition_implILS5_8ELb0ES3_jPKiPS6_PKS6_NS0_5tupleIJPiS6_EEENSE_IJSB_SB_EEENS0_18inequality_wrapperIN6hipcub16HIPCUB_304000_NS8EqualityEEEPlJS6_EEE10hipError_tPvRmT3_T4_T5_T6_T7_T9_mT8_P12ihipStream_tbDpT10_ENKUlT_T0_E_clISt17integral_constantIbLb1EES16_IbLb0EEEEDaS12_S13_EUlS12_E_NS1_11comp_targetILNS1_3genE4ELNS1_11target_archE910ELNS1_3gpuE8ELNS1_3repE0EEENS1_30default_config_static_selectorELNS0_4arch9wavefront6targetE0EEEvT1_
	.p2align	8
	.type	_ZN7rocprim17ROCPRIM_400000_NS6detail17trampoline_kernelINS0_14default_configENS1_25partition_config_selectorILNS1_17partition_subalgoE8EiNS0_10empty_typeEbEEZZNS1_14partition_implILS5_8ELb0ES3_jPKiPS6_PKS6_NS0_5tupleIJPiS6_EEENSE_IJSB_SB_EEENS0_18inequality_wrapperIN6hipcub16HIPCUB_304000_NS8EqualityEEEPlJS6_EEE10hipError_tPvRmT3_T4_T5_T6_T7_T9_mT8_P12ihipStream_tbDpT10_ENKUlT_T0_E_clISt17integral_constantIbLb1EES16_IbLb0EEEEDaS12_S13_EUlS12_E_NS1_11comp_targetILNS1_3genE4ELNS1_11target_archE910ELNS1_3gpuE8ELNS1_3repE0EEENS1_30default_config_static_selectorELNS0_4arch9wavefront6targetE0EEEvT1_,@function
_ZN7rocprim17ROCPRIM_400000_NS6detail17trampoline_kernelINS0_14default_configENS1_25partition_config_selectorILNS1_17partition_subalgoE8EiNS0_10empty_typeEbEEZZNS1_14partition_implILS5_8ELb0ES3_jPKiPS6_PKS6_NS0_5tupleIJPiS6_EEENSE_IJSB_SB_EEENS0_18inequality_wrapperIN6hipcub16HIPCUB_304000_NS8EqualityEEEPlJS6_EEE10hipError_tPvRmT3_T4_T5_T6_T7_T9_mT8_P12ihipStream_tbDpT10_ENKUlT_T0_E_clISt17integral_constantIbLb1EES16_IbLb0EEEEDaS12_S13_EUlS12_E_NS1_11comp_targetILNS1_3genE4ELNS1_11target_archE910ELNS1_3gpuE8ELNS1_3repE0EEENS1_30default_config_static_selectorELNS0_4arch9wavefront6targetE0EEEvT1_: ; @_ZN7rocprim17ROCPRIM_400000_NS6detail17trampoline_kernelINS0_14default_configENS1_25partition_config_selectorILNS1_17partition_subalgoE8EiNS0_10empty_typeEbEEZZNS1_14partition_implILS5_8ELb0ES3_jPKiPS6_PKS6_NS0_5tupleIJPiS6_EEENSE_IJSB_SB_EEENS0_18inequality_wrapperIN6hipcub16HIPCUB_304000_NS8EqualityEEEPlJS6_EEE10hipError_tPvRmT3_T4_T5_T6_T7_T9_mT8_P12ihipStream_tbDpT10_ENKUlT_T0_E_clISt17integral_constantIbLb1EES16_IbLb0EEEEDaS12_S13_EUlS12_E_NS1_11comp_targetILNS1_3genE4ELNS1_11target_archE910ELNS1_3gpuE8ELNS1_3repE0EEENS1_30default_config_static_selectorELNS0_4arch9wavefront6targetE0EEEvT1_
; %bb.0:
	.section	.rodata,"a",@progbits
	.p2align	6, 0x0
	.amdhsa_kernel _ZN7rocprim17ROCPRIM_400000_NS6detail17trampoline_kernelINS0_14default_configENS1_25partition_config_selectorILNS1_17partition_subalgoE8EiNS0_10empty_typeEbEEZZNS1_14partition_implILS5_8ELb0ES3_jPKiPS6_PKS6_NS0_5tupleIJPiS6_EEENSE_IJSB_SB_EEENS0_18inequality_wrapperIN6hipcub16HIPCUB_304000_NS8EqualityEEEPlJS6_EEE10hipError_tPvRmT3_T4_T5_T6_T7_T9_mT8_P12ihipStream_tbDpT10_ENKUlT_T0_E_clISt17integral_constantIbLb1EES16_IbLb0EEEEDaS12_S13_EUlS12_E_NS1_11comp_targetILNS1_3genE4ELNS1_11target_archE910ELNS1_3gpuE8ELNS1_3repE0EEENS1_30default_config_static_selectorELNS0_4arch9wavefront6targetE0EEEvT1_
		.amdhsa_group_segment_fixed_size 0
		.amdhsa_private_segment_fixed_size 0
		.amdhsa_kernarg_size 112
		.amdhsa_user_sgpr_count 2
		.amdhsa_user_sgpr_dispatch_ptr 0
		.amdhsa_user_sgpr_queue_ptr 0
		.amdhsa_user_sgpr_kernarg_segment_ptr 1
		.amdhsa_user_sgpr_dispatch_id 0
		.amdhsa_user_sgpr_kernarg_preload_length 0
		.amdhsa_user_sgpr_kernarg_preload_offset 0
		.amdhsa_user_sgpr_private_segment_size 0
		.amdhsa_wavefront_size32 1
		.amdhsa_uses_dynamic_stack 0
		.amdhsa_enable_private_segment 0
		.amdhsa_system_sgpr_workgroup_id_x 1
		.amdhsa_system_sgpr_workgroup_id_y 0
		.amdhsa_system_sgpr_workgroup_id_z 0
		.amdhsa_system_sgpr_workgroup_info 0
		.amdhsa_system_vgpr_workitem_id 0
		.amdhsa_next_free_vgpr 1
		.amdhsa_next_free_sgpr 1
		.amdhsa_named_barrier_count 0
		.amdhsa_reserve_vcc 0
		.amdhsa_float_round_mode_32 0
		.amdhsa_float_round_mode_16_64 0
		.amdhsa_float_denorm_mode_32 3
		.amdhsa_float_denorm_mode_16_64 3
		.amdhsa_fp16_overflow 0
		.amdhsa_memory_ordered 1
		.amdhsa_forward_progress 1
		.amdhsa_inst_pref_size 0
		.amdhsa_round_robin_scheduling 0
		.amdhsa_exception_fp_ieee_invalid_op 0
		.amdhsa_exception_fp_denorm_src 0
		.amdhsa_exception_fp_ieee_div_zero 0
		.amdhsa_exception_fp_ieee_overflow 0
		.amdhsa_exception_fp_ieee_underflow 0
		.amdhsa_exception_fp_ieee_inexact 0
		.amdhsa_exception_int_div_zero 0
	.end_amdhsa_kernel
	.section	.text._ZN7rocprim17ROCPRIM_400000_NS6detail17trampoline_kernelINS0_14default_configENS1_25partition_config_selectorILNS1_17partition_subalgoE8EiNS0_10empty_typeEbEEZZNS1_14partition_implILS5_8ELb0ES3_jPKiPS6_PKS6_NS0_5tupleIJPiS6_EEENSE_IJSB_SB_EEENS0_18inequality_wrapperIN6hipcub16HIPCUB_304000_NS8EqualityEEEPlJS6_EEE10hipError_tPvRmT3_T4_T5_T6_T7_T9_mT8_P12ihipStream_tbDpT10_ENKUlT_T0_E_clISt17integral_constantIbLb1EES16_IbLb0EEEEDaS12_S13_EUlS12_E_NS1_11comp_targetILNS1_3genE4ELNS1_11target_archE910ELNS1_3gpuE8ELNS1_3repE0EEENS1_30default_config_static_selectorELNS0_4arch9wavefront6targetE0EEEvT1_,"axG",@progbits,_ZN7rocprim17ROCPRIM_400000_NS6detail17trampoline_kernelINS0_14default_configENS1_25partition_config_selectorILNS1_17partition_subalgoE8EiNS0_10empty_typeEbEEZZNS1_14partition_implILS5_8ELb0ES3_jPKiPS6_PKS6_NS0_5tupleIJPiS6_EEENSE_IJSB_SB_EEENS0_18inequality_wrapperIN6hipcub16HIPCUB_304000_NS8EqualityEEEPlJS6_EEE10hipError_tPvRmT3_T4_T5_T6_T7_T9_mT8_P12ihipStream_tbDpT10_ENKUlT_T0_E_clISt17integral_constantIbLb1EES16_IbLb0EEEEDaS12_S13_EUlS12_E_NS1_11comp_targetILNS1_3genE4ELNS1_11target_archE910ELNS1_3gpuE8ELNS1_3repE0EEENS1_30default_config_static_selectorELNS0_4arch9wavefront6targetE0EEEvT1_,comdat
.Lfunc_end206:
	.size	_ZN7rocprim17ROCPRIM_400000_NS6detail17trampoline_kernelINS0_14default_configENS1_25partition_config_selectorILNS1_17partition_subalgoE8EiNS0_10empty_typeEbEEZZNS1_14partition_implILS5_8ELb0ES3_jPKiPS6_PKS6_NS0_5tupleIJPiS6_EEENSE_IJSB_SB_EEENS0_18inequality_wrapperIN6hipcub16HIPCUB_304000_NS8EqualityEEEPlJS6_EEE10hipError_tPvRmT3_T4_T5_T6_T7_T9_mT8_P12ihipStream_tbDpT10_ENKUlT_T0_E_clISt17integral_constantIbLb1EES16_IbLb0EEEEDaS12_S13_EUlS12_E_NS1_11comp_targetILNS1_3genE4ELNS1_11target_archE910ELNS1_3gpuE8ELNS1_3repE0EEENS1_30default_config_static_selectorELNS0_4arch9wavefront6targetE0EEEvT1_, .Lfunc_end206-_ZN7rocprim17ROCPRIM_400000_NS6detail17trampoline_kernelINS0_14default_configENS1_25partition_config_selectorILNS1_17partition_subalgoE8EiNS0_10empty_typeEbEEZZNS1_14partition_implILS5_8ELb0ES3_jPKiPS6_PKS6_NS0_5tupleIJPiS6_EEENSE_IJSB_SB_EEENS0_18inequality_wrapperIN6hipcub16HIPCUB_304000_NS8EqualityEEEPlJS6_EEE10hipError_tPvRmT3_T4_T5_T6_T7_T9_mT8_P12ihipStream_tbDpT10_ENKUlT_T0_E_clISt17integral_constantIbLb1EES16_IbLb0EEEEDaS12_S13_EUlS12_E_NS1_11comp_targetILNS1_3genE4ELNS1_11target_archE910ELNS1_3gpuE8ELNS1_3repE0EEENS1_30default_config_static_selectorELNS0_4arch9wavefront6targetE0EEEvT1_
                                        ; -- End function
	.set _ZN7rocprim17ROCPRIM_400000_NS6detail17trampoline_kernelINS0_14default_configENS1_25partition_config_selectorILNS1_17partition_subalgoE8EiNS0_10empty_typeEbEEZZNS1_14partition_implILS5_8ELb0ES3_jPKiPS6_PKS6_NS0_5tupleIJPiS6_EEENSE_IJSB_SB_EEENS0_18inequality_wrapperIN6hipcub16HIPCUB_304000_NS8EqualityEEEPlJS6_EEE10hipError_tPvRmT3_T4_T5_T6_T7_T9_mT8_P12ihipStream_tbDpT10_ENKUlT_T0_E_clISt17integral_constantIbLb1EES16_IbLb0EEEEDaS12_S13_EUlS12_E_NS1_11comp_targetILNS1_3genE4ELNS1_11target_archE910ELNS1_3gpuE8ELNS1_3repE0EEENS1_30default_config_static_selectorELNS0_4arch9wavefront6targetE0EEEvT1_.num_vgpr, 0
	.set _ZN7rocprim17ROCPRIM_400000_NS6detail17trampoline_kernelINS0_14default_configENS1_25partition_config_selectorILNS1_17partition_subalgoE8EiNS0_10empty_typeEbEEZZNS1_14partition_implILS5_8ELb0ES3_jPKiPS6_PKS6_NS0_5tupleIJPiS6_EEENSE_IJSB_SB_EEENS0_18inequality_wrapperIN6hipcub16HIPCUB_304000_NS8EqualityEEEPlJS6_EEE10hipError_tPvRmT3_T4_T5_T6_T7_T9_mT8_P12ihipStream_tbDpT10_ENKUlT_T0_E_clISt17integral_constantIbLb1EES16_IbLb0EEEEDaS12_S13_EUlS12_E_NS1_11comp_targetILNS1_3genE4ELNS1_11target_archE910ELNS1_3gpuE8ELNS1_3repE0EEENS1_30default_config_static_selectorELNS0_4arch9wavefront6targetE0EEEvT1_.num_agpr, 0
	.set _ZN7rocprim17ROCPRIM_400000_NS6detail17trampoline_kernelINS0_14default_configENS1_25partition_config_selectorILNS1_17partition_subalgoE8EiNS0_10empty_typeEbEEZZNS1_14partition_implILS5_8ELb0ES3_jPKiPS6_PKS6_NS0_5tupleIJPiS6_EEENSE_IJSB_SB_EEENS0_18inequality_wrapperIN6hipcub16HIPCUB_304000_NS8EqualityEEEPlJS6_EEE10hipError_tPvRmT3_T4_T5_T6_T7_T9_mT8_P12ihipStream_tbDpT10_ENKUlT_T0_E_clISt17integral_constantIbLb1EES16_IbLb0EEEEDaS12_S13_EUlS12_E_NS1_11comp_targetILNS1_3genE4ELNS1_11target_archE910ELNS1_3gpuE8ELNS1_3repE0EEENS1_30default_config_static_selectorELNS0_4arch9wavefront6targetE0EEEvT1_.numbered_sgpr, 0
	.set _ZN7rocprim17ROCPRIM_400000_NS6detail17trampoline_kernelINS0_14default_configENS1_25partition_config_selectorILNS1_17partition_subalgoE8EiNS0_10empty_typeEbEEZZNS1_14partition_implILS5_8ELb0ES3_jPKiPS6_PKS6_NS0_5tupleIJPiS6_EEENSE_IJSB_SB_EEENS0_18inequality_wrapperIN6hipcub16HIPCUB_304000_NS8EqualityEEEPlJS6_EEE10hipError_tPvRmT3_T4_T5_T6_T7_T9_mT8_P12ihipStream_tbDpT10_ENKUlT_T0_E_clISt17integral_constantIbLb1EES16_IbLb0EEEEDaS12_S13_EUlS12_E_NS1_11comp_targetILNS1_3genE4ELNS1_11target_archE910ELNS1_3gpuE8ELNS1_3repE0EEENS1_30default_config_static_selectorELNS0_4arch9wavefront6targetE0EEEvT1_.num_named_barrier, 0
	.set _ZN7rocprim17ROCPRIM_400000_NS6detail17trampoline_kernelINS0_14default_configENS1_25partition_config_selectorILNS1_17partition_subalgoE8EiNS0_10empty_typeEbEEZZNS1_14partition_implILS5_8ELb0ES3_jPKiPS6_PKS6_NS0_5tupleIJPiS6_EEENSE_IJSB_SB_EEENS0_18inequality_wrapperIN6hipcub16HIPCUB_304000_NS8EqualityEEEPlJS6_EEE10hipError_tPvRmT3_T4_T5_T6_T7_T9_mT8_P12ihipStream_tbDpT10_ENKUlT_T0_E_clISt17integral_constantIbLb1EES16_IbLb0EEEEDaS12_S13_EUlS12_E_NS1_11comp_targetILNS1_3genE4ELNS1_11target_archE910ELNS1_3gpuE8ELNS1_3repE0EEENS1_30default_config_static_selectorELNS0_4arch9wavefront6targetE0EEEvT1_.private_seg_size, 0
	.set _ZN7rocprim17ROCPRIM_400000_NS6detail17trampoline_kernelINS0_14default_configENS1_25partition_config_selectorILNS1_17partition_subalgoE8EiNS0_10empty_typeEbEEZZNS1_14partition_implILS5_8ELb0ES3_jPKiPS6_PKS6_NS0_5tupleIJPiS6_EEENSE_IJSB_SB_EEENS0_18inequality_wrapperIN6hipcub16HIPCUB_304000_NS8EqualityEEEPlJS6_EEE10hipError_tPvRmT3_T4_T5_T6_T7_T9_mT8_P12ihipStream_tbDpT10_ENKUlT_T0_E_clISt17integral_constantIbLb1EES16_IbLb0EEEEDaS12_S13_EUlS12_E_NS1_11comp_targetILNS1_3genE4ELNS1_11target_archE910ELNS1_3gpuE8ELNS1_3repE0EEENS1_30default_config_static_selectorELNS0_4arch9wavefront6targetE0EEEvT1_.uses_vcc, 0
	.set _ZN7rocprim17ROCPRIM_400000_NS6detail17trampoline_kernelINS0_14default_configENS1_25partition_config_selectorILNS1_17partition_subalgoE8EiNS0_10empty_typeEbEEZZNS1_14partition_implILS5_8ELb0ES3_jPKiPS6_PKS6_NS0_5tupleIJPiS6_EEENSE_IJSB_SB_EEENS0_18inequality_wrapperIN6hipcub16HIPCUB_304000_NS8EqualityEEEPlJS6_EEE10hipError_tPvRmT3_T4_T5_T6_T7_T9_mT8_P12ihipStream_tbDpT10_ENKUlT_T0_E_clISt17integral_constantIbLb1EES16_IbLb0EEEEDaS12_S13_EUlS12_E_NS1_11comp_targetILNS1_3genE4ELNS1_11target_archE910ELNS1_3gpuE8ELNS1_3repE0EEENS1_30default_config_static_selectorELNS0_4arch9wavefront6targetE0EEEvT1_.uses_flat_scratch, 0
	.set _ZN7rocprim17ROCPRIM_400000_NS6detail17trampoline_kernelINS0_14default_configENS1_25partition_config_selectorILNS1_17partition_subalgoE8EiNS0_10empty_typeEbEEZZNS1_14partition_implILS5_8ELb0ES3_jPKiPS6_PKS6_NS0_5tupleIJPiS6_EEENSE_IJSB_SB_EEENS0_18inequality_wrapperIN6hipcub16HIPCUB_304000_NS8EqualityEEEPlJS6_EEE10hipError_tPvRmT3_T4_T5_T6_T7_T9_mT8_P12ihipStream_tbDpT10_ENKUlT_T0_E_clISt17integral_constantIbLb1EES16_IbLb0EEEEDaS12_S13_EUlS12_E_NS1_11comp_targetILNS1_3genE4ELNS1_11target_archE910ELNS1_3gpuE8ELNS1_3repE0EEENS1_30default_config_static_selectorELNS0_4arch9wavefront6targetE0EEEvT1_.has_dyn_sized_stack, 0
	.set _ZN7rocprim17ROCPRIM_400000_NS6detail17trampoline_kernelINS0_14default_configENS1_25partition_config_selectorILNS1_17partition_subalgoE8EiNS0_10empty_typeEbEEZZNS1_14partition_implILS5_8ELb0ES3_jPKiPS6_PKS6_NS0_5tupleIJPiS6_EEENSE_IJSB_SB_EEENS0_18inequality_wrapperIN6hipcub16HIPCUB_304000_NS8EqualityEEEPlJS6_EEE10hipError_tPvRmT3_T4_T5_T6_T7_T9_mT8_P12ihipStream_tbDpT10_ENKUlT_T0_E_clISt17integral_constantIbLb1EES16_IbLb0EEEEDaS12_S13_EUlS12_E_NS1_11comp_targetILNS1_3genE4ELNS1_11target_archE910ELNS1_3gpuE8ELNS1_3repE0EEENS1_30default_config_static_selectorELNS0_4arch9wavefront6targetE0EEEvT1_.has_recursion, 0
	.set _ZN7rocprim17ROCPRIM_400000_NS6detail17trampoline_kernelINS0_14default_configENS1_25partition_config_selectorILNS1_17partition_subalgoE8EiNS0_10empty_typeEbEEZZNS1_14partition_implILS5_8ELb0ES3_jPKiPS6_PKS6_NS0_5tupleIJPiS6_EEENSE_IJSB_SB_EEENS0_18inequality_wrapperIN6hipcub16HIPCUB_304000_NS8EqualityEEEPlJS6_EEE10hipError_tPvRmT3_T4_T5_T6_T7_T9_mT8_P12ihipStream_tbDpT10_ENKUlT_T0_E_clISt17integral_constantIbLb1EES16_IbLb0EEEEDaS12_S13_EUlS12_E_NS1_11comp_targetILNS1_3genE4ELNS1_11target_archE910ELNS1_3gpuE8ELNS1_3repE0EEENS1_30default_config_static_selectorELNS0_4arch9wavefront6targetE0EEEvT1_.has_indirect_call, 0
	.section	.AMDGPU.csdata,"",@progbits
; Kernel info:
; codeLenInByte = 0
; TotalNumSgprs: 0
; NumVgprs: 0
; ScratchSize: 0
; MemoryBound: 0
; FloatMode: 240
; IeeeMode: 1
; LDSByteSize: 0 bytes/workgroup (compile time only)
; SGPRBlocks: 0
; VGPRBlocks: 0
; NumSGPRsForWavesPerEU: 1
; NumVGPRsForWavesPerEU: 1
; NamedBarCnt: 0
; Occupancy: 16
; WaveLimiterHint : 0
; COMPUTE_PGM_RSRC2:SCRATCH_EN: 0
; COMPUTE_PGM_RSRC2:USER_SGPR: 2
; COMPUTE_PGM_RSRC2:TRAP_HANDLER: 0
; COMPUTE_PGM_RSRC2:TGID_X_EN: 1
; COMPUTE_PGM_RSRC2:TGID_Y_EN: 0
; COMPUTE_PGM_RSRC2:TGID_Z_EN: 0
; COMPUTE_PGM_RSRC2:TIDIG_COMP_CNT: 0
	.section	.text._ZN7rocprim17ROCPRIM_400000_NS6detail17trampoline_kernelINS0_14default_configENS1_25partition_config_selectorILNS1_17partition_subalgoE8EiNS0_10empty_typeEbEEZZNS1_14partition_implILS5_8ELb0ES3_jPKiPS6_PKS6_NS0_5tupleIJPiS6_EEENSE_IJSB_SB_EEENS0_18inequality_wrapperIN6hipcub16HIPCUB_304000_NS8EqualityEEEPlJS6_EEE10hipError_tPvRmT3_T4_T5_T6_T7_T9_mT8_P12ihipStream_tbDpT10_ENKUlT_T0_E_clISt17integral_constantIbLb1EES16_IbLb0EEEEDaS12_S13_EUlS12_E_NS1_11comp_targetILNS1_3genE3ELNS1_11target_archE908ELNS1_3gpuE7ELNS1_3repE0EEENS1_30default_config_static_selectorELNS0_4arch9wavefront6targetE0EEEvT1_,"axG",@progbits,_ZN7rocprim17ROCPRIM_400000_NS6detail17trampoline_kernelINS0_14default_configENS1_25partition_config_selectorILNS1_17partition_subalgoE8EiNS0_10empty_typeEbEEZZNS1_14partition_implILS5_8ELb0ES3_jPKiPS6_PKS6_NS0_5tupleIJPiS6_EEENSE_IJSB_SB_EEENS0_18inequality_wrapperIN6hipcub16HIPCUB_304000_NS8EqualityEEEPlJS6_EEE10hipError_tPvRmT3_T4_T5_T6_T7_T9_mT8_P12ihipStream_tbDpT10_ENKUlT_T0_E_clISt17integral_constantIbLb1EES16_IbLb0EEEEDaS12_S13_EUlS12_E_NS1_11comp_targetILNS1_3genE3ELNS1_11target_archE908ELNS1_3gpuE7ELNS1_3repE0EEENS1_30default_config_static_selectorELNS0_4arch9wavefront6targetE0EEEvT1_,comdat
	.protected	_ZN7rocprim17ROCPRIM_400000_NS6detail17trampoline_kernelINS0_14default_configENS1_25partition_config_selectorILNS1_17partition_subalgoE8EiNS0_10empty_typeEbEEZZNS1_14partition_implILS5_8ELb0ES3_jPKiPS6_PKS6_NS0_5tupleIJPiS6_EEENSE_IJSB_SB_EEENS0_18inequality_wrapperIN6hipcub16HIPCUB_304000_NS8EqualityEEEPlJS6_EEE10hipError_tPvRmT3_T4_T5_T6_T7_T9_mT8_P12ihipStream_tbDpT10_ENKUlT_T0_E_clISt17integral_constantIbLb1EES16_IbLb0EEEEDaS12_S13_EUlS12_E_NS1_11comp_targetILNS1_3genE3ELNS1_11target_archE908ELNS1_3gpuE7ELNS1_3repE0EEENS1_30default_config_static_selectorELNS0_4arch9wavefront6targetE0EEEvT1_ ; -- Begin function _ZN7rocprim17ROCPRIM_400000_NS6detail17trampoline_kernelINS0_14default_configENS1_25partition_config_selectorILNS1_17partition_subalgoE8EiNS0_10empty_typeEbEEZZNS1_14partition_implILS5_8ELb0ES3_jPKiPS6_PKS6_NS0_5tupleIJPiS6_EEENSE_IJSB_SB_EEENS0_18inequality_wrapperIN6hipcub16HIPCUB_304000_NS8EqualityEEEPlJS6_EEE10hipError_tPvRmT3_T4_T5_T6_T7_T9_mT8_P12ihipStream_tbDpT10_ENKUlT_T0_E_clISt17integral_constantIbLb1EES16_IbLb0EEEEDaS12_S13_EUlS12_E_NS1_11comp_targetILNS1_3genE3ELNS1_11target_archE908ELNS1_3gpuE7ELNS1_3repE0EEENS1_30default_config_static_selectorELNS0_4arch9wavefront6targetE0EEEvT1_
	.globl	_ZN7rocprim17ROCPRIM_400000_NS6detail17trampoline_kernelINS0_14default_configENS1_25partition_config_selectorILNS1_17partition_subalgoE8EiNS0_10empty_typeEbEEZZNS1_14partition_implILS5_8ELb0ES3_jPKiPS6_PKS6_NS0_5tupleIJPiS6_EEENSE_IJSB_SB_EEENS0_18inequality_wrapperIN6hipcub16HIPCUB_304000_NS8EqualityEEEPlJS6_EEE10hipError_tPvRmT3_T4_T5_T6_T7_T9_mT8_P12ihipStream_tbDpT10_ENKUlT_T0_E_clISt17integral_constantIbLb1EES16_IbLb0EEEEDaS12_S13_EUlS12_E_NS1_11comp_targetILNS1_3genE3ELNS1_11target_archE908ELNS1_3gpuE7ELNS1_3repE0EEENS1_30default_config_static_selectorELNS0_4arch9wavefront6targetE0EEEvT1_
	.p2align	8
	.type	_ZN7rocprim17ROCPRIM_400000_NS6detail17trampoline_kernelINS0_14default_configENS1_25partition_config_selectorILNS1_17partition_subalgoE8EiNS0_10empty_typeEbEEZZNS1_14partition_implILS5_8ELb0ES3_jPKiPS6_PKS6_NS0_5tupleIJPiS6_EEENSE_IJSB_SB_EEENS0_18inequality_wrapperIN6hipcub16HIPCUB_304000_NS8EqualityEEEPlJS6_EEE10hipError_tPvRmT3_T4_T5_T6_T7_T9_mT8_P12ihipStream_tbDpT10_ENKUlT_T0_E_clISt17integral_constantIbLb1EES16_IbLb0EEEEDaS12_S13_EUlS12_E_NS1_11comp_targetILNS1_3genE3ELNS1_11target_archE908ELNS1_3gpuE7ELNS1_3repE0EEENS1_30default_config_static_selectorELNS0_4arch9wavefront6targetE0EEEvT1_,@function
_ZN7rocprim17ROCPRIM_400000_NS6detail17trampoline_kernelINS0_14default_configENS1_25partition_config_selectorILNS1_17partition_subalgoE8EiNS0_10empty_typeEbEEZZNS1_14partition_implILS5_8ELb0ES3_jPKiPS6_PKS6_NS0_5tupleIJPiS6_EEENSE_IJSB_SB_EEENS0_18inequality_wrapperIN6hipcub16HIPCUB_304000_NS8EqualityEEEPlJS6_EEE10hipError_tPvRmT3_T4_T5_T6_T7_T9_mT8_P12ihipStream_tbDpT10_ENKUlT_T0_E_clISt17integral_constantIbLb1EES16_IbLb0EEEEDaS12_S13_EUlS12_E_NS1_11comp_targetILNS1_3genE3ELNS1_11target_archE908ELNS1_3gpuE7ELNS1_3repE0EEENS1_30default_config_static_selectorELNS0_4arch9wavefront6targetE0EEEvT1_: ; @_ZN7rocprim17ROCPRIM_400000_NS6detail17trampoline_kernelINS0_14default_configENS1_25partition_config_selectorILNS1_17partition_subalgoE8EiNS0_10empty_typeEbEEZZNS1_14partition_implILS5_8ELb0ES3_jPKiPS6_PKS6_NS0_5tupleIJPiS6_EEENSE_IJSB_SB_EEENS0_18inequality_wrapperIN6hipcub16HIPCUB_304000_NS8EqualityEEEPlJS6_EEE10hipError_tPvRmT3_T4_T5_T6_T7_T9_mT8_P12ihipStream_tbDpT10_ENKUlT_T0_E_clISt17integral_constantIbLb1EES16_IbLb0EEEEDaS12_S13_EUlS12_E_NS1_11comp_targetILNS1_3genE3ELNS1_11target_archE908ELNS1_3gpuE7ELNS1_3repE0EEENS1_30default_config_static_selectorELNS0_4arch9wavefront6targetE0EEEvT1_
; %bb.0:
	.section	.rodata,"a",@progbits
	.p2align	6, 0x0
	.amdhsa_kernel _ZN7rocprim17ROCPRIM_400000_NS6detail17trampoline_kernelINS0_14default_configENS1_25partition_config_selectorILNS1_17partition_subalgoE8EiNS0_10empty_typeEbEEZZNS1_14partition_implILS5_8ELb0ES3_jPKiPS6_PKS6_NS0_5tupleIJPiS6_EEENSE_IJSB_SB_EEENS0_18inequality_wrapperIN6hipcub16HIPCUB_304000_NS8EqualityEEEPlJS6_EEE10hipError_tPvRmT3_T4_T5_T6_T7_T9_mT8_P12ihipStream_tbDpT10_ENKUlT_T0_E_clISt17integral_constantIbLb1EES16_IbLb0EEEEDaS12_S13_EUlS12_E_NS1_11comp_targetILNS1_3genE3ELNS1_11target_archE908ELNS1_3gpuE7ELNS1_3repE0EEENS1_30default_config_static_selectorELNS0_4arch9wavefront6targetE0EEEvT1_
		.amdhsa_group_segment_fixed_size 0
		.amdhsa_private_segment_fixed_size 0
		.amdhsa_kernarg_size 112
		.amdhsa_user_sgpr_count 2
		.amdhsa_user_sgpr_dispatch_ptr 0
		.amdhsa_user_sgpr_queue_ptr 0
		.amdhsa_user_sgpr_kernarg_segment_ptr 1
		.amdhsa_user_sgpr_dispatch_id 0
		.amdhsa_user_sgpr_kernarg_preload_length 0
		.amdhsa_user_sgpr_kernarg_preload_offset 0
		.amdhsa_user_sgpr_private_segment_size 0
		.amdhsa_wavefront_size32 1
		.amdhsa_uses_dynamic_stack 0
		.amdhsa_enable_private_segment 0
		.amdhsa_system_sgpr_workgroup_id_x 1
		.amdhsa_system_sgpr_workgroup_id_y 0
		.amdhsa_system_sgpr_workgroup_id_z 0
		.amdhsa_system_sgpr_workgroup_info 0
		.amdhsa_system_vgpr_workitem_id 0
		.amdhsa_next_free_vgpr 1
		.amdhsa_next_free_sgpr 1
		.amdhsa_named_barrier_count 0
		.amdhsa_reserve_vcc 0
		.amdhsa_float_round_mode_32 0
		.amdhsa_float_round_mode_16_64 0
		.amdhsa_float_denorm_mode_32 3
		.amdhsa_float_denorm_mode_16_64 3
		.amdhsa_fp16_overflow 0
		.amdhsa_memory_ordered 1
		.amdhsa_forward_progress 1
		.amdhsa_inst_pref_size 0
		.amdhsa_round_robin_scheduling 0
		.amdhsa_exception_fp_ieee_invalid_op 0
		.amdhsa_exception_fp_denorm_src 0
		.amdhsa_exception_fp_ieee_div_zero 0
		.amdhsa_exception_fp_ieee_overflow 0
		.amdhsa_exception_fp_ieee_underflow 0
		.amdhsa_exception_fp_ieee_inexact 0
		.amdhsa_exception_int_div_zero 0
	.end_amdhsa_kernel
	.section	.text._ZN7rocprim17ROCPRIM_400000_NS6detail17trampoline_kernelINS0_14default_configENS1_25partition_config_selectorILNS1_17partition_subalgoE8EiNS0_10empty_typeEbEEZZNS1_14partition_implILS5_8ELb0ES3_jPKiPS6_PKS6_NS0_5tupleIJPiS6_EEENSE_IJSB_SB_EEENS0_18inequality_wrapperIN6hipcub16HIPCUB_304000_NS8EqualityEEEPlJS6_EEE10hipError_tPvRmT3_T4_T5_T6_T7_T9_mT8_P12ihipStream_tbDpT10_ENKUlT_T0_E_clISt17integral_constantIbLb1EES16_IbLb0EEEEDaS12_S13_EUlS12_E_NS1_11comp_targetILNS1_3genE3ELNS1_11target_archE908ELNS1_3gpuE7ELNS1_3repE0EEENS1_30default_config_static_selectorELNS0_4arch9wavefront6targetE0EEEvT1_,"axG",@progbits,_ZN7rocprim17ROCPRIM_400000_NS6detail17trampoline_kernelINS0_14default_configENS1_25partition_config_selectorILNS1_17partition_subalgoE8EiNS0_10empty_typeEbEEZZNS1_14partition_implILS5_8ELb0ES3_jPKiPS6_PKS6_NS0_5tupleIJPiS6_EEENSE_IJSB_SB_EEENS0_18inequality_wrapperIN6hipcub16HIPCUB_304000_NS8EqualityEEEPlJS6_EEE10hipError_tPvRmT3_T4_T5_T6_T7_T9_mT8_P12ihipStream_tbDpT10_ENKUlT_T0_E_clISt17integral_constantIbLb1EES16_IbLb0EEEEDaS12_S13_EUlS12_E_NS1_11comp_targetILNS1_3genE3ELNS1_11target_archE908ELNS1_3gpuE7ELNS1_3repE0EEENS1_30default_config_static_selectorELNS0_4arch9wavefront6targetE0EEEvT1_,comdat
.Lfunc_end207:
	.size	_ZN7rocprim17ROCPRIM_400000_NS6detail17trampoline_kernelINS0_14default_configENS1_25partition_config_selectorILNS1_17partition_subalgoE8EiNS0_10empty_typeEbEEZZNS1_14partition_implILS5_8ELb0ES3_jPKiPS6_PKS6_NS0_5tupleIJPiS6_EEENSE_IJSB_SB_EEENS0_18inequality_wrapperIN6hipcub16HIPCUB_304000_NS8EqualityEEEPlJS6_EEE10hipError_tPvRmT3_T4_T5_T6_T7_T9_mT8_P12ihipStream_tbDpT10_ENKUlT_T0_E_clISt17integral_constantIbLb1EES16_IbLb0EEEEDaS12_S13_EUlS12_E_NS1_11comp_targetILNS1_3genE3ELNS1_11target_archE908ELNS1_3gpuE7ELNS1_3repE0EEENS1_30default_config_static_selectorELNS0_4arch9wavefront6targetE0EEEvT1_, .Lfunc_end207-_ZN7rocprim17ROCPRIM_400000_NS6detail17trampoline_kernelINS0_14default_configENS1_25partition_config_selectorILNS1_17partition_subalgoE8EiNS0_10empty_typeEbEEZZNS1_14partition_implILS5_8ELb0ES3_jPKiPS6_PKS6_NS0_5tupleIJPiS6_EEENSE_IJSB_SB_EEENS0_18inequality_wrapperIN6hipcub16HIPCUB_304000_NS8EqualityEEEPlJS6_EEE10hipError_tPvRmT3_T4_T5_T6_T7_T9_mT8_P12ihipStream_tbDpT10_ENKUlT_T0_E_clISt17integral_constantIbLb1EES16_IbLb0EEEEDaS12_S13_EUlS12_E_NS1_11comp_targetILNS1_3genE3ELNS1_11target_archE908ELNS1_3gpuE7ELNS1_3repE0EEENS1_30default_config_static_selectorELNS0_4arch9wavefront6targetE0EEEvT1_
                                        ; -- End function
	.set _ZN7rocprim17ROCPRIM_400000_NS6detail17trampoline_kernelINS0_14default_configENS1_25partition_config_selectorILNS1_17partition_subalgoE8EiNS0_10empty_typeEbEEZZNS1_14partition_implILS5_8ELb0ES3_jPKiPS6_PKS6_NS0_5tupleIJPiS6_EEENSE_IJSB_SB_EEENS0_18inequality_wrapperIN6hipcub16HIPCUB_304000_NS8EqualityEEEPlJS6_EEE10hipError_tPvRmT3_T4_T5_T6_T7_T9_mT8_P12ihipStream_tbDpT10_ENKUlT_T0_E_clISt17integral_constantIbLb1EES16_IbLb0EEEEDaS12_S13_EUlS12_E_NS1_11comp_targetILNS1_3genE3ELNS1_11target_archE908ELNS1_3gpuE7ELNS1_3repE0EEENS1_30default_config_static_selectorELNS0_4arch9wavefront6targetE0EEEvT1_.num_vgpr, 0
	.set _ZN7rocprim17ROCPRIM_400000_NS6detail17trampoline_kernelINS0_14default_configENS1_25partition_config_selectorILNS1_17partition_subalgoE8EiNS0_10empty_typeEbEEZZNS1_14partition_implILS5_8ELb0ES3_jPKiPS6_PKS6_NS0_5tupleIJPiS6_EEENSE_IJSB_SB_EEENS0_18inequality_wrapperIN6hipcub16HIPCUB_304000_NS8EqualityEEEPlJS6_EEE10hipError_tPvRmT3_T4_T5_T6_T7_T9_mT8_P12ihipStream_tbDpT10_ENKUlT_T0_E_clISt17integral_constantIbLb1EES16_IbLb0EEEEDaS12_S13_EUlS12_E_NS1_11comp_targetILNS1_3genE3ELNS1_11target_archE908ELNS1_3gpuE7ELNS1_3repE0EEENS1_30default_config_static_selectorELNS0_4arch9wavefront6targetE0EEEvT1_.num_agpr, 0
	.set _ZN7rocprim17ROCPRIM_400000_NS6detail17trampoline_kernelINS0_14default_configENS1_25partition_config_selectorILNS1_17partition_subalgoE8EiNS0_10empty_typeEbEEZZNS1_14partition_implILS5_8ELb0ES3_jPKiPS6_PKS6_NS0_5tupleIJPiS6_EEENSE_IJSB_SB_EEENS0_18inequality_wrapperIN6hipcub16HIPCUB_304000_NS8EqualityEEEPlJS6_EEE10hipError_tPvRmT3_T4_T5_T6_T7_T9_mT8_P12ihipStream_tbDpT10_ENKUlT_T0_E_clISt17integral_constantIbLb1EES16_IbLb0EEEEDaS12_S13_EUlS12_E_NS1_11comp_targetILNS1_3genE3ELNS1_11target_archE908ELNS1_3gpuE7ELNS1_3repE0EEENS1_30default_config_static_selectorELNS0_4arch9wavefront6targetE0EEEvT1_.numbered_sgpr, 0
	.set _ZN7rocprim17ROCPRIM_400000_NS6detail17trampoline_kernelINS0_14default_configENS1_25partition_config_selectorILNS1_17partition_subalgoE8EiNS0_10empty_typeEbEEZZNS1_14partition_implILS5_8ELb0ES3_jPKiPS6_PKS6_NS0_5tupleIJPiS6_EEENSE_IJSB_SB_EEENS0_18inequality_wrapperIN6hipcub16HIPCUB_304000_NS8EqualityEEEPlJS6_EEE10hipError_tPvRmT3_T4_T5_T6_T7_T9_mT8_P12ihipStream_tbDpT10_ENKUlT_T0_E_clISt17integral_constantIbLb1EES16_IbLb0EEEEDaS12_S13_EUlS12_E_NS1_11comp_targetILNS1_3genE3ELNS1_11target_archE908ELNS1_3gpuE7ELNS1_3repE0EEENS1_30default_config_static_selectorELNS0_4arch9wavefront6targetE0EEEvT1_.num_named_barrier, 0
	.set _ZN7rocprim17ROCPRIM_400000_NS6detail17trampoline_kernelINS0_14default_configENS1_25partition_config_selectorILNS1_17partition_subalgoE8EiNS0_10empty_typeEbEEZZNS1_14partition_implILS5_8ELb0ES3_jPKiPS6_PKS6_NS0_5tupleIJPiS6_EEENSE_IJSB_SB_EEENS0_18inequality_wrapperIN6hipcub16HIPCUB_304000_NS8EqualityEEEPlJS6_EEE10hipError_tPvRmT3_T4_T5_T6_T7_T9_mT8_P12ihipStream_tbDpT10_ENKUlT_T0_E_clISt17integral_constantIbLb1EES16_IbLb0EEEEDaS12_S13_EUlS12_E_NS1_11comp_targetILNS1_3genE3ELNS1_11target_archE908ELNS1_3gpuE7ELNS1_3repE0EEENS1_30default_config_static_selectorELNS0_4arch9wavefront6targetE0EEEvT1_.private_seg_size, 0
	.set _ZN7rocprim17ROCPRIM_400000_NS6detail17trampoline_kernelINS0_14default_configENS1_25partition_config_selectorILNS1_17partition_subalgoE8EiNS0_10empty_typeEbEEZZNS1_14partition_implILS5_8ELb0ES3_jPKiPS6_PKS6_NS0_5tupleIJPiS6_EEENSE_IJSB_SB_EEENS0_18inequality_wrapperIN6hipcub16HIPCUB_304000_NS8EqualityEEEPlJS6_EEE10hipError_tPvRmT3_T4_T5_T6_T7_T9_mT8_P12ihipStream_tbDpT10_ENKUlT_T0_E_clISt17integral_constantIbLb1EES16_IbLb0EEEEDaS12_S13_EUlS12_E_NS1_11comp_targetILNS1_3genE3ELNS1_11target_archE908ELNS1_3gpuE7ELNS1_3repE0EEENS1_30default_config_static_selectorELNS0_4arch9wavefront6targetE0EEEvT1_.uses_vcc, 0
	.set _ZN7rocprim17ROCPRIM_400000_NS6detail17trampoline_kernelINS0_14default_configENS1_25partition_config_selectorILNS1_17partition_subalgoE8EiNS0_10empty_typeEbEEZZNS1_14partition_implILS5_8ELb0ES3_jPKiPS6_PKS6_NS0_5tupleIJPiS6_EEENSE_IJSB_SB_EEENS0_18inequality_wrapperIN6hipcub16HIPCUB_304000_NS8EqualityEEEPlJS6_EEE10hipError_tPvRmT3_T4_T5_T6_T7_T9_mT8_P12ihipStream_tbDpT10_ENKUlT_T0_E_clISt17integral_constantIbLb1EES16_IbLb0EEEEDaS12_S13_EUlS12_E_NS1_11comp_targetILNS1_3genE3ELNS1_11target_archE908ELNS1_3gpuE7ELNS1_3repE0EEENS1_30default_config_static_selectorELNS0_4arch9wavefront6targetE0EEEvT1_.uses_flat_scratch, 0
	.set _ZN7rocprim17ROCPRIM_400000_NS6detail17trampoline_kernelINS0_14default_configENS1_25partition_config_selectorILNS1_17partition_subalgoE8EiNS0_10empty_typeEbEEZZNS1_14partition_implILS5_8ELb0ES3_jPKiPS6_PKS6_NS0_5tupleIJPiS6_EEENSE_IJSB_SB_EEENS0_18inequality_wrapperIN6hipcub16HIPCUB_304000_NS8EqualityEEEPlJS6_EEE10hipError_tPvRmT3_T4_T5_T6_T7_T9_mT8_P12ihipStream_tbDpT10_ENKUlT_T0_E_clISt17integral_constantIbLb1EES16_IbLb0EEEEDaS12_S13_EUlS12_E_NS1_11comp_targetILNS1_3genE3ELNS1_11target_archE908ELNS1_3gpuE7ELNS1_3repE0EEENS1_30default_config_static_selectorELNS0_4arch9wavefront6targetE0EEEvT1_.has_dyn_sized_stack, 0
	.set _ZN7rocprim17ROCPRIM_400000_NS6detail17trampoline_kernelINS0_14default_configENS1_25partition_config_selectorILNS1_17partition_subalgoE8EiNS0_10empty_typeEbEEZZNS1_14partition_implILS5_8ELb0ES3_jPKiPS6_PKS6_NS0_5tupleIJPiS6_EEENSE_IJSB_SB_EEENS0_18inequality_wrapperIN6hipcub16HIPCUB_304000_NS8EqualityEEEPlJS6_EEE10hipError_tPvRmT3_T4_T5_T6_T7_T9_mT8_P12ihipStream_tbDpT10_ENKUlT_T0_E_clISt17integral_constantIbLb1EES16_IbLb0EEEEDaS12_S13_EUlS12_E_NS1_11comp_targetILNS1_3genE3ELNS1_11target_archE908ELNS1_3gpuE7ELNS1_3repE0EEENS1_30default_config_static_selectorELNS0_4arch9wavefront6targetE0EEEvT1_.has_recursion, 0
	.set _ZN7rocprim17ROCPRIM_400000_NS6detail17trampoline_kernelINS0_14default_configENS1_25partition_config_selectorILNS1_17partition_subalgoE8EiNS0_10empty_typeEbEEZZNS1_14partition_implILS5_8ELb0ES3_jPKiPS6_PKS6_NS0_5tupleIJPiS6_EEENSE_IJSB_SB_EEENS0_18inequality_wrapperIN6hipcub16HIPCUB_304000_NS8EqualityEEEPlJS6_EEE10hipError_tPvRmT3_T4_T5_T6_T7_T9_mT8_P12ihipStream_tbDpT10_ENKUlT_T0_E_clISt17integral_constantIbLb1EES16_IbLb0EEEEDaS12_S13_EUlS12_E_NS1_11comp_targetILNS1_3genE3ELNS1_11target_archE908ELNS1_3gpuE7ELNS1_3repE0EEENS1_30default_config_static_selectorELNS0_4arch9wavefront6targetE0EEEvT1_.has_indirect_call, 0
	.section	.AMDGPU.csdata,"",@progbits
; Kernel info:
; codeLenInByte = 0
; TotalNumSgprs: 0
; NumVgprs: 0
; ScratchSize: 0
; MemoryBound: 0
; FloatMode: 240
; IeeeMode: 1
; LDSByteSize: 0 bytes/workgroup (compile time only)
; SGPRBlocks: 0
; VGPRBlocks: 0
; NumSGPRsForWavesPerEU: 1
; NumVGPRsForWavesPerEU: 1
; NamedBarCnt: 0
; Occupancy: 16
; WaveLimiterHint : 0
; COMPUTE_PGM_RSRC2:SCRATCH_EN: 0
; COMPUTE_PGM_RSRC2:USER_SGPR: 2
; COMPUTE_PGM_RSRC2:TRAP_HANDLER: 0
; COMPUTE_PGM_RSRC2:TGID_X_EN: 1
; COMPUTE_PGM_RSRC2:TGID_Y_EN: 0
; COMPUTE_PGM_RSRC2:TGID_Z_EN: 0
; COMPUTE_PGM_RSRC2:TIDIG_COMP_CNT: 0
	.section	.text._ZN7rocprim17ROCPRIM_400000_NS6detail17trampoline_kernelINS0_14default_configENS1_25partition_config_selectorILNS1_17partition_subalgoE8EiNS0_10empty_typeEbEEZZNS1_14partition_implILS5_8ELb0ES3_jPKiPS6_PKS6_NS0_5tupleIJPiS6_EEENSE_IJSB_SB_EEENS0_18inequality_wrapperIN6hipcub16HIPCUB_304000_NS8EqualityEEEPlJS6_EEE10hipError_tPvRmT3_T4_T5_T6_T7_T9_mT8_P12ihipStream_tbDpT10_ENKUlT_T0_E_clISt17integral_constantIbLb1EES16_IbLb0EEEEDaS12_S13_EUlS12_E_NS1_11comp_targetILNS1_3genE2ELNS1_11target_archE906ELNS1_3gpuE6ELNS1_3repE0EEENS1_30default_config_static_selectorELNS0_4arch9wavefront6targetE0EEEvT1_,"axG",@progbits,_ZN7rocprim17ROCPRIM_400000_NS6detail17trampoline_kernelINS0_14default_configENS1_25partition_config_selectorILNS1_17partition_subalgoE8EiNS0_10empty_typeEbEEZZNS1_14partition_implILS5_8ELb0ES3_jPKiPS6_PKS6_NS0_5tupleIJPiS6_EEENSE_IJSB_SB_EEENS0_18inequality_wrapperIN6hipcub16HIPCUB_304000_NS8EqualityEEEPlJS6_EEE10hipError_tPvRmT3_T4_T5_T6_T7_T9_mT8_P12ihipStream_tbDpT10_ENKUlT_T0_E_clISt17integral_constantIbLb1EES16_IbLb0EEEEDaS12_S13_EUlS12_E_NS1_11comp_targetILNS1_3genE2ELNS1_11target_archE906ELNS1_3gpuE6ELNS1_3repE0EEENS1_30default_config_static_selectorELNS0_4arch9wavefront6targetE0EEEvT1_,comdat
	.protected	_ZN7rocprim17ROCPRIM_400000_NS6detail17trampoline_kernelINS0_14default_configENS1_25partition_config_selectorILNS1_17partition_subalgoE8EiNS0_10empty_typeEbEEZZNS1_14partition_implILS5_8ELb0ES3_jPKiPS6_PKS6_NS0_5tupleIJPiS6_EEENSE_IJSB_SB_EEENS0_18inequality_wrapperIN6hipcub16HIPCUB_304000_NS8EqualityEEEPlJS6_EEE10hipError_tPvRmT3_T4_T5_T6_T7_T9_mT8_P12ihipStream_tbDpT10_ENKUlT_T0_E_clISt17integral_constantIbLb1EES16_IbLb0EEEEDaS12_S13_EUlS12_E_NS1_11comp_targetILNS1_3genE2ELNS1_11target_archE906ELNS1_3gpuE6ELNS1_3repE0EEENS1_30default_config_static_selectorELNS0_4arch9wavefront6targetE0EEEvT1_ ; -- Begin function _ZN7rocprim17ROCPRIM_400000_NS6detail17trampoline_kernelINS0_14default_configENS1_25partition_config_selectorILNS1_17partition_subalgoE8EiNS0_10empty_typeEbEEZZNS1_14partition_implILS5_8ELb0ES3_jPKiPS6_PKS6_NS0_5tupleIJPiS6_EEENSE_IJSB_SB_EEENS0_18inequality_wrapperIN6hipcub16HIPCUB_304000_NS8EqualityEEEPlJS6_EEE10hipError_tPvRmT3_T4_T5_T6_T7_T9_mT8_P12ihipStream_tbDpT10_ENKUlT_T0_E_clISt17integral_constantIbLb1EES16_IbLb0EEEEDaS12_S13_EUlS12_E_NS1_11comp_targetILNS1_3genE2ELNS1_11target_archE906ELNS1_3gpuE6ELNS1_3repE0EEENS1_30default_config_static_selectorELNS0_4arch9wavefront6targetE0EEEvT1_
	.globl	_ZN7rocprim17ROCPRIM_400000_NS6detail17trampoline_kernelINS0_14default_configENS1_25partition_config_selectorILNS1_17partition_subalgoE8EiNS0_10empty_typeEbEEZZNS1_14partition_implILS5_8ELb0ES3_jPKiPS6_PKS6_NS0_5tupleIJPiS6_EEENSE_IJSB_SB_EEENS0_18inequality_wrapperIN6hipcub16HIPCUB_304000_NS8EqualityEEEPlJS6_EEE10hipError_tPvRmT3_T4_T5_T6_T7_T9_mT8_P12ihipStream_tbDpT10_ENKUlT_T0_E_clISt17integral_constantIbLb1EES16_IbLb0EEEEDaS12_S13_EUlS12_E_NS1_11comp_targetILNS1_3genE2ELNS1_11target_archE906ELNS1_3gpuE6ELNS1_3repE0EEENS1_30default_config_static_selectorELNS0_4arch9wavefront6targetE0EEEvT1_
	.p2align	8
	.type	_ZN7rocprim17ROCPRIM_400000_NS6detail17trampoline_kernelINS0_14default_configENS1_25partition_config_selectorILNS1_17partition_subalgoE8EiNS0_10empty_typeEbEEZZNS1_14partition_implILS5_8ELb0ES3_jPKiPS6_PKS6_NS0_5tupleIJPiS6_EEENSE_IJSB_SB_EEENS0_18inequality_wrapperIN6hipcub16HIPCUB_304000_NS8EqualityEEEPlJS6_EEE10hipError_tPvRmT3_T4_T5_T6_T7_T9_mT8_P12ihipStream_tbDpT10_ENKUlT_T0_E_clISt17integral_constantIbLb1EES16_IbLb0EEEEDaS12_S13_EUlS12_E_NS1_11comp_targetILNS1_3genE2ELNS1_11target_archE906ELNS1_3gpuE6ELNS1_3repE0EEENS1_30default_config_static_selectorELNS0_4arch9wavefront6targetE0EEEvT1_,@function
_ZN7rocprim17ROCPRIM_400000_NS6detail17trampoline_kernelINS0_14default_configENS1_25partition_config_selectorILNS1_17partition_subalgoE8EiNS0_10empty_typeEbEEZZNS1_14partition_implILS5_8ELb0ES3_jPKiPS6_PKS6_NS0_5tupleIJPiS6_EEENSE_IJSB_SB_EEENS0_18inequality_wrapperIN6hipcub16HIPCUB_304000_NS8EqualityEEEPlJS6_EEE10hipError_tPvRmT3_T4_T5_T6_T7_T9_mT8_P12ihipStream_tbDpT10_ENKUlT_T0_E_clISt17integral_constantIbLb1EES16_IbLb0EEEEDaS12_S13_EUlS12_E_NS1_11comp_targetILNS1_3genE2ELNS1_11target_archE906ELNS1_3gpuE6ELNS1_3repE0EEENS1_30default_config_static_selectorELNS0_4arch9wavefront6targetE0EEEvT1_: ; @_ZN7rocprim17ROCPRIM_400000_NS6detail17trampoline_kernelINS0_14default_configENS1_25partition_config_selectorILNS1_17partition_subalgoE8EiNS0_10empty_typeEbEEZZNS1_14partition_implILS5_8ELb0ES3_jPKiPS6_PKS6_NS0_5tupleIJPiS6_EEENSE_IJSB_SB_EEENS0_18inequality_wrapperIN6hipcub16HIPCUB_304000_NS8EqualityEEEPlJS6_EEE10hipError_tPvRmT3_T4_T5_T6_T7_T9_mT8_P12ihipStream_tbDpT10_ENKUlT_T0_E_clISt17integral_constantIbLb1EES16_IbLb0EEEEDaS12_S13_EUlS12_E_NS1_11comp_targetILNS1_3genE2ELNS1_11target_archE906ELNS1_3gpuE6ELNS1_3repE0EEENS1_30default_config_static_selectorELNS0_4arch9wavefront6targetE0EEEvT1_
; %bb.0:
	.section	.rodata,"a",@progbits
	.p2align	6, 0x0
	.amdhsa_kernel _ZN7rocprim17ROCPRIM_400000_NS6detail17trampoline_kernelINS0_14default_configENS1_25partition_config_selectorILNS1_17partition_subalgoE8EiNS0_10empty_typeEbEEZZNS1_14partition_implILS5_8ELb0ES3_jPKiPS6_PKS6_NS0_5tupleIJPiS6_EEENSE_IJSB_SB_EEENS0_18inequality_wrapperIN6hipcub16HIPCUB_304000_NS8EqualityEEEPlJS6_EEE10hipError_tPvRmT3_T4_T5_T6_T7_T9_mT8_P12ihipStream_tbDpT10_ENKUlT_T0_E_clISt17integral_constantIbLb1EES16_IbLb0EEEEDaS12_S13_EUlS12_E_NS1_11comp_targetILNS1_3genE2ELNS1_11target_archE906ELNS1_3gpuE6ELNS1_3repE0EEENS1_30default_config_static_selectorELNS0_4arch9wavefront6targetE0EEEvT1_
		.amdhsa_group_segment_fixed_size 0
		.amdhsa_private_segment_fixed_size 0
		.amdhsa_kernarg_size 112
		.amdhsa_user_sgpr_count 2
		.amdhsa_user_sgpr_dispatch_ptr 0
		.amdhsa_user_sgpr_queue_ptr 0
		.amdhsa_user_sgpr_kernarg_segment_ptr 1
		.amdhsa_user_sgpr_dispatch_id 0
		.amdhsa_user_sgpr_kernarg_preload_length 0
		.amdhsa_user_sgpr_kernarg_preload_offset 0
		.amdhsa_user_sgpr_private_segment_size 0
		.amdhsa_wavefront_size32 1
		.amdhsa_uses_dynamic_stack 0
		.amdhsa_enable_private_segment 0
		.amdhsa_system_sgpr_workgroup_id_x 1
		.amdhsa_system_sgpr_workgroup_id_y 0
		.amdhsa_system_sgpr_workgroup_id_z 0
		.amdhsa_system_sgpr_workgroup_info 0
		.amdhsa_system_vgpr_workitem_id 0
		.amdhsa_next_free_vgpr 1
		.amdhsa_next_free_sgpr 1
		.amdhsa_named_barrier_count 0
		.amdhsa_reserve_vcc 0
		.amdhsa_float_round_mode_32 0
		.amdhsa_float_round_mode_16_64 0
		.amdhsa_float_denorm_mode_32 3
		.amdhsa_float_denorm_mode_16_64 3
		.amdhsa_fp16_overflow 0
		.amdhsa_memory_ordered 1
		.amdhsa_forward_progress 1
		.amdhsa_inst_pref_size 0
		.amdhsa_round_robin_scheduling 0
		.amdhsa_exception_fp_ieee_invalid_op 0
		.amdhsa_exception_fp_denorm_src 0
		.amdhsa_exception_fp_ieee_div_zero 0
		.amdhsa_exception_fp_ieee_overflow 0
		.amdhsa_exception_fp_ieee_underflow 0
		.amdhsa_exception_fp_ieee_inexact 0
		.amdhsa_exception_int_div_zero 0
	.end_amdhsa_kernel
	.section	.text._ZN7rocprim17ROCPRIM_400000_NS6detail17trampoline_kernelINS0_14default_configENS1_25partition_config_selectorILNS1_17partition_subalgoE8EiNS0_10empty_typeEbEEZZNS1_14partition_implILS5_8ELb0ES3_jPKiPS6_PKS6_NS0_5tupleIJPiS6_EEENSE_IJSB_SB_EEENS0_18inequality_wrapperIN6hipcub16HIPCUB_304000_NS8EqualityEEEPlJS6_EEE10hipError_tPvRmT3_T4_T5_T6_T7_T9_mT8_P12ihipStream_tbDpT10_ENKUlT_T0_E_clISt17integral_constantIbLb1EES16_IbLb0EEEEDaS12_S13_EUlS12_E_NS1_11comp_targetILNS1_3genE2ELNS1_11target_archE906ELNS1_3gpuE6ELNS1_3repE0EEENS1_30default_config_static_selectorELNS0_4arch9wavefront6targetE0EEEvT1_,"axG",@progbits,_ZN7rocprim17ROCPRIM_400000_NS6detail17trampoline_kernelINS0_14default_configENS1_25partition_config_selectorILNS1_17partition_subalgoE8EiNS0_10empty_typeEbEEZZNS1_14partition_implILS5_8ELb0ES3_jPKiPS6_PKS6_NS0_5tupleIJPiS6_EEENSE_IJSB_SB_EEENS0_18inequality_wrapperIN6hipcub16HIPCUB_304000_NS8EqualityEEEPlJS6_EEE10hipError_tPvRmT3_T4_T5_T6_T7_T9_mT8_P12ihipStream_tbDpT10_ENKUlT_T0_E_clISt17integral_constantIbLb1EES16_IbLb0EEEEDaS12_S13_EUlS12_E_NS1_11comp_targetILNS1_3genE2ELNS1_11target_archE906ELNS1_3gpuE6ELNS1_3repE0EEENS1_30default_config_static_selectorELNS0_4arch9wavefront6targetE0EEEvT1_,comdat
.Lfunc_end208:
	.size	_ZN7rocprim17ROCPRIM_400000_NS6detail17trampoline_kernelINS0_14default_configENS1_25partition_config_selectorILNS1_17partition_subalgoE8EiNS0_10empty_typeEbEEZZNS1_14partition_implILS5_8ELb0ES3_jPKiPS6_PKS6_NS0_5tupleIJPiS6_EEENSE_IJSB_SB_EEENS0_18inequality_wrapperIN6hipcub16HIPCUB_304000_NS8EqualityEEEPlJS6_EEE10hipError_tPvRmT3_T4_T5_T6_T7_T9_mT8_P12ihipStream_tbDpT10_ENKUlT_T0_E_clISt17integral_constantIbLb1EES16_IbLb0EEEEDaS12_S13_EUlS12_E_NS1_11comp_targetILNS1_3genE2ELNS1_11target_archE906ELNS1_3gpuE6ELNS1_3repE0EEENS1_30default_config_static_selectorELNS0_4arch9wavefront6targetE0EEEvT1_, .Lfunc_end208-_ZN7rocprim17ROCPRIM_400000_NS6detail17trampoline_kernelINS0_14default_configENS1_25partition_config_selectorILNS1_17partition_subalgoE8EiNS0_10empty_typeEbEEZZNS1_14partition_implILS5_8ELb0ES3_jPKiPS6_PKS6_NS0_5tupleIJPiS6_EEENSE_IJSB_SB_EEENS0_18inequality_wrapperIN6hipcub16HIPCUB_304000_NS8EqualityEEEPlJS6_EEE10hipError_tPvRmT3_T4_T5_T6_T7_T9_mT8_P12ihipStream_tbDpT10_ENKUlT_T0_E_clISt17integral_constantIbLb1EES16_IbLb0EEEEDaS12_S13_EUlS12_E_NS1_11comp_targetILNS1_3genE2ELNS1_11target_archE906ELNS1_3gpuE6ELNS1_3repE0EEENS1_30default_config_static_selectorELNS0_4arch9wavefront6targetE0EEEvT1_
                                        ; -- End function
	.set _ZN7rocprim17ROCPRIM_400000_NS6detail17trampoline_kernelINS0_14default_configENS1_25partition_config_selectorILNS1_17partition_subalgoE8EiNS0_10empty_typeEbEEZZNS1_14partition_implILS5_8ELb0ES3_jPKiPS6_PKS6_NS0_5tupleIJPiS6_EEENSE_IJSB_SB_EEENS0_18inequality_wrapperIN6hipcub16HIPCUB_304000_NS8EqualityEEEPlJS6_EEE10hipError_tPvRmT3_T4_T5_T6_T7_T9_mT8_P12ihipStream_tbDpT10_ENKUlT_T0_E_clISt17integral_constantIbLb1EES16_IbLb0EEEEDaS12_S13_EUlS12_E_NS1_11comp_targetILNS1_3genE2ELNS1_11target_archE906ELNS1_3gpuE6ELNS1_3repE0EEENS1_30default_config_static_selectorELNS0_4arch9wavefront6targetE0EEEvT1_.num_vgpr, 0
	.set _ZN7rocprim17ROCPRIM_400000_NS6detail17trampoline_kernelINS0_14default_configENS1_25partition_config_selectorILNS1_17partition_subalgoE8EiNS0_10empty_typeEbEEZZNS1_14partition_implILS5_8ELb0ES3_jPKiPS6_PKS6_NS0_5tupleIJPiS6_EEENSE_IJSB_SB_EEENS0_18inequality_wrapperIN6hipcub16HIPCUB_304000_NS8EqualityEEEPlJS6_EEE10hipError_tPvRmT3_T4_T5_T6_T7_T9_mT8_P12ihipStream_tbDpT10_ENKUlT_T0_E_clISt17integral_constantIbLb1EES16_IbLb0EEEEDaS12_S13_EUlS12_E_NS1_11comp_targetILNS1_3genE2ELNS1_11target_archE906ELNS1_3gpuE6ELNS1_3repE0EEENS1_30default_config_static_selectorELNS0_4arch9wavefront6targetE0EEEvT1_.num_agpr, 0
	.set _ZN7rocprim17ROCPRIM_400000_NS6detail17trampoline_kernelINS0_14default_configENS1_25partition_config_selectorILNS1_17partition_subalgoE8EiNS0_10empty_typeEbEEZZNS1_14partition_implILS5_8ELb0ES3_jPKiPS6_PKS6_NS0_5tupleIJPiS6_EEENSE_IJSB_SB_EEENS0_18inequality_wrapperIN6hipcub16HIPCUB_304000_NS8EqualityEEEPlJS6_EEE10hipError_tPvRmT3_T4_T5_T6_T7_T9_mT8_P12ihipStream_tbDpT10_ENKUlT_T0_E_clISt17integral_constantIbLb1EES16_IbLb0EEEEDaS12_S13_EUlS12_E_NS1_11comp_targetILNS1_3genE2ELNS1_11target_archE906ELNS1_3gpuE6ELNS1_3repE0EEENS1_30default_config_static_selectorELNS0_4arch9wavefront6targetE0EEEvT1_.numbered_sgpr, 0
	.set _ZN7rocprim17ROCPRIM_400000_NS6detail17trampoline_kernelINS0_14default_configENS1_25partition_config_selectorILNS1_17partition_subalgoE8EiNS0_10empty_typeEbEEZZNS1_14partition_implILS5_8ELb0ES3_jPKiPS6_PKS6_NS0_5tupleIJPiS6_EEENSE_IJSB_SB_EEENS0_18inequality_wrapperIN6hipcub16HIPCUB_304000_NS8EqualityEEEPlJS6_EEE10hipError_tPvRmT3_T4_T5_T6_T7_T9_mT8_P12ihipStream_tbDpT10_ENKUlT_T0_E_clISt17integral_constantIbLb1EES16_IbLb0EEEEDaS12_S13_EUlS12_E_NS1_11comp_targetILNS1_3genE2ELNS1_11target_archE906ELNS1_3gpuE6ELNS1_3repE0EEENS1_30default_config_static_selectorELNS0_4arch9wavefront6targetE0EEEvT1_.num_named_barrier, 0
	.set _ZN7rocprim17ROCPRIM_400000_NS6detail17trampoline_kernelINS0_14default_configENS1_25partition_config_selectorILNS1_17partition_subalgoE8EiNS0_10empty_typeEbEEZZNS1_14partition_implILS5_8ELb0ES3_jPKiPS6_PKS6_NS0_5tupleIJPiS6_EEENSE_IJSB_SB_EEENS0_18inequality_wrapperIN6hipcub16HIPCUB_304000_NS8EqualityEEEPlJS6_EEE10hipError_tPvRmT3_T4_T5_T6_T7_T9_mT8_P12ihipStream_tbDpT10_ENKUlT_T0_E_clISt17integral_constantIbLb1EES16_IbLb0EEEEDaS12_S13_EUlS12_E_NS1_11comp_targetILNS1_3genE2ELNS1_11target_archE906ELNS1_3gpuE6ELNS1_3repE0EEENS1_30default_config_static_selectorELNS0_4arch9wavefront6targetE0EEEvT1_.private_seg_size, 0
	.set _ZN7rocprim17ROCPRIM_400000_NS6detail17trampoline_kernelINS0_14default_configENS1_25partition_config_selectorILNS1_17partition_subalgoE8EiNS0_10empty_typeEbEEZZNS1_14partition_implILS5_8ELb0ES3_jPKiPS6_PKS6_NS0_5tupleIJPiS6_EEENSE_IJSB_SB_EEENS0_18inequality_wrapperIN6hipcub16HIPCUB_304000_NS8EqualityEEEPlJS6_EEE10hipError_tPvRmT3_T4_T5_T6_T7_T9_mT8_P12ihipStream_tbDpT10_ENKUlT_T0_E_clISt17integral_constantIbLb1EES16_IbLb0EEEEDaS12_S13_EUlS12_E_NS1_11comp_targetILNS1_3genE2ELNS1_11target_archE906ELNS1_3gpuE6ELNS1_3repE0EEENS1_30default_config_static_selectorELNS0_4arch9wavefront6targetE0EEEvT1_.uses_vcc, 0
	.set _ZN7rocprim17ROCPRIM_400000_NS6detail17trampoline_kernelINS0_14default_configENS1_25partition_config_selectorILNS1_17partition_subalgoE8EiNS0_10empty_typeEbEEZZNS1_14partition_implILS5_8ELb0ES3_jPKiPS6_PKS6_NS0_5tupleIJPiS6_EEENSE_IJSB_SB_EEENS0_18inequality_wrapperIN6hipcub16HIPCUB_304000_NS8EqualityEEEPlJS6_EEE10hipError_tPvRmT3_T4_T5_T6_T7_T9_mT8_P12ihipStream_tbDpT10_ENKUlT_T0_E_clISt17integral_constantIbLb1EES16_IbLb0EEEEDaS12_S13_EUlS12_E_NS1_11comp_targetILNS1_3genE2ELNS1_11target_archE906ELNS1_3gpuE6ELNS1_3repE0EEENS1_30default_config_static_selectorELNS0_4arch9wavefront6targetE0EEEvT1_.uses_flat_scratch, 0
	.set _ZN7rocprim17ROCPRIM_400000_NS6detail17trampoline_kernelINS0_14default_configENS1_25partition_config_selectorILNS1_17partition_subalgoE8EiNS0_10empty_typeEbEEZZNS1_14partition_implILS5_8ELb0ES3_jPKiPS6_PKS6_NS0_5tupleIJPiS6_EEENSE_IJSB_SB_EEENS0_18inequality_wrapperIN6hipcub16HIPCUB_304000_NS8EqualityEEEPlJS6_EEE10hipError_tPvRmT3_T4_T5_T6_T7_T9_mT8_P12ihipStream_tbDpT10_ENKUlT_T0_E_clISt17integral_constantIbLb1EES16_IbLb0EEEEDaS12_S13_EUlS12_E_NS1_11comp_targetILNS1_3genE2ELNS1_11target_archE906ELNS1_3gpuE6ELNS1_3repE0EEENS1_30default_config_static_selectorELNS0_4arch9wavefront6targetE0EEEvT1_.has_dyn_sized_stack, 0
	.set _ZN7rocprim17ROCPRIM_400000_NS6detail17trampoline_kernelINS0_14default_configENS1_25partition_config_selectorILNS1_17partition_subalgoE8EiNS0_10empty_typeEbEEZZNS1_14partition_implILS5_8ELb0ES3_jPKiPS6_PKS6_NS0_5tupleIJPiS6_EEENSE_IJSB_SB_EEENS0_18inequality_wrapperIN6hipcub16HIPCUB_304000_NS8EqualityEEEPlJS6_EEE10hipError_tPvRmT3_T4_T5_T6_T7_T9_mT8_P12ihipStream_tbDpT10_ENKUlT_T0_E_clISt17integral_constantIbLb1EES16_IbLb0EEEEDaS12_S13_EUlS12_E_NS1_11comp_targetILNS1_3genE2ELNS1_11target_archE906ELNS1_3gpuE6ELNS1_3repE0EEENS1_30default_config_static_selectorELNS0_4arch9wavefront6targetE0EEEvT1_.has_recursion, 0
	.set _ZN7rocprim17ROCPRIM_400000_NS6detail17trampoline_kernelINS0_14default_configENS1_25partition_config_selectorILNS1_17partition_subalgoE8EiNS0_10empty_typeEbEEZZNS1_14partition_implILS5_8ELb0ES3_jPKiPS6_PKS6_NS0_5tupleIJPiS6_EEENSE_IJSB_SB_EEENS0_18inequality_wrapperIN6hipcub16HIPCUB_304000_NS8EqualityEEEPlJS6_EEE10hipError_tPvRmT3_T4_T5_T6_T7_T9_mT8_P12ihipStream_tbDpT10_ENKUlT_T0_E_clISt17integral_constantIbLb1EES16_IbLb0EEEEDaS12_S13_EUlS12_E_NS1_11comp_targetILNS1_3genE2ELNS1_11target_archE906ELNS1_3gpuE6ELNS1_3repE0EEENS1_30default_config_static_selectorELNS0_4arch9wavefront6targetE0EEEvT1_.has_indirect_call, 0
	.section	.AMDGPU.csdata,"",@progbits
; Kernel info:
; codeLenInByte = 0
; TotalNumSgprs: 0
; NumVgprs: 0
; ScratchSize: 0
; MemoryBound: 0
; FloatMode: 240
; IeeeMode: 1
; LDSByteSize: 0 bytes/workgroup (compile time only)
; SGPRBlocks: 0
; VGPRBlocks: 0
; NumSGPRsForWavesPerEU: 1
; NumVGPRsForWavesPerEU: 1
; NamedBarCnt: 0
; Occupancy: 16
; WaveLimiterHint : 0
; COMPUTE_PGM_RSRC2:SCRATCH_EN: 0
; COMPUTE_PGM_RSRC2:USER_SGPR: 2
; COMPUTE_PGM_RSRC2:TRAP_HANDLER: 0
; COMPUTE_PGM_RSRC2:TGID_X_EN: 1
; COMPUTE_PGM_RSRC2:TGID_Y_EN: 0
; COMPUTE_PGM_RSRC2:TGID_Z_EN: 0
; COMPUTE_PGM_RSRC2:TIDIG_COMP_CNT: 0
	.section	.text._ZN7rocprim17ROCPRIM_400000_NS6detail17trampoline_kernelINS0_14default_configENS1_25partition_config_selectorILNS1_17partition_subalgoE8EiNS0_10empty_typeEbEEZZNS1_14partition_implILS5_8ELb0ES3_jPKiPS6_PKS6_NS0_5tupleIJPiS6_EEENSE_IJSB_SB_EEENS0_18inequality_wrapperIN6hipcub16HIPCUB_304000_NS8EqualityEEEPlJS6_EEE10hipError_tPvRmT3_T4_T5_T6_T7_T9_mT8_P12ihipStream_tbDpT10_ENKUlT_T0_E_clISt17integral_constantIbLb1EES16_IbLb0EEEEDaS12_S13_EUlS12_E_NS1_11comp_targetILNS1_3genE10ELNS1_11target_archE1200ELNS1_3gpuE4ELNS1_3repE0EEENS1_30default_config_static_selectorELNS0_4arch9wavefront6targetE0EEEvT1_,"axG",@progbits,_ZN7rocprim17ROCPRIM_400000_NS6detail17trampoline_kernelINS0_14default_configENS1_25partition_config_selectorILNS1_17partition_subalgoE8EiNS0_10empty_typeEbEEZZNS1_14partition_implILS5_8ELb0ES3_jPKiPS6_PKS6_NS0_5tupleIJPiS6_EEENSE_IJSB_SB_EEENS0_18inequality_wrapperIN6hipcub16HIPCUB_304000_NS8EqualityEEEPlJS6_EEE10hipError_tPvRmT3_T4_T5_T6_T7_T9_mT8_P12ihipStream_tbDpT10_ENKUlT_T0_E_clISt17integral_constantIbLb1EES16_IbLb0EEEEDaS12_S13_EUlS12_E_NS1_11comp_targetILNS1_3genE10ELNS1_11target_archE1200ELNS1_3gpuE4ELNS1_3repE0EEENS1_30default_config_static_selectorELNS0_4arch9wavefront6targetE0EEEvT1_,comdat
	.protected	_ZN7rocprim17ROCPRIM_400000_NS6detail17trampoline_kernelINS0_14default_configENS1_25partition_config_selectorILNS1_17partition_subalgoE8EiNS0_10empty_typeEbEEZZNS1_14partition_implILS5_8ELb0ES3_jPKiPS6_PKS6_NS0_5tupleIJPiS6_EEENSE_IJSB_SB_EEENS0_18inequality_wrapperIN6hipcub16HIPCUB_304000_NS8EqualityEEEPlJS6_EEE10hipError_tPvRmT3_T4_T5_T6_T7_T9_mT8_P12ihipStream_tbDpT10_ENKUlT_T0_E_clISt17integral_constantIbLb1EES16_IbLb0EEEEDaS12_S13_EUlS12_E_NS1_11comp_targetILNS1_3genE10ELNS1_11target_archE1200ELNS1_3gpuE4ELNS1_3repE0EEENS1_30default_config_static_selectorELNS0_4arch9wavefront6targetE0EEEvT1_ ; -- Begin function _ZN7rocprim17ROCPRIM_400000_NS6detail17trampoline_kernelINS0_14default_configENS1_25partition_config_selectorILNS1_17partition_subalgoE8EiNS0_10empty_typeEbEEZZNS1_14partition_implILS5_8ELb0ES3_jPKiPS6_PKS6_NS0_5tupleIJPiS6_EEENSE_IJSB_SB_EEENS0_18inequality_wrapperIN6hipcub16HIPCUB_304000_NS8EqualityEEEPlJS6_EEE10hipError_tPvRmT3_T4_T5_T6_T7_T9_mT8_P12ihipStream_tbDpT10_ENKUlT_T0_E_clISt17integral_constantIbLb1EES16_IbLb0EEEEDaS12_S13_EUlS12_E_NS1_11comp_targetILNS1_3genE10ELNS1_11target_archE1200ELNS1_3gpuE4ELNS1_3repE0EEENS1_30default_config_static_selectorELNS0_4arch9wavefront6targetE0EEEvT1_
	.globl	_ZN7rocprim17ROCPRIM_400000_NS6detail17trampoline_kernelINS0_14default_configENS1_25partition_config_selectorILNS1_17partition_subalgoE8EiNS0_10empty_typeEbEEZZNS1_14partition_implILS5_8ELb0ES3_jPKiPS6_PKS6_NS0_5tupleIJPiS6_EEENSE_IJSB_SB_EEENS0_18inequality_wrapperIN6hipcub16HIPCUB_304000_NS8EqualityEEEPlJS6_EEE10hipError_tPvRmT3_T4_T5_T6_T7_T9_mT8_P12ihipStream_tbDpT10_ENKUlT_T0_E_clISt17integral_constantIbLb1EES16_IbLb0EEEEDaS12_S13_EUlS12_E_NS1_11comp_targetILNS1_3genE10ELNS1_11target_archE1200ELNS1_3gpuE4ELNS1_3repE0EEENS1_30default_config_static_selectorELNS0_4arch9wavefront6targetE0EEEvT1_
	.p2align	8
	.type	_ZN7rocprim17ROCPRIM_400000_NS6detail17trampoline_kernelINS0_14default_configENS1_25partition_config_selectorILNS1_17partition_subalgoE8EiNS0_10empty_typeEbEEZZNS1_14partition_implILS5_8ELb0ES3_jPKiPS6_PKS6_NS0_5tupleIJPiS6_EEENSE_IJSB_SB_EEENS0_18inequality_wrapperIN6hipcub16HIPCUB_304000_NS8EqualityEEEPlJS6_EEE10hipError_tPvRmT3_T4_T5_T6_T7_T9_mT8_P12ihipStream_tbDpT10_ENKUlT_T0_E_clISt17integral_constantIbLb1EES16_IbLb0EEEEDaS12_S13_EUlS12_E_NS1_11comp_targetILNS1_3genE10ELNS1_11target_archE1200ELNS1_3gpuE4ELNS1_3repE0EEENS1_30default_config_static_selectorELNS0_4arch9wavefront6targetE0EEEvT1_,@function
_ZN7rocprim17ROCPRIM_400000_NS6detail17trampoline_kernelINS0_14default_configENS1_25partition_config_selectorILNS1_17partition_subalgoE8EiNS0_10empty_typeEbEEZZNS1_14partition_implILS5_8ELb0ES3_jPKiPS6_PKS6_NS0_5tupleIJPiS6_EEENSE_IJSB_SB_EEENS0_18inequality_wrapperIN6hipcub16HIPCUB_304000_NS8EqualityEEEPlJS6_EEE10hipError_tPvRmT3_T4_T5_T6_T7_T9_mT8_P12ihipStream_tbDpT10_ENKUlT_T0_E_clISt17integral_constantIbLb1EES16_IbLb0EEEEDaS12_S13_EUlS12_E_NS1_11comp_targetILNS1_3genE10ELNS1_11target_archE1200ELNS1_3gpuE4ELNS1_3repE0EEENS1_30default_config_static_selectorELNS0_4arch9wavefront6targetE0EEEvT1_: ; @_ZN7rocprim17ROCPRIM_400000_NS6detail17trampoline_kernelINS0_14default_configENS1_25partition_config_selectorILNS1_17partition_subalgoE8EiNS0_10empty_typeEbEEZZNS1_14partition_implILS5_8ELb0ES3_jPKiPS6_PKS6_NS0_5tupleIJPiS6_EEENSE_IJSB_SB_EEENS0_18inequality_wrapperIN6hipcub16HIPCUB_304000_NS8EqualityEEEPlJS6_EEE10hipError_tPvRmT3_T4_T5_T6_T7_T9_mT8_P12ihipStream_tbDpT10_ENKUlT_T0_E_clISt17integral_constantIbLb1EES16_IbLb0EEEEDaS12_S13_EUlS12_E_NS1_11comp_targetILNS1_3genE10ELNS1_11target_archE1200ELNS1_3gpuE4ELNS1_3repE0EEENS1_30default_config_static_selectorELNS0_4arch9wavefront6targetE0EEEvT1_
; %bb.0:
	.section	.rodata,"a",@progbits
	.p2align	6, 0x0
	.amdhsa_kernel _ZN7rocprim17ROCPRIM_400000_NS6detail17trampoline_kernelINS0_14default_configENS1_25partition_config_selectorILNS1_17partition_subalgoE8EiNS0_10empty_typeEbEEZZNS1_14partition_implILS5_8ELb0ES3_jPKiPS6_PKS6_NS0_5tupleIJPiS6_EEENSE_IJSB_SB_EEENS0_18inequality_wrapperIN6hipcub16HIPCUB_304000_NS8EqualityEEEPlJS6_EEE10hipError_tPvRmT3_T4_T5_T6_T7_T9_mT8_P12ihipStream_tbDpT10_ENKUlT_T0_E_clISt17integral_constantIbLb1EES16_IbLb0EEEEDaS12_S13_EUlS12_E_NS1_11comp_targetILNS1_3genE10ELNS1_11target_archE1200ELNS1_3gpuE4ELNS1_3repE0EEENS1_30default_config_static_selectorELNS0_4arch9wavefront6targetE0EEEvT1_
		.amdhsa_group_segment_fixed_size 0
		.amdhsa_private_segment_fixed_size 0
		.amdhsa_kernarg_size 112
		.amdhsa_user_sgpr_count 2
		.amdhsa_user_sgpr_dispatch_ptr 0
		.amdhsa_user_sgpr_queue_ptr 0
		.amdhsa_user_sgpr_kernarg_segment_ptr 1
		.amdhsa_user_sgpr_dispatch_id 0
		.amdhsa_user_sgpr_kernarg_preload_length 0
		.amdhsa_user_sgpr_kernarg_preload_offset 0
		.amdhsa_user_sgpr_private_segment_size 0
		.amdhsa_wavefront_size32 1
		.amdhsa_uses_dynamic_stack 0
		.amdhsa_enable_private_segment 0
		.amdhsa_system_sgpr_workgroup_id_x 1
		.amdhsa_system_sgpr_workgroup_id_y 0
		.amdhsa_system_sgpr_workgroup_id_z 0
		.amdhsa_system_sgpr_workgroup_info 0
		.amdhsa_system_vgpr_workitem_id 0
		.amdhsa_next_free_vgpr 1
		.amdhsa_next_free_sgpr 1
		.amdhsa_named_barrier_count 0
		.amdhsa_reserve_vcc 0
		.amdhsa_float_round_mode_32 0
		.amdhsa_float_round_mode_16_64 0
		.amdhsa_float_denorm_mode_32 3
		.amdhsa_float_denorm_mode_16_64 3
		.amdhsa_fp16_overflow 0
		.amdhsa_memory_ordered 1
		.amdhsa_forward_progress 1
		.amdhsa_inst_pref_size 0
		.amdhsa_round_robin_scheduling 0
		.amdhsa_exception_fp_ieee_invalid_op 0
		.amdhsa_exception_fp_denorm_src 0
		.amdhsa_exception_fp_ieee_div_zero 0
		.amdhsa_exception_fp_ieee_overflow 0
		.amdhsa_exception_fp_ieee_underflow 0
		.amdhsa_exception_fp_ieee_inexact 0
		.amdhsa_exception_int_div_zero 0
	.end_amdhsa_kernel
	.section	.text._ZN7rocprim17ROCPRIM_400000_NS6detail17trampoline_kernelINS0_14default_configENS1_25partition_config_selectorILNS1_17partition_subalgoE8EiNS0_10empty_typeEbEEZZNS1_14partition_implILS5_8ELb0ES3_jPKiPS6_PKS6_NS0_5tupleIJPiS6_EEENSE_IJSB_SB_EEENS0_18inequality_wrapperIN6hipcub16HIPCUB_304000_NS8EqualityEEEPlJS6_EEE10hipError_tPvRmT3_T4_T5_T6_T7_T9_mT8_P12ihipStream_tbDpT10_ENKUlT_T0_E_clISt17integral_constantIbLb1EES16_IbLb0EEEEDaS12_S13_EUlS12_E_NS1_11comp_targetILNS1_3genE10ELNS1_11target_archE1200ELNS1_3gpuE4ELNS1_3repE0EEENS1_30default_config_static_selectorELNS0_4arch9wavefront6targetE0EEEvT1_,"axG",@progbits,_ZN7rocprim17ROCPRIM_400000_NS6detail17trampoline_kernelINS0_14default_configENS1_25partition_config_selectorILNS1_17partition_subalgoE8EiNS0_10empty_typeEbEEZZNS1_14partition_implILS5_8ELb0ES3_jPKiPS6_PKS6_NS0_5tupleIJPiS6_EEENSE_IJSB_SB_EEENS0_18inequality_wrapperIN6hipcub16HIPCUB_304000_NS8EqualityEEEPlJS6_EEE10hipError_tPvRmT3_T4_T5_T6_T7_T9_mT8_P12ihipStream_tbDpT10_ENKUlT_T0_E_clISt17integral_constantIbLb1EES16_IbLb0EEEEDaS12_S13_EUlS12_E_NS1_11comp_targetILNS1_3genE10ELNS1_11target_archE1200ELNS1_3gpuE4ELNS1_3repE0EEENS1_30default_config_static_selectorELNS0_4arch9wavefront6targetE0EEEvT1_,comdat
.Lfunc_end209:
	.size	_ZN7rocprim17ROCPRIM_400000_NS6detail17trampoline_kernelINS0_14default_configENS1_25partition_config_selectorILNS1_17partition_subalgoE8EiNS0_10empty_typeEbEEZZNS1_14partition_implILS5_8ELb0ES3_jPKiPS6_PKS6_NS0_5tupleIJPiS6_EEENSE_IJSB_SB_EEENS0_18inequality_wrapperIN6hipcub16HIPCUB_304000_NS8EqualityEEEPlJS6_EEE10hipError_tPvRmT3_T4_T5_T6_T7_T9_mT8_P12ihipStream_tbDpT10_ENKUlT_T0_E_clISt17integral_constantIbLb1EES16_IbLb0EEEEDaS12_S13_EUlS12_E_NS1_11comp_targetILNS1_3genE10ELNS1_11target_archE1200ELNS1_3gpuE4ELNS1_3repE0EEENS1_30default_config_static_selectorELNS0_4arch9wavefront6targetE0EEEvT1_, .Lfunc_end209-_ZN7rocprim17ROCPRIM_400000_NS6detail17trampoline_kernelINS0_14default_configENS1_25partition_config_selectorILNS1_17partition_subalgoE8EiNS0_10empty_typeEbEEZZNS1_14partition_implILS5_8ELb0ES3_jPKiPS6_PKS6_NS0_5tupleIJPiS6_EEENSE_IJSB_SB_EEENS0_18inequality_wrapperIN6hipcub16HIPCUB_304000_NS8EqualityEEEPlJS6_EEE10hipError_tPvRmT3_T4_T5_T6_T7_T9_mT8_P12ihipStream_tbDpT10_ENKUlT_T0_E_clISt17integral_constantIbLb1EES16_IbLb0EEEEDaS12_S13_EUlS12_E_NS1_11comp_targetILNS1_3genE10ELNS1_11target_archE1200ELNS1_3gpuE4ELNS1_3repE0EEENS1_30default_config_static_selectorELNS0_4arch9wavefront6targetE0EEEvT1_
                                        ; -- End function
	.set _ZN7rocprim17ROCPRIM_400000_NS6detail17trampoline_kernelINS0_14default_configENS1_25partition_config_selectorILNS1_17partition_subalgoE8EiNS0_10empty_typeEbEEZZNS1_14partition_implILS5_8ELb0ES3_jPKiPS6_PKS6_NS0_5tupleIJPiS6_EEENSE_IJSB_SB_EEENS0_18inequality_wrapperIN6hipcub16HIPCUB_304000_NS8EqualityEEEPlJS6_EEE10hipError_tPvRmT3_T4_T5_T6_T7_T9_mT8_P12ihipStream_tbDpT10_ENKUlT_T0_E_clISt17integral_constantIbLb1EES16_IbLb0EEEEDaS12_S13_EUlS12_E_NS1_11comp_targetILNS1_3genE10ELNS1_11target_archE1200ELNS1_3gpuE4ELNS1_3repE0EEENS1_30default_config_static_selectorELNS0_4arch9wavefront6targetE0EEEvT1_.num_vgpr, 0
	.set _ZN7rocprim17ROCPRIM_400000_NS6detail17trampoline_kernelINS0_14default_configENS1_25partition_config_selectorILNS1_17partition_subalgoE8EiNS0_10empty_typeEbEEZZNS1_14partition_implILS5_8ELb0ES3_jPKiPS6_PKS6_NS0_5tupleIJPiS6_EEENSE_IJSB_SB_EEENS0_18inequality_wrapperIN6hipcub16HIPCUB_304000_NS8EqualityEEEPlJS6_EEE10hipError_tPvRmT3_T4_T5_T6_T7_T9_mT8_P12ihipStream_tbDpT10_ENKUlT_T0_E_clISt17integral_constantIbLb1EES16_IbLb0EEEEDaS12_S13_EUlS12_E_NS1_11comp_targetILNS1_3genE10ELNS1_11target_archE1200ELNS1_3gpuE4ELNS1_3repE0EEENS1_30default_config_static_selectorELNS0_4arch9wavefront6targetE0EEEvT1_.num_agpr, 0
	.set _ZN7rocprim17ROCPRIM_400000_NS6detail17trampoline_kernelINS0_14default_configENS1_25partition_config_selectorILNS1_17partition_subalgoE8EiNS0_10empty_typeEbEEZZNS1_14partition_implILS5_8ELb0ES3_jPKiPS6_PKS6_NS0_5tupleIJPiS6_EEENSE_IJSB_SB_EEENS0_18inequality_wrapperIN6hipcub16HIPCUB_304000_NS8EqualityEEEPlJS6_EEE10hipError_tPvRmT3_T4_T5_T6_T7_T9_mT8_P12ihipStream_tbDpT10_ENKUlT_T0_E_clISt17integral_constantIbLb1EES16_IbLb0EEEEDaS12_S13_EUlS12_E_NS1_11comp_targetILNS1_3genE10ELNS1_11target_archE1200ELNS1_3gpuE4ELNS1_3repE0EEENS1_30default_config_static_selectorELNS0_4arch9wavefront6targetE0EEEvT1_.numbered_sgpr, 0
	.set _ZN7rocprim17ROCPRIM_400000_NS6detail17trampoline_kernelINS0_14default_configENS1_25partition_config_selectorILNS1_17partition_subalgoE8EiNS0_10empty_typeEbEEZZNS1_14partition_implILS5_8ELb0ES3_jPKiPS6_PKS6_NS0_5tupleIJPiS6_EEENSE_IJSB_SB_EEENS0_18inequality_wrapperIN6hipcub16HIPCUB_304000_NS8EqualityEEEPlJS6_EEE10hipError_tPvRmT3_T4_T5_T6_T7_T9_mT8_P12ihipStream_tbDpT10_ENKUlT_T0_E_clISt17integral_constantIbLb1EES16_IbLb0EEEEDaS12_S13_EUlS12_E_NS1_11comp_targetILNS1_3genE10ELNS1_11target_archE1200ELNS1_3gpuE4ELNS1_3repE0EEENS1_30default_config_static_selectorELNS0_4arch9wavefront6targetE0EEEvT1_.num_named_barrier, 0
	.set _ZN7rocprim17ROCPRIM_400000_NS6detail17trampoline_kernelINS0_14default_configENS1_25partition_config_selectorILNS1_17partition_subalgoE8EiNS0_10empty_typeEbEEZZNS1_14partition_implILS5_8ELb0ES3_jPKiPS6_PKS6_NS0_5tupleIJPiS6_EEENSE_IJSB_SB_EEENS0_18inequality_wrapperIN6hipcub16HIPCUB_304000_NS8EqualityEEEPlJS6_EEE10hipError_tPvRmT3_T4_T5_T6_T7_T9_mT8_P12ihipStream_tbDpT10_ENKUlT_T0_E_clISt17integral_constantIbLb1EES16_IbLb0EEEEDaS12_S13_EUlS12_E_NS1_11comp_targetILNS1_3genE10ELNS1_11target_archE1200ELNS1_3gpuE4ELNS1_3repE0EEENS1_30default_config_static_selectorELNS0_4arch9wavefront6targetE0EEEvT1_.private_seg_size, 0
	.set _ZN7rocprim17ROCPRIM_400000_NS6detail17trampoline_kernelINS0_14default_configENS1_25partition_config_selectorILNS1_17partition_subalgoE8EiNS0_10empty_typeEbEEZZNS1_14partition_implILS5_8ELb0ES3_jPKiPS6_PKS6_NS0_5tupleIJPiS6_EEENSE_IJSB_SB_EEENS0_18inequality_wrapperIN6hipcub16HIPCUB_304000_NS8EqualityEEEPlJS6_EEE10hipError_tPvRmT3_T4_T5_T6_T7_T9_mT8_P12ihipStream_tbDpT10_ENKUlT_T0_E_clISt17integral_constantIbLb1EES16_IbLb0EEEEDaS12_S13_EUlS12_E_NS1_11comp_targetILNS1_3genE10ELNS1_11target_archE1200ELNS1_3gpuE4ELNS1_3repE0EEENS1_30default_config_static_selectorELNS0_4arch9wavefront6targetE0EEEvT1_.uses_vcc, 0
	.set _ZN7rocprim17ROCPRIM_400000_NS6detail17trampoline_kernelINS0_14default_configENS1_25partition_config_selectorILNS1_17partition_subalgoE8EiNS0_10empty_typeEbEEZZNS1_14partition_implILS5_8ELb0ES3_jPKiPS6_PKS6_NS0_5tupleIJPiS6_EEENSE_IJSB_SB_EEENS0_18inequality_wrapperIN6hipcub16HIPCUB_304000_NS8EqualityEEEPlJS6_EEE10hipError_tPvRmT3_T4_T5_T6_T7_T9_mT8_P12ihipStream_tbDpT10_ENKUlT_T0_E_clISt17integral_constantIbLb1EES16_IbLb0EEEEDaS12_S13_EUlS12_E_NS1_11comp_targetILNS1_3genE10ELNS1_11target_archE1200ELNS1_3gpuE4ELNS1_3repE0EEENS1_30default_config_static_selectorELNS0_4arch9wavefront6targetE0EEEvT1_.uses_flat_scratch, 0
	.set _ZN7rocprim17ROCPRIM_400000_NS6detail17trampoline_kernelINS0_14default_configENS1_25partition_config_selectorILNS1_17partition_subalgoE8EiNS0_10empty_typeEbEEZZNS1_14partition_implILS5_8ELb0ES3_jPKiPS6_PKS6_NS0_5tupleIJPiS6_EEENSE_IJSB_SB_EEENS0_18inequality_wrapperIN6hipcub16HIPCUB_304000_NS8EqualityEEEPlJS6_EEE10hipError_tPvRmT3_T4_T5_T6_T7_T9_mT8_P12ihipStream_tbDpT10_ENKUlT_T0_E_clISt17integral_constantIbLb1EES16_IbLb0EEEEDaS12_S13_EUlS12_E_NS1_11comp_targetILNS1_3genE10ELNS1_11target_archE1200ELNS1_3gpuE4ELNS1_3repE0EEENS1_30default_config_static_selectorELNS0_4arch9wavefront6targetE0EEEvT1_.has_dyn_sized_stack, 0
	.set _ZN7rocprim17ROCPRIM_400000_NS6detail17trampoline_kernelINS0_14default_configENS1_25partition_config_selectorILNS1_17partition_subalgoE8EiNS0_10empty_typeEbEEZZNS1_14partition_implILS5_8ELb0ES3_jPKiPS6_PKS6_NS0_5tupleIJPiS6_EEENSE_IJSB_SB_EEENS0_18inequality_wrapperIN6hipcub16HIPCUB_304000_NS8EqualityEEEPlJS6_EEE10hipError_tPvRmT3_T4_T5_T6_T7_T9_mT8_P12ihipStream_tbDpT10_ENKUlT_T0_E_clISt17integral_constantIbLb1EES16_IbLb0EEEEDaS12_S13_EUlS12_E_NS1_11comp_targetILNS1_3genE10ELNS1_11target_archE1200ELNS1_3gpuE4ELNS1_3repE0EEENS1_30default_config_static_selectorELNS0_4arch9wavefront6targetE0EEEvT1_.has_recursion, 0
	.set _ZN7rocprim17ROCPRIM_400000_NS6detail17trampoline_kernelINS0_14default_configENS1_25partition_config_selectorILNS1_17partition_subalgoE8EiNS0_10empty_typeEbEEZZNS1_14partition_implILS5_8ELb0ES3_jPKiPS6_PKS6_NS0_5tupleIJPiS6_EEENSE_IJSB_SB_EEENS0_18inequality_wrapperIN6hipcub16HIPCUB_304000_NS8EqualityEEEPlJS6_EEE10hipError_tPvRmT3_T4_T5_T6_T7_T9_mT8_P12ihipStream_tbDpT10_ENKUlT_T0_E_clISt17integral_constantIbLb1EES16_IbLb0EEEEDaS12_S13_EUlS12_E_NS1_11comp_targetILNS1_3genE10ELNS1_11target_archE1200ELNS1_3gpuE4ELNS1_3repE0EEENS1_30default_config_static_selectorELNS0_4arch9wavefront6targetE0EEEvT1_.has_indirect_call, 0
	.section	.AMDGPU.csdata,"",@progbits
; Kernel info:
; codeLenInByte = 0
; TotalNumSgprs: 0
; NumVgprs: 0
; ScratchSize: 0
; MemoryBound: 0
; FloatMode: 240
; IeeeMode: 1
; LDSByteSize: 0 bytes/workgroup (compile time only)
; SGPRBlocks: 0
; VGPRBlocks: 0
; NumSGPRsForWavesPerEU: 1
; NumVGPRsForWavesPerEU: 1
; NamedBarCnt: 0
; Occupancy: 16
; WaveLimiterHint : 0
; COMPUTE_PGM_RSRC2:SCRATCH_EN: 0
; COMPUTE_PGM_RSRC2:USER_SGPR: 2
; COMPUTE_PGM_RSRC2:TRAP_HANDLER: 0
; COMPUTE_PGM_RSRC2:TGID_X_EN: 1
; COMPUTE_PGM_RSRC2:TGID_Y_EN: 0
; COMPUTE_PGM_RSRC2:TGID_Z_EN: 0
; COMPUTE_PGM_RSRC2:TIDIG_COMP_CNT: 0
	.section	.text._ZN7rocprim17ROCPRIM_400000_NS6detail17trampoline_kernelINS0_14default_configENS1_25partition_config_selectorILNS1_17partition_subalgoE8EiNS0_10empty_typeEbEEZZNS1_14partition_implILS5_8ELb0ES3_jPKiPS6_PKS6_NS0_5tupleIJPiS6_EEENSE_IJSB_SB_EEENS0_18inequality_wrapperIN6hipcub16HIPCUB_304000_NS8EqualityEEEPlJS6_EEE10hipError_tPvRmT3_T4_T5_T6_T7_T9_mT8_P12ihipStream_tbDpT10_ENKUlT_T0_E_clISt17integral_constantIbLb1EES16_IbLb0EEEEDaS12_S13_EUlS12_E_NS1_11comp_targetILNS1_3genE9ELNS1_11target_archE1100ELNS1_3gpuE3ELNS1_3repE0EEENS1_30default_config_static_selectorELNS0_4arch9wavefront6targetE0EEEvT1_,"axG",@progbits,_ZN7rocprim17ROCPRIM_400000_NS6detail17trampoline_kernelINS0_14default_configENS1_25partition_config_selectorILNS1_17partition_subalgoE8EiNS0_10empty_typeEbEEZZNS1_14partition_implILS5_8ELb0ES3_jPKiPS6_PKS6_NS0_5tupleIJPiS6_EEENSE_IJSB_SB_EEENS0_18inequality_wrapperIN6hipcub16HIPCUB_304000_NS8EqualityEEEPlJS6_EEE10hipError_tPvRmT3_T4_T5_T6_T7_T9_mT8_P12ihipStream_tbDpT10_ENKUlT_T0_E_clISt17integral_constantIbLb1EES16_IbLb0EEEEDaS12_S13_EUlS12_E_NS1_11comp_targetILNS1_3genE9ELNS1_11target_archE1100ELNS1_3gpuE3ELNS1_3repE0EEENS1_30default_config_static_selectorELNS0_4arch9wavefront6targetE0EEEvT1_,comdat
	.protected	_ZN7rocprim17ROCPRIM_400000_NS6detail17trampoline_kernelINS0_14default_configENS1_25partition_config_selectorILNS1_17partition_subalgoE8EiNS0_10empty_typeEbEEZZNS1_14partition_implILS5_8ELb0ES3_jPKiPS6_PKS6_NS0_5tupleIJPiS6_EEENSE_IJSB_SB_EEENS0_18inequality_wrapperIN6hipcub16HIPCUB_304000_NS8EqualityEEEPlJS6_EEE10hipError_tPvRmT3_T4_T5_T6_T7_T9_mT8_P12ihipStream_tbDpT10_ENKUlT_T0_E_clISt17integral_constantIbLb1EES16_IbLb0EEEEDaS12_S13_EUlS12_E_NS1_11comp_targetILNS1_3genE9ELNS1_11target_archE1100ELNS1_3gpuE3ELNS1_3repE0EEENS1_30default_config_static_selectorELNS0_4arch9wavefront6targetE0EEEvT1_ ; -- Begin function _ZN7rocprim17ROCPRIM_400000_NS6detail17trampoline_kernelINS0_14default_configENS1_25partition_config_selectorILNS1_17partition_subalgoE8EiNS0_10empty_typeEbEEZZNS1_14partition_implILS5_8ELb0ES3_jPKiPS6_PKS6_NS0_5tupleIJPiS6_EEENSE_IJSB_SB_EEENS0_18inequality_wrapperIN6hipcub16HIPCUB_304000_NS8EqualityEEEPlJS6_EEE10hipError_tPvRmT3_T4_T5_T6_T7_T9_mT8_P12ihipStream_tbDpT10_ENKUlT_T0_E_clISt17integral_constantIbLb1EES16_IbLb0EEEEDaS12_S13_EUlS12_E_NS1_11comp_targetILNS1_3genE9ELNS1_11target_archE1100ELNS1_3gpuE3ELNS1_3repE0EEENS1_30default_config_static_selectorELNS0_4arch9wavefront6targetE0EEEvT1_
	.globl	_ZN7rocprim17ROCPRIM_400000_NS6detail17trampoline_kernelINS0_14default_configENS1_25partition_config_selectorILNS1_17partition_subalgoE8EiNS0_10empty_typeEbEEZZNS1_14partition_implILS5_8ELb0ES3_jPKiPS6_PKS6_NS0_5tupleIJPiS6_EEENSE_IJSB_SB_EEENS0_18inequality_wrapperIN6hipcub16HIPCUB_304000_NS8EqualityEEEPlJS6_EEE10hipError_tPvRmT3_T4_T5_T6_T7_T9_mT8_P12ihipStream_tbDpT10_ENKUlT_T0_E_clISt17integral_constantIbLb1EES16_IbLb0EEEEDaS12_S13_EUlS12_E_NS1_11comp_targetILNS1_3genE9ELNS1_11target_archE1100ELNS1_3gpuE3ELNS1_3repE0EEENS1_30default_config_static_selectorELNS0_4arch9wavefront6targetE0EEEvT1_
	.p2align	8
	.type	_ZN7rocprim17ROCPRIM_400000_NS6detail17trampoline_kernelINS0_14default_configENS1_25partition_config_selectorILNS1_17partition_subalgoE8EiNS0_10empty_typeEbEEZZNS1_14partition_implILS5_8ELb0ES3_jPKiPS6_PKS6_NS0_5tupleIJPiS6_EEENSE_IJSB_SB_EEENS0_18inequality_wrapperIN6hipcub16HIPCUB_304000_NS8EqualityEEEPlJS6_EEE10hipError_tPvRmT3_T4_T5_T6_T7_T9_mT8_P12ihipStream_tbDpT10_ENKUlT_T0_E_clISt17integral_constantIbLb1EES16_IbLb0EEEEDaS12_S13_EUlS12_E_NS1_11comp_targetILNS1_3genE9ELNS1_11target_archE1100ELNS1_3gpuE3ELNS1_3repE0EEENS1_30default_config_static_selectorELNS0_4arch9wavefront6targetE0EEEvT1_,@function
_ZN7rocprim17ROCPRIM_400000_NS6detail17trampoline_kernelINS0_14default_configENS1_25partition_config_selectorILNS1_17partition_subalgoE8EiNS0_10empty_typeEbEEZZNS1_14partition_implILS5_8ELb0ES3_jPKiPS6_PKS6_NS0_5tupleIJPiS6_EEENSE_IJSB_SB_EEENS0_18inequality_wrapperIN6hipcub16HIPCUB_304000_NS8EqualityEEEPlJS6_EEE10hipError_tPvRmT3_T4_T5_T6_T7_T9_mT8_P12ihipStream_tbDpT10_ENKUlT_T0_E_clISt17integral_constantIbLb1EES16_IbLb0EEEEDaS12_S13_EUlS12_E_NS1_11comp_targetILNS1_3genE9ELNS1_11target_archE1100ELNS1_3gpuE3ELNS1_3repE0EEENS1_30default_config_static_selectorELNS0_4arch9wavefront6targetE0EEEvT1_: ; @_ZN7rocprim17ROCPRIM_400000_NS6detail17trampoline_kernelINS0_14default_configENS1_25partition_config_selectorILNS1_17partition_subalgoE8EiNS0_10empty_typeEbEEZZNS1_14partition_implILS5_8ELb0ES3_jPKiPS6_PKS6_NS0_5tupleIJPiS6_EEENSE_IJSB_SB_EEENS0_18inequality_wrapperIN6hipcub16HIPCUB_304000_NS8EqualityEEEPlJS6_EEE10hipError_tPvRmT3_T4_T5_T6_T7_T9_mT8_P12ihipStream_tbDpT10_ENKUlT_T0_E_clISt17integral_constantIbLb1EES16_IbLb0EEEEDaS12_S13_EUlS12_E_NS1_11comp_targetILNS1_3genE9ELNS1_11target_archE1100ELNS1_3gpuE3ELNS1_3repE0EEENS1_30default_config_static_selectorELNS0_4arch9wavefront6targetE0EEEvT1_
; %bb.0:
	.section	.rodata,"a",@progbits
	.p2align	6, 0x0
	.amdhsa_kernel _ZN7rocprim17ROCPRIM_400000_NS6detail17trampoline_kernelINS0_14default_configENS1_25partition_config_selectorILNS1_17partition_subalgoE8EiNS0_10empty_typeEbEEZZNS1_14partition_implILS5_8ELb0ES3_jPKiPS6_PKS6_NS0_5tupleIJPiS6_EEENSE_IJSB_SB_EEENS0_18inequality_wrapperIN6hipcub16HIPCUB_304000_NS8EqualityEEEPlJS6_EEE10hipError_tPvRmT3_T4_T5_T6_T7_T9_mT8_P12ihipStream_tbDpT10_ENKUlT_T0_E_clISt17integral_constantIbLb1EES16_IbLb0EEEEDaS12_S13_EUlS12_E_NS1_11comp_targetILNS1_3genE9ELNS1_11target_archE1100ELNS1_3gpuE3ELNS1_3repE0EEENS1_30default_config_static_selectorELNS0_4arch9wavefront6targetE0EEEvT1_
		.amdhsa_group_segment_fixed_size 0
		.amdhsa_private_segment_fixed_size 0
		.amdhsa_kernarg_size 112
		.amdhsa_user_sgpr_count 2
		.amdhsa_user_sgpr_dispatch_ptr 0
		.amdhsa_user_sgpr_queue_ptr 0
		.amdhsa_user_sgpr_kernarg_segment_ptr 1
		.amdhsa_user_sgpr_dispatch_id 0
		.amdhsa_user_sgpr_kernarg_preload_length 0
		.amdhsa_user_sgpr_kernarg_preload_offset 0
		.amdhsa_user_sgpr_private_segment_size 0
		.amdhsa_wavefront_size32 1
		.amdhsa_uses_dynamic_stack 0
		.amdhsa_enable_private_segment 0
		.amdhsa_system_sgpr_workgroup_id_x 1
		.amdhsa_system_sgpr_workgroup_id_y 0
		.amdhsa_system_sgpr_workgroup_id_z 0
		.amdhsa_system_sgpr_workgroup_info 0
		.amdhsa_system_vgpr_workitem_id 0
		.amdhsa_next_free_vgpr 1
		.amdhsa_next_free_sgpr 1
		.amdhsa_named_barrier_count 0
		.amdhsa_reserve_vcc 0
		.amdhsa_float_round_mode_32 0
		.amdhsa_float_round_mode_16_64 0
		.amdhsa_float_denorm_mode_32 3
		.amdhsa_float_denorm_mode_16_64 3
		.amdhsa_fp16_overflow 0
		.amdhsa_memory_ordered 1
		.amdhsa_forward_progress 1
		.amdhsa_inst_pref_size 0
		.amdhsa_round_robin_scheduling 0
		.amdhsa_exception_fp_ieee_invalid_op 0
		.amdhsa_exception_fp_denorm_src 0
		.amdhsa_exception_fp_ieee_div_zero 0
		.amdhsa_exception_fp_ieee_overflow 0
		.amdhsa_exception_fp_ieee_underflow 0
		.amdhsa_exception_fp_ieee_inexact 0
		.amdhsa_exception_int_div_zero 0
	.end_amdhsa_kernel
	.section	.text._ZN7rocprim17ROCPRIM_400000_NS6detail17trampoline_kernelINS0_14default_configENS1_25partition_config_selectorILNS1_17partition_subalgoE8EiNS0_10empty_typeEbEEZZNS1_14partition_implILS5_8ELb0ES3_jPKiPS6_PKS6_NS0_5tupleIJPiS6_EEENSE_IJSB_SB_EEENS0_18inequality_wrapperIN6hipcub16HIPCUB_304000_NS8EqualityEEEPlJS6_EEE10hipError_tPvRmT3_T4_T5_T6_T7_T9_mT8_P12ihipStream_tbDpT10_ENKUlT_T0_E_clISt17integral_constantIbLb1EES16_IbLb0EEEEDaS12_S13_EUlS12_E_NS1_11comp_targetILNS1_3genE9ELNS1_11target_archE1100ELNS1_3gpuE3ELNS1_3repE0EEENS1_30default_config_static_selectorELNS0_4arch9wavefront6targetE0EEEvT1_,"axG",@progbits,_ZN7rocprim17ROCPRIM_400000_NS6detail17trampoline_kernelINS0_14default_configENS1_25partition_config_selectorILNS1_17partition_subalgoE8EiNS0_10empty_typeEbEEZZNS1_14partition_implILS5_8ELb0ES3_jPKiPS6_PKS6_NS0_5tupleIJPiS6_EEENSE_IJSB_SB_EEENS0_18inequality_wrapperIN6hipcub16HIPCUB_304000_NS8EqualityEEEPlJS6_EEE10hipError_tPvRmT3_T4_T5_T6_T7_T9_mT8_P12ihipStream_tbDpT10_ENKUlT_T0_E_clISt17integral_constantIbLb1EES16_IbLb0EEEEDaS12_S13_EUlS12_E_NS1_11comp_targetILNS1_3genE9ELNS1_11target_archE1100ELNS1_3gpuE3ELNS1_3repE0EEENS1_30default_config_static_selectorELNS0_4arch9wavefront6targetE0EEEvT1_,comdat
.Lfunc_end210:
	.size	_ZN7rocprim17ROCPRIM_400000_NS6detail17trampoline_kernelINS0_14default_configENS1_25partition_config_selectorILNS1_17partition_subalgoE8EiNS0_10empty_typeEbEEZZNS1_14partition_implILS5_8ELb0ES3_jPKiPS6_PKS6_NS0_5tupleIJPiS6_EEENSE_IJSB_SB_EEENS0_18inequality_wrapperIN6hipcub16HIPCUB_304000_NS8EqualityEEEPlJS6_EEE10hipError_tPvRmT3_T4_T5_T6_T7_T9_mT8_P12ihipStream_tbDpT10_ENKUlT_T0_E_clISt17integral_constantIbLb1EES16_IbLb0EEEEDaS12_S13_EUlS12_E_NS1_11comp_targetILNS1_3genE9ELNS1_11target_archE1100ELNS1_3gpuE3ELNS1_3repE0EEENS1_30default_config_static_selectorELNS0_4arch9wavefront6targetE0EEEvT1_, .Lfunc_end210-_ZN7rocprim17ROCPRIM_400000_NS6detail17trampoline_kernelINS0_14default_configENS1_25partition_config_selectorILNS1_17partition_subalgoE8EiNS0_10empty_typeEbEEZZNS1_14partition_implILS5_8ELb0ES3_jPKiPS6_PKS6_NS0_5tupleIJPiS6_EEENSE_IJSB_SB_EEENS0_18inequality_wrapperIN6hipcub16HIPCUB_304000_NS8EqualityEEEPlJS6_EEE10hipError_tPvRmT3_T4_T5_T6_T7_T9_mT8_P12ihipStream_tbDpT10_ENKUlT_T0_E_clISt17integral_constantIbLb1EES16_IbLb0EEEEDaS12_S13_EUlS12_E_NS1_11comp_targetILNS1_3genE9ELNS1_11target_archE1100ELNS1_3gpuE3ELNS1_3repE0EEENS1_30default_config_static_selectorELNS0_4arch9wavefront6targetE0EEEvT1_
                                        ; -- End function
	.set _ZN7rocprim17ROCPRIM_400000_NS6detail17trampoline_kernelINS0_14default_configENS1_25partition_config_selectorILNS1_17partition_subalgoE8EiNS0_10empty_typeEbEEZZNS1_14partition_implILS5_8ELb0ES3_jPKiPS6_PKS6_NS0_5tupleIJPiS6_EEENSE_IJSB_SB_EEENS0_18inequality_wrapperIN6hipcub16HIPCUB_304000_NS8EqualityEEEPlJS6_EEE10hipError_tPvRmT3_T4_T5_T6_T7_T9_mT8_P12ihipStream_tbDpT10_ENKUlT_T0_E_clISt17integral_constantIbLb1EES16_IbLb0EEEEDaS12_S13_EUlS12_E_NS1_11comp_targetILNS1_3genE9ELNS1_11target_archE1100ELNS1_3gpuE3ELNS1_3repE0EEENS1_30default_config_static_selectorELNS0_4arch9wavefront6targetE0EEEvT1_.num_vgpr, 0
	.set _ZN7rocprim17ROCPRIM_400000_NS6detail17trampoline_kernelINS0_14default_configENS1_25partition_config_selectorILNS1_17partition_subalgoE8EiNS0_10empty_typeEbEEZZNS1_14partition_implILS5_8ELb0ES3_jPKiPS6_PKS6_NS0_5tupleIJPiS6_EEENSE_IJSB_SB_EEENS0_18inequality_wrapperIN6hipcub16HIPCUB_304000_NS8EqualityEEEPlJS6_EEE10hipError_tPvRmT3_T4_T5_T6_T7_T9_mT8_P12ihipStream_tbDpT10_ENKUlT_T0_E_clISt17integral_constantIbLb1EES16_IbLb0EEEEDaS12_S13_EUlS12_E_NS1_11comp_targetILNS1_3genE9ELNS1_11target_archE1100ELNS1_3gpuE3ELNS1_3repE0EEENS1_30default_config_static_selectorELNS0_4arch9wavefront6targetE0EEEvT1_.num_agpr, 0
	.set _ZN7rocprim17ROCPRIM_400000_NS6detail17trampoline_kernelINS0_14default_configENS1_25partition_config_selectorILNS1_17partition_subalgoE8EiNS0_10empty_typeEbEEZZNS1_14partition_implILS5_8ELb0ES3_jPKiPS6_PKS6_NS0_5tupleIJPiS6_EEENSE_IJSB_SB_EEENS0_18inequality_wrapperIN6hipcub16HIPCUB_304000_NS8EqualityEEEPlJS6_EEE10hipError_tPvRmT3_T4_T5_T6_T7_T9_mT8_P12ihipStream_tbDpT10_ENKUlT_T0_E_clISt17integral_constantIbLb1EES16_IbLb0EEEEDaS12_S13_EUlS12_E_NS1_11comp_targetILNS1_3genE9ELNS1_11target_archE1100ELNS1_3gpuE3ELNS1_3repE0EEENS1_30default_config_static_selectorELNS0_4arch9wavefront6targetE0EEEvT1_.numbered_sgpr, 0
	.set _ZN7rocprim17ROCPRIM_400000_NS6detail17trampoline_kernelINS0_14default_configENS1_25partition_config_selectorILNS1_17partition_subalgoE8EiNS0_10empty_typeEbEEZZNS1_14partition_implILS5_8ELb0ES3_jPKiPS6_PKS6_NS0_5tupleIJPiS6_EEENSE_IJSB_SB_EEENS0_18inequality_wrapperIN6hipcub16HIPCUB_304000_NS8EqualityEEEPlJS6_EEE10hipError_tPvRmT3_T4_T5_T6_T7_T9_mT8_P12ihipStream_tbDpT10_ENKUlT_T0_E_clISt17integral_constantIbLb1EES16_IbLb0EEEEDaS12_S13_EUlS12_E_NS1_11comp_targetILNS1_3genE9ELNS1_11target_archE1100ELNS1_3gpuE3ELNS1_3repE0EEENS1_30default_config_static_selectorELNS0_4arch9wavefront6targetE0EEEvT1_.num_named_barrier, 0
	.set _ZN7rocprim17ROCPRIM_400000_NS6detail17trampoline_kernelINS0_14default_configENS1_25partition_config_selectorILNS1_17partition_subalgoE8EiNS0_10empty_typeEbEEZZNS1_14partition_implILS5_8ELb0ES3_jPKiPS6_PKS6_NS0_5tupleIJPiS6_EEENSE_IJSB_SB_EEENS0_18inequality_wrapperIN6hipcub16HIPCUB_304000_NS8EqualityEEEPlJS6_EEE10hipError_tPvRmT3_T4_T5_T6_T7_T9_mT8_P12ihipStream_tbDpT10_ENKUlT_T0_E_clISt17integral_constantIbLb1EES16_IbLb0EEEEDaS12_S13_EUlS12_E_NS1_11comp_targetILNS1_3genE9ELNS1_11target_archE1100ELNS1_3gpuE3ELNS1_3repE0EEENS1_30default_config_static_selectorELNS0_4arch9wavefront6targetE0EEEvT1_.private_seg_size, 0
	.set _ZN7rocprim17ROCPRIM_400000_NS6detail17trampoline_kernelINS0_14default_configENS1_25partition_config_selectorILNS1_17partition_subalgoE8EiNS0_10empty_typeEbEEZZNS1_14partition_implILS5_8ELb0ES3_jPKiPS6_PKS6_NS0_5tupleIJPiS6_EEENSE_IJSB_SB_EEENS0_18inequality_wrapperIN6hipcub16HIPCUB_304000_NS8EqualityEEEPlJS6_EEE10hipError_tPvRmT3_T4_T5_T6_T7_T9_mT8_P12ihipStream_tbDpT10_ENKUlT_T0_E_clISt17integral_constantIbLb1EES16_IbLb0EEEEDaS12_S13_EUlS12_E_NS1_11comp_targetILNS1_3genE9ELNS1_11target_archE1100ELNS1_3gpuE3ELNS1_3repE0EEENS1_30default_config_static_selectorELNS0_4arch9wavefront6targetE0EEEvT1_.uses_vcc, 0
	.set _ZN7rocprim17ROCPRIM_400000_NS6detail17trampoline_kernelINS0_14default_configENS1_25partition_config_selectorILNS1_17partition_subalgoE8EiNS0_10empty_typeEbEEZZNS1_14partition_implILS5_8ELb0ES3_jPKiPS6_PKS6_NS0_5tupleIJPiS6_EEENSE_IJSB_SB_EEENS0_18inequality_wrapperIN6hipcub16HIPCUB_304000_NS8EqualityEEEPlJS6_EEE10hipError_tPvRmT3_T4_T5_T6_T7_T9_mT8_P12ihipStream_tbDpT10_ENKUlT_T0_E_clISt17integral_constantIbLb1EES16_IbLb0EEEEDaS12_S13_EUlS12_E_NS1_11comp_targetILNS1_3genE9ELNS1_11target_archE1100ELNS1_3gpuE3ELNS1_3repE0EEENS1_30default_config_static_selectorELNS0_4arch9wavefront6targetE0EEEvT1_.uses_flat_scratch, 0
	.set _ZN7rocprim17ROCPRIM_400000_NS6detail17trampoline_kernelINS0_14default_configENS1_25partition_config_selectorILNS1_17partition_subalgoE8EiNS0_10empty_typeEbEEZZNS1_14partition_implILS5_8ELb0ES3_jPKiPS6_PKS6_NS0_5tupleIJPiS6_EEENSE_IJSB_SB_EEENS0_18inequality_wrapperIN6hipcub16HIPCUB_304000_NS8EqualityEEEPlJS6_EEE10hipError_tPvRmT3_T4_T5_T6_T7_T9_mT8_P12ihipStream_tbDpT10_ENKUlT_T0_E_clISt17integral_constantIbLb1EES16_IbLb0EEEEDaS12_S13_EUlS12_E_NS1_11comp_targetILNS1_3genE9ELNS1_11target_archE1100ELNS1_3gpuE3ELNS1_3repE0EEENS1_30default_config_static_selectorELNS0_4arch9wavefront6targetE0EEEvT1_.has_dyn_sized_stack, 0
	.set _ZN7rocprim17ROCPRIM_400000_NS6detail17trampoline_kernelINS0_14default_configENS1_25partition_config_selectorILNS1_17partition_subalgoE8EiNS0_10empty_typeEbEEZZNS1_14partition_implILS5_8ELb0ES3_jPKiPS6_PKS6_NS0_5tupleIJPiS6_EEENSE_IJSB_SB_EEENS0_18inequality_wrapperIN6hipcub16HIPCUB_304000_NS8EqualityEEEPlJS6_EEE10hipError_tPvRmT3_T4_T5_T6_T7_T9_mT8_P12ihipStream_tbDpT10_ENKUlT_T0_E_clISt17integral_constantIbLb1EES16_IbLb0EEEEDaS12_S13_EUlS12_E_NS1_11comp_targetILNS1_3genE9ELNS1_11target_archE1100ELNS1_3gpuE3ELNS1_3repE0EEENS1_30default_config_static_selectorELNS0_4arch9wavefront6targetE0EEEvT1_.has_recursion, 0
	.set _ZN7rocprim17ROCPRIM_400000_NS6detail17trampoline_kernelINS0_14default_configENS1_25partition_config_selectorILNS1_17partition_subalgoE8EiNS0_10empty_typeEbEEZZNS1_14partition_implILS5_8ELb0ES3_jPKiPS6_PKS6_NS0_5tupleIJPiS6_EEENSE_IJSB_SB_EEENS0_18inequality_wrapperIN6hipcub16HIPCUB_304000_NS8EqualityEEEPlJS6_EEE10hipError_tPvRmT3_T4_T5_T6_T7_T9_mT8_P12ihipStream_tbDpT10_ENKUlT_T0_E_clISt17integral_constantIbLb1EES16_IbLb0EEEEDaS12_S13_EUlS12_E_NS1_11comp_targetILNS1_3genE9ELNS1_11target_archE1100ELNS1_3gpuE3ELNS1_3repE0EEENS1_30default_config_static_selectorELNS0_4arch9wavefront6targetE0EEEvT1_.has_indirect_call, 0
	.section	.AMDGPU.csdata,"",@progbits
; Kernel info:
; codeLenInByte = 0
; TotalNumSgprs: 0
; NumVgprs: 0
; ScratchSize: 0
; MemoryBound: 0
; FloatMode: 240
; IeeeMode: 1
; LDSByteSize: 0 bytes/workgroup (compile time only)
; SGPRBlocks: 0
; VGPRBlocks: 0
; NumSGPRsForWavesPerEU: 1
; NumVGPRsForWavesPerEU: 1
; NamedBarCnt: 0
; Occupancy: 16
; WaveLimiterHint : 0
; COMPUTE_PGM_RSRC2:SCRATCH_EN: 0
; COMPUTE_PGM_RSRC2:USER_SGPR: 2
; COMPUTE_PGM_RSRC2:TRAP_HANDLER: 0
; COMPUTE_PGM_RSRC2:TGID_X_EN: 1
; COMPUTE_PGM_RSRC2:TGID_Y_EN: 0
; COMPUTE_PGM_RSRC2:TGID_Z_EN: 0
; COMPUTE_PGM_RSRC2:TIDIG_COMP_CNT: 0
	.section	.text._ZN7rocprim17ROCPRIM_400000_NS6detail17trampoline_kernelINS0_14default_configENS1_25partition_config_selectorILNS1_17partition_subalgoE8EiNS0_10empty_typeEbEEZZNS1_14partition_implILS5_8ELb0ES3_jPKiPS6_PKS6_NS0_5tupleIJPiS6_EEENSE_IJSB_SB_EEENS0_18inequality_wrapperIN6hipcub16HIPCUB_304000_NS8EqualityEEEPlJS6_EEE10hipError_tPvRmT3_T4_T5_T6_T7_T9_mT8_P12ihipStream_tbDpT10_ENKUlT_T0_E_clISt17integral_constantIbLb1EES16_IbLb0EEEEDaS12_S13_EUlS12_E_NS1_11comp_targetILNS1_3genE8ELNS1_11target_archE1030ELNS1_3gpuE2ELNS1_3repE0EEENS1_30default_config_static_selectorELNS0_4arch9wavefront6targetE0EEEvT1_,"axG",@progbits,_ZN7rocprim17ROCPRIM_400000_NS6detail17trampoline_kernelINS0_14default_configENS1_25partition_config_selectorILNS1_17partition_subalgoE8EiNS0_10empty_typeEbEEZZNS1_14partition_implILS5_8ELb0ES3_jPKiPS6_PKS6_NS0_5tupleIJPiS6_EEENSE_IJSB_SB_EEENS0_18inequality_wrapperIN6hipcub16HIPCUB_304000_NS8EqualityEEEPlJS6_EEE10hipError_tPvRmT3_T4_T5_T6_T7_T9_mT8_P12ihipStream_tbDpT10_ENKUlT_T0_E_clISt17integral_constantIbLb1EES16_IbLb0EEEEDaS12_S13_EUlS12_E_NS1_11comp_targetILNS1_3genE8ELNS1_11target_archE1030ELNS1_3gpuE2ELNS1_3repE0EEENS1_30default_config_static_selectorELNS0_4arch9wavefront6targetE0EEEvT1_,comdat
	.protected	_ZN7rocprim17ROCPRIM_400000_NS6detail17trampoline_kernelINS0_14default_configENS1_25partition_config_selectorILNS1_17partition_subalgoE8EiNS0_10empty_typeEbEEZZNS1_14partition_implILS5_8ELb0ES3_jPKiPS6_PKS6_NS0_5tupleIJPiS6_EEENSE_IJSB_SB_EEENS0_18inequality_wrapperIN6hipcub16HIPCUB_304000_NS8EqualityEEEPlJS6_EEE10hipError_tPvRmT3_T4_T5_T6_T7_T9_mT8_P12ihipStream_tbDpT10_ENKUlT_T0_E_clISt17integral_constantIbLb1EES16_IbLb0EEEEDaS12_S13_EUlS12_E_NS1_11comp_targetILNS1_3genE8ELNS1_11target_archE1030ELNS1_3gpuE2ELNS1_3repE0EEENS1_30default_config_static_selectorELNS0_4arch9wavefront6targetE0EEEvT1_ ; -- Begin function _ZN7rocprim17ROCPRIM_400000_NS6detail17trampoline_kernelINS0_14default_configENS1_25partition_config_selectorILNS1_17partition_subalgoE8EiNS0_10empty_typeEbEEZZNS1_14partition_implILS5_8ELb0ES3_jPKiPS6_PKS6_NS0_5tupleIJPiS6_EEENSE_IJSB_SB_EEENS0_18inequality_wrapperIN6hipcub16HIPCUB_304000_NS8EqualityEEEPlJS6_EEE10hipError_tPvRmT3_T4_T5_T6_T7_T9_mT8_P12ihipStream_tbDpT10_ENKUlT_T0_E_clISt17integral_constantIbLb1EES16_IbLb0EEEEDaS12_S13_EUlS12_E_NS1_11comp_targetILNS1_3genE8ELNS1_11target_archE1030ELNS1_3gpuE2ELNS1_3repE0EEENS1_30default_config_static_selectorELNS0_4arch9wavefront6targetE0EEEvT1_
	.globl	_ZN7rocprim17ROCPRIM_400000_NS6detail17trampoline_kernelINS0_14default_configENS1_25partition_config_selectorILNS1_17partition_subalgoE8EiNS0_10empty_typeEbEEZZNS1_14partition_implILS5_8ELb0ES3_jPKiPS6_PKS6_NS0_5tupleIJPiS6_EEENSE_IJSB_SB_EEENS0_18inequality_wrapperIN6hipcub16HIPCUB_304000_NS8EqualityEEEPlJS6_EEE10hipError_tPvRmT3_T4_T5_T6_T7_T9_mT8_P12ihipStream_tbDpT10_ENKUlT_T0_E_clISt17integral_constantIbLb1EES16_IbLb0EEEEDaS12_S13_EUlS12_E_NS1_11comp_targetILNS1_3genE8ELNS1_11target_archE1030ELNS1_3gpuE2ELNS1_3repE0EEENS1_30default_config_static_selectorELNS0_4arch9wavefront6targetE0EEEvT1_
	.p2align	8
	.type	_ZN7rocprim17ROCPRIM_400000_NS6detail17trampoline_kernelINS0_14default_configENS1_25partition_config_selectorILNS1_17partition_subalgoE8EiNS0_10empty_typeEbEEZZNS1_14partition_implILS5_8ELb0ES3_jPKiPS6_PKS6_NS0_5tupleIJPiS6_EEENSE_IJSB_SB_EEENS0_18inequality_wrapperIN6hipcub16HIPCUB_304000_NS8EqualityEEEPlJS6_EEE10hipError_tPvRmT3_T4_T5_T6_T7_T9_mT8_P12ihipStream_tbDpT10_ENKUlT_T0_E_clISt17integral_constantIbLb1EES16_IbLb0EEEEDaS12_S13_EUlS12_E_NS1_11comp_targetILNS1_3genE8ELNS1_11target_archE1030ELNS1_3gpuE2ELNS1_3repE0EEENS1_30default_config_static_selectorELNS0_4arch9wavefront6targetE0EEEvT1_,@function
_ZN7rocprim17ROCPRIM_400000_NS6detail17trampoline_kernelINS0_14default_configENS1_25partition_config_selectorILNS1_17partition_subalgoE8EiNS0_10empty_typeEbEEZZNS1_14partition_implILS5_8ELb0ES3_jPKiPS6_PKS6_NS0_5tupleIJPiS6_EEENSE_IJSB_SB_EEENS0_18inequality_wrapperIN6hipcub16HIPCUB_304000_NS8EqualityEEEPlJS6_EEE10hipError_tPvRmT3_T4_T5_T6_T7_T9_mT8_P12ihipStream_tbDpT10_ENKUlT_T0_E_clISt17integral_constantIbLb1EES16_IbLb0EEEEDaS12_S13_EUlS12_E_NS1_11comp_targetILNS1_3genE8ELNS1_11target_archE1030ELNS1_3gpuE2ELNS1_3repE0EEENS1_30default_config_static_selectorELNS0_4arch9wavefront6targetE0EEEvT1_: ; @_ZN7rocprim17ROCPRIM_400000_NS6detail17trampoline_kernelINS0_14default_configENS1_25partition_config_selectorILNS1_17partition_subalgoE8EiNS0_10empty_typeEbEEZZNS1_14partition_implILS5_8ELb0ES3_jPKiPS6_PKS6_NS0_5tupleIJPiS6_EEENSE_IJSB_SB_EEENS0_18inequality_wrapperIN6hipcub16HIPCUB_304000_NS8EqualityEEEPlJS6_EEE10hipError_tPvRmT3_T4_T5_T6_T7_T9_mT8_P12ihipStream_tbDpT10_ENKUlT_T0_E_clISt17integral_constantIbLb1EES16_IbLb0EEEEDaS12_S13_EUlS12_E_NS1_11comp_targetILNS1_3genE8ELNS1_11target_archE1030ELNS1_3gpuE2ELNS1_3repE0EEENS1_30default_config_static_selectorELNS0_4arch9wavefront6targetE0EEEvT1_
; %bb.0:
	.section	.rodata,"a",@progbits
	.p2align	6, 0x0
	.amdhsa_kernel _ZN7rocprim17ROCPRIM_400000_NS6detail17trampoline_kernelINS0_14default_configENS1_25partition_config_selectorILNS1_17partition_subalgoE8EiNS0_10empty_typeEbEEZZNS1_14partition_implILS5_8ELb0ES3_jPKiPS6_PKS6_NS0_5tupleIJPiS6_EEENSE_IJSB_SB_EEENS0_18inequality_wrapperIN6hipcub16HIPCUB_304000_NS8EqualityEEEPlJS6_EEE10hipError_tPvRmT3_T4_T5_T6_T7_T9_mT8_P12ihipStream_tbDpT10_ENKUlT_T0_E_clISt17integral_constantIbLb1EES16_IbLb0EEEEDaS12_S13_EUlS12_E_NS1_11comp_targetILNS1_3genE8ELNS1_11target_archE1030ELNS1_3gpuE2ELNS1_3repE0EEENS1_30default_config_static_selectorELNS0_4arch9wavefront6targetE0EEEvT1_
		.amdhsa_group_segment_fixed_size 0
		.amdhsa_private_segment_fixed_size 0
		.amdhsa_kernarg_size 112
		.amdhsa_user_sgpr_count 2
		.amdhsa_user_sgpr_dispatch_ptr 0
		.amdhsa_user_sgpr_queue_ptr 0
		.amdhsa_user_sgpr_kernarg_segment_ptr 1
		.amdhsa_user_sgpr_dispatch_id 0
		.amdhsa_user_sgpr_kernarg_preload_length 0
		.amdhsa_user_sgpr_kernarg_preload_offset 0
		.amdhsa_user_sgpr_private_segment_size 0
		.amdhsa_wavefront_size32 1
		.amdhsa_uses_dynamic_stack 0
		.amdhsa_enable_private_segment 0
		.amdhsa_system_sgpr_workgroup_id_x 1
		.amdhsa_system_sgpr_workgroup_id_y 0
		.amdhsa_system_sgpr_workgroup_id_z 0
		.amdhsa_system_sgpr_workgroup_info 0
		.amdhsa_system_vgpr_workitem_id 0
		.amdhsa_next_free_vgpr 1
		.amdhsa_next_free_sgpr 1
		.amdhsa_named_barrier_count 0
		.amdhsa_reserve_vcc 0
		.amdhsa_float_round_mode_32 0
		.amdhsa_float_round_mode_16_64 0
		.amdhsa_float_denorm_mode_32 3
		.amdhsa_float_denorm_mode_16_64 3
		.amdhsa_fp16_overflow 0
		.amdhsa_memory_ordered 1
		.amdhsa_forward_progress 1
		.amdhsa_inst_pref_size 0
		.amdhsa_round_robin_scheduling 0
		.amdhsa_exception_fp_ieee_invalid_op 0
		.amdhsa_exception_fp_denorm_src 0
		.amdhsa_exception_fp_ieee_div_zero 0
		.amdhsa_exception_fp_ieee_overflow 0
		.amdhsa_exception_fp_ieee_underflow 0
		.amdhsa_exception_fp_ieee_inexact 0
		.amdhsa_exception_int_div_zero 0
	.end_amdhsa_kernel
	.section	.text._ZN7rocprim17ROCPRIM_400000_NS6detail17trampoline_kernelINS0_14default_configENS1_25partition_config_selectorILNS1_17partition_subalgoE8EiNS0_10empty_typeEbEEZZNS1_14partition_implILS5_8ELb0ES3_jPKiPS6_PKS6_NS0_5tupleIJPiS6_EEENSE_IJSB_SB_EEENS0_18inequality_wrapperIN6hipcub16HIPCUB_304000_NS8EqualityEEEPlJS6_EEE10hipError_tPvRmT3_T4_T5_T6_T7_T9_mT8_P12ihipStream_tbDpT10_ENKUlT_T0_E_clISt17integral_constantIbLb1EES16_IbLb0EEEEDaS12_S13_EUlS12_E_NS1_11comp_targetILNS1_3genE8ELNS1_11target_archE1030ELNS1_3gpuE2ELNS1_3repE0EEENS1_30default_config_static_selectorELNS0_4arch9wavefront6targetE0EEEvT1_,"axG",@progbits,_ZN7rocprim17ROCPRIM_400000_NS6detail17trampoline_kernelINS0_14default_configENS1_25partition_config_selectorILNS1_17partition_subalgoE8EiNS0_10empty_typeEbEEZZNS1_14partition_implILS5_8ELb0ES3_jPKiPS6_PKS6_NS0_5tupleIJPiS6_EEENSE_IJSB_SB_EEENS0_18inequality_wrapperIN6hipcub16HIPCUB_304000_NS8EqualityEEEPlJS6_EEE10hipError_tPvRmT3_T4_T5_T6_T7_T9_mT8_P12ihipStream_tbDpT10_ENKUlT_T0_E_clISt17integral_constantIbLb1EES16_IbLb0EEEEDaS12_S13_EUlS12_E_NS1_11comp_targetILNS1_3genE8ELNS1_11target_archE1030ELNS1_3gpuE2ELNS1_3repE0EEENS1_30default_config_static_selectorELNS0_4arch9wavefront6targetE0EEEvT1_,comdat
.Lfunc_end211:
	.size	_ZN7rocprim17ROCPRIM_400000_NS6detail17trampoline_kernelINS0_14default_configENS1_25partition_config_selectorILNS1_17partition_subalgoE8EiNS0_10empty_typeEbEEZZNS1_14partition_implILS5_8ELb0ES3_jPKiPS6_PKS6_NS0_5tupleIJPiS6_EEENSE_IJSB_SB_EEENS0_18inequality_wrapperIN6hipcub16HIPCUB_304000_NS8EqualityEEEPlJS6_EEE10hipError_tPvRmT3_T4_T5_T6_T7_T9_mT8_P12ihipStream_tbDpT10_ENKUlT_T0_E_clISt17integral_constantIbLb1EES16_IbLb0EEEEDaS12_S13_EUlS12_E_NS1_11comp_targetILNS1_3genE8ELNS1_11target_archE1030ELNS1_3gpuE2ELNS1_3repE0EEENS1_30default_config_static_selectorELNS0_4arch9wavefront6targetE0EEEvT1_, .Lfunc_end211-_ZN7rocprim17ROCPRIM_400000_NS6detail17trampoline_kernelINS0_14default_configENS1_25partition_config_selectorILNS1_17partition_subalgoE8EiNS0_10empty_typeEbEEZZNS1_14partition_implILS5_8ELb0ES3_jPKiPS6_PKS6_NS0_5tupleIJPiS6_EEENSE_IJSB_SB_EEENS0_18inequality_wrapperIN6hipcub16HIPCUB_304000_NS8EqualityEEEPlJS6_EEE10hipError_tPvRmT3_T4_T5_T6_T7_T9_mT8_P12ihipStream_tbDpT10_ENKUlT_T0_E_clISt17integral_constantIbLb1EES16_IbLb0EEEEDaS12_S13_EUlS12_E_NS1_11comp_targetILNS1_3genE8ELNS1_11target_archE1030ELNS1_3gpuE2ELNS1_3repE0EEENS1_30default_config_static_selectorELNS0_4arch9wavefront6targetE0EEEvT1_
                                        ; -- End function
	.set _ZN7rocprim17ROCPRIM_400000_NS6detail17trampoline_kernelINS0_14default_configENS1_25partition_config_selectorILNS1_17partition_subalgoE8EiNS0_10empty_typeEbEEZZNS1_14partition_implILS5_8ELb0ES3_jPKiPS6_PKS6_NS0_5tupleIJPiS6_EEENSE_IJSB_SB_EEENS0_18inequality_wrapperIN6hipcub16HIPCUB_304000_NS8EqualityEEEPlJS6_EEE10hipError_tPvRmT3_T4_T5_T6_T7_T9_mT8_P12ihipStream_tbDpT10_ENKUlT_T0_E_clISt17integral_constantIbLb1EES16_IbLb0EEEEDaS12_S13_EUlS12_E_NS1_11comp_targetILNS1_3genE8ELNS1_11target_archE1030ELNS1_3gpuE2ELNS1_3repE0EEENS1_30default_config_static_selectorELNS0_4arch9wavefront6targetE0EEEvT1_.num_vgpr, 0
	.set _ZN7rocprim17ROCPRIM_400000_NS6detail17trampoline_kernelINS0_14default_configENS1_25partition_config_selectorILNS1_17partition_subalgoE8EiNS0_10empty_typeEbEEZZNS1_14partition_implILS5_8ELb0ES3_jPKiPS6_PKS6_NS0_5tupleIJPiS6_EEENSE_IJSB_SB_EEENS0_18inequality_wrapperIN6hipcub16HIPCUB_304000_NS8EqualityEEEPlJS6_EEE10hipError_tPvRmT3_T4_T5_T6_T7_T9_mT8_P12ihipStream_tbDpT10_ENKUlT_T0_E_clISt17integral_constantIbLb1EES16_IbLb0EEEEDaS12_S13_EUlS12_E_NS1_11comp_targetILNS1_3genE8ELNS1_11target_archE1030ELNS1_3gpuE2ELNS1_3repE0EEENS1_30default_config_static_selectorELNS0_4arch9wavefront6targetE0EEEvT1_.num_agpr, 0
	.set _ZN7rocprim17ROCPRIM_400000_NS6detail17trampoline_kernelINS0_14default_configENS1_25partition_config_selectorILNS1_17partition_subalgoE8EiNS0_10empty_typeEbEEZZNS1_14partition_implILS5_8ELb0ES3_jPKiPS6_PKS6_NS0_5tupleIJPiS6_EEENSE_IJSB_SB_EEENS0_18inequality_wrapperIN6hipcub16HIPCUB_304000_NS8EqualityEEEPlJS6_EEE10hipError_tPvRmT3_T4_T5_T6_T7_T9_mT8_P12ihipStream_tbDpT10_ENKUlT_T0_E_clISt17integral_constantIbLb1EES16_IbLb0EEEEDaS12_S13_EUlS12_E_NS1_11comp_targetILNS1_3genE8ELNS1_11target_archE1030ELNS1_3gpuE2ELNS1_3repE0EEENS1_30default_config_static_selectorELNS0_4arch9wavefront6targetE0EEEvT1_.numbered_sgpr, 0
	.set _ZN7rocprim17ROCPRIM_400000_NS6detail17trampoline_kernelINS0_14default_configENS1_25partition_config_selectorILNS1_17partition_subalgoE8EiNS0_10empty_typeEbEEZZNS1_14partition_implILS5_8ELb0ES3_jPKiPS6_PKS6_NS0_5tupleIJPiS6_EEENSE_IJSB_SB_EEENS0_18inequality_wrapperIN6hipcub16HIPCUB_304000_NS8EqualityEEEPlJS6_EEE10hipError_tPvRmT3_T4_T5_T6_T7_T9_mT8_P12ihipStream_tbDpT10_ENKUlT_T0_E_clISt17integral_constantIbLb1EES16_IbLb0EEEEDaS12_S13_EUlS12_E_NS1_11comp_targetILNS1_3genE8ELNS1_11target_archE1030ELNS1_3gpuE2ELNS1_3repE0EEENS1_30default_config_static_selectorELNS0_4arch9wavefront6targetE0EEEvT1_.num_named_barrier, 0
	.set _ZN7rocprim17ROCPRIM_400000_NS6detail17trampoline_kernelINS0_14default_configENS1_25partition_config_selectorILNS1_17partition_subalgoE8EiNS0_10empty_typeEbEEZZNS1_14partition_implILS5_8ELb0ES3_jPKiPS6_PKS6_NS0_5tupleIJPiS6_EEENSE_IJSB_SB_EEENS0_18inequality_wrapperIN6hipcub16HIPCUB_304000_NS8EqualityEEEPlJS6_EEE10hipError_tPvRmT3_T4_T5_T6_T7_T9_mT8_P12ihipStream_tbDpT10_ENKUlT_T0_E_clISt17integral_constantIbLb1EES16_IbLb0EEEEDaS12_S13_EUlS12_E_NS1_11comp_targetILNS1_3genE8ELNS1_11target_archE1030ELNS1_3gpuE2ELNS1_3repE0EEENS1_30default_config_static_selectorELNS0_4arch9wavefront6targetE0EEEvT1_.private_seg_size, 0
	.set _ZN7rocprim17ROCPRIM_400000_NS6detail17trampoline_kernelINS0_14default_configENS1_25partition_config_selectorILNS1_17partition_subalgoE8EiNS0_10empty_typeEbEEZZNS1_14partition_implILS5_8ELb0ES3_jPKiPS6_PKS6_NS0_5tupleIJPiS6_EEENSE_IJSB_SB_EEENS0_18inequality_wrapperIN6hipcub16HIPCUB_304000_NS8EqualityEEEPlJS6_EEE10hipError_tPvRmT3_T4_T5_T6_T7_T9_mT8_P12ihipStream_tbDpT10_ENKUlT_T0_E_clISt17integral_constantIbLb1EES16_IbLb0EEEEDaS12_S13_EUlS12_E_NS1_11comp_targetILNS1_3genE8ELNS1_11target_archE1030ELNS1_3gpuE2ELNS1_3repE0EEENS1_30default_config_static_selectorELNS0_4arch9wavefront6targetE0EEEvT1_.uses_vcc, 0
	.set _ZN7rocprim17ROCPRIM_400000_NS6detail17trampoline_kernelINS0_14default_configENS1_25partition_config_selectorILNS1_17partition_subalgoE8EiNS0_10empty_typeEbEEZZNS1_14partition_implILS5_8ELb0ES3_jPKiPS6_PKS6_NS0_5tupleIJPiS6_EEENSE_IJSB_SB_EEENS0_18inequality_wrapperIN6hipcub16HIPCUB_304000_NS8EqualityEEEPlJS6_EEE10hipError_tPvRmT3_T4_T5_T6_T7_T9_mT8_P12ihipStream_tbDpT10_ENKUlT_T0_E_clISt17integral_constantIbLb1EES16_IbLb0EEEEDaS12_S13_EUlS12_E_NS1_11comp_targetILNS1_3genE8ELNS1_11target_archE1030ELNS1_3gpuE2ELNS1_3repE0EEENS1_30default_config_static_selectorELNS0_4arch9wavefront6targetE0EEEvT1_.uses_flat_scratch, 0
	.set _ZN7rocprim17ROCPRIM_400000_NS6detail17trampoline_kernelINS0_14default_configENS1_25partition_config_selectorILNS1_17partition_subalgoE8EiNS0_10empty_typeEbEEZZNS1_14partition_implILS5_8ELb0ES3_jPKiPS6_PKS6_NS0_5tupleIJPiS6_EEENSE_IJSB_SB_EEENS0_18inequality_wrapperIN6hipcub16HIPCUB_304000_NS8EqualityEEEPlJS6_EEE10hipError_tPvRmT3_T4_T5_T6_T7_T9_mT8_P12ihipStream_tbDpT10_ENKUlT_T0_E_clISt17integral_constantIbLb1EES16_IbLb0EEEEDaS12_S13_EUlS12_E_NS1_11comp_targetILNS1_3genE8ELNS1_11target_archE1030ELNS1_3gpuE2ELNS1_3repE0EEENS1_30default_config_static_selectorELNS0_4arch9wavefront6targetE0EEEvT1_.has_dyn_sized_stack, 0
	.set _ZN7rocprim17ROCPRIM_400000_NS6detail17trampoline_kernelINS0_14default_configENS1_25partition_config_selectorILNS1_17partition_subalgoE8EiNS0_10empty_typeEbEEZZNS1_14partition_implILS5_8ELb0ES3_jPKiPS6_PKS6_NS0_5tupleIJPiS6_EEENSE_IJSB_SB_EEENS0_18inequality_wrapperIN6hipcub16HIPCUB_304000_NS8EqualityEEEPlJS6_EEE10hipError_tPvRmT3_T4_T5_T6_T7_T9_mT8_P12ihipStream_tbDpT10_ENKUlT_T0_E_clISt17integral_constantIbLb1EES16_IbLb0EEEEDaS12_S13_EUlS12_E_NS1_11comp_targetILNS1_3genE8ELNS1_11target_archE1030ELNS1_3gpuE2ELNS1_3repE0EEENS1_30default_config_static_selectorELNS0_4arch9wavefront6targetE0EEEvT1_.has_recursion, 0
	.set _ZN7rocprim17ROCPRIM_400000_NS6detail17trampoline_kernelINS0_14default_configENS1_25partition_config_selectorILNS1_17partition_subalgoE8EiNS0_10empty_typeEbEEZZNS1_14partition_implILS5_8ELb0ES3_jPKiPS6_PKS6_NS0_5tupleIJPiS6_EEENSE_IJSB_SB_EEENS0_18inequality_wrapperIN6hipcub16HIPCUB_304000_NS8EqualityEEEPlJS6_EEE10hipError_tPvRmT3_T4_T5_T6_T7_T9_mT8_P12ihipStream_tbDpT10_ENKUlT_T0_E_clISt17integral_constantIbLb1EES16_IbLb0EEEEDaS12_S13_EUlS12_E_NS1_11comp_targetILNS1_3genE8ELNS1_11target_archE1030ELNS1_3gpuE2ELNS1_3repE0EEENS1_30default_config_static_selectorELNS0_4arch9wavefront6targetE0EEEvT1_.has_indirect_call, 0
	.section	.AMDGPU.csdata,"",@progbits
; Kernel info:
; codeLenInByte = 0
; TotalNumSgprs: 0
; NumVgprs: 0
; ScratchSize: 0
; MemoryBound: 0
; FloatMode: 240
; IeeeMode: 1
; LDSByteSize: 0 bytes/workgroup (compile time only)
; SGPRBlocks: 0
; VGPRBlocks: 0
; NumSGPRsForWavesPerEU: 1
; NumVGPRsForWavesPerEU: 1
; NamedBarCnt: 0
; Occupancy: 16
; WaveLimiterHint : 0
; COMPUTE_PGM_RSRC2:SCRATCH_EN: 0
; COMPUTE_PGM_RSRC2:USER_SGPR: 2
; COMPUTE_PGM_RSRC2:TRAP_HANDLER: 0
; COMPUTE_PGM_RSRC2:TGID_X_EN: 1
; COMPUTE_PGM_RSRC2:TGID_Y_EN: 0
; COMPUTE_PGM_RSRC2:TGID_Z_EN: 0
; COMPUTE_PGM_RSRC2:TIDIG_COMP_CNT: 0
	.section	.text._ZN7rocprim17ROCPRIM_400000_NS6detail31init_lookback_scan_state_kernelINS1_19lookback_scan_stateIjLb0ELb1EEENS1_16block_id_wrapperIjLb1EEEEEvT_jT0_jPNS7_10value_typeE,"axG",@progbits,_ZN7rocprim17ROCPRIM_400000_NS6detail31init_lookback_scan_state_kernelINS1_19lookback_scan_stateIjLb0ELb1EEENS1_16block_id_wrapperIjLb1EEEEEvT_jT0_jPNS7_10value_typeE,comdat
	.protected	_ZN7rocprim17ROCPRIM_400000_NS6detail31init_lookback_scan_state_kernelINS1_19lookback_scan_stateIjLb0ELb1EEENS1_16block_id_wrapperIjLb1EEEEEvT_jT0_jPNS7_10value_typeE ; -- Begin function _ZN7rocprim17ROCPRIM_400000_NS6detail31init_lookback_scan_state_kernelINS1_19lookback_scan_stateIjLb0ELb1EEENS1_16block_id_wrapperIjLb1EEEEEvT_jT0_jPNS7_10value_typeE
	.globl	_ZN7rocprim17ROCPRIM_400000_NS6detail31init_lookback_scan_state_kernelINS1_19lookback_scan_stateIjLb0ELb1EEENS1_16block_id_wrapperIjLb1EEEEEvT_jT0_jPNS7_10value_typeE
	.p2align	8
	.type	_ZN7rocprim17ROCPRIM_400000_NS6detail31init_lookback_scan_state_kernelINS1_19lookback_scan_stateIjLb0ELb1EEENS1_16block_id_wrapperIjLb1EEEEEvT_jT0_jPNS7_10value_typeE,@function
_ZN7rocprim17ROCPRIM_400000_NS6detail31init_lookback_scan_state_kernelINS1_19lookback_scan_stateIjLb0ELb1EEENS1_16block_id_wrapperIjLb1EEEEEvT_jT0_jPNS7_10value_typeE: ; @_ZN7rocprim17ROCPRIM_400000_NS6detail31init_lookback_scan_state_kernelINS1_19lookback_scan_stateIjLb0ELb1EEENS1_16block_id_wrapperIjLb1EEEEEvT_jT0_jPNS7_10value_typeE
; %bb.0:
	s_clause 0x2
	s_load_b32 s7, s[0:1], 0x34
	s_load_b96 s[4:6], s[0:1], 0x0
	s_load_b64 s[2:3], s[0:1], 0x20
	s_bfe_u32 s8, ttmp6, 0x4000c
	s_and_b32 s9, ttmp6, 15
	s_add_co_i32 s8, s8, 1
	s_getreg_b32 s10, hwreg(HW_REG_IB_STS2, 6, 4)
	s_mul_i32 s8, ttmp9, s8
	s_delay_alu instid0(SALU_CYCLE_1)
	s_add_co_i32 s9, s9, s8
	s_wait_kmcnt 0x0
	s_and_b32 s7, s7, 0xffff
	s_cmp_eq_u32 s10, 0
	s_cselect_b32 s8, ttmp9, s9
	s_cmp_eq_u64 s[2:3], 0
	v_mad_u32 v4, s8, s7, v0
	s_cbranch_scc1 .LBB212_7
; %bb.1:
	s_load_b32 s8, s[0:1], 0x18
	s_wait_kmcnt 0x0
	s_cmp_lt_u32 s8, s6
	s_cselect_b32 s7, s8, 0
	s_delay_alu instid0(VALU_DEP_1) | instid1(SALU_CYCLE_1)
	v_cmp_eq_u32_e32 vcc_lo, s7, v4
	s_and_saveexec_b32 s7, vcc_lo
	s_cbranch_execz .LBB212_6
; %bb.2:
	s_add_co_i32 s8, s8, 32
	s_delay_alu instid0(SALU_CYCLE_1) | instskip(SKIP_3) | instid1(VALU_DEP_1)
	v_dual_mov_b32 v2, 0 :: v_dual_mov_b32 v0, s8
	global_load_b64 v[0:1], v0, s[4:5] scale_offset scope:SCOPE_DEV
	s_wait_loadcnt 0x0
	v_and_b32_e32 v3, 0xff, v1
	v_cmp_ne_u64_e32 vcc_lo, 0, v[2:3]
	s_cbranch_vccnz .LBB212_5
; %bb.3:
	s_mov_b32 s9, 0
	s_delay_alu instid0(SALU_CYCLE_1) | instskip(NEXT) | instid1(SALU_CYCLE_1)
	s_lshl_b64 s[8:9], s[8:9], 3
	s_add_nc_u64 s[8:9], s[4:5], s[8:9]
.LBB212_4:                              ; =>This Inner Loop Header: Depth=1
	global_load_b64 v[0:1], v2, s[8:9] scope:SCOPE_DEV
	s_wait_loadcnt 0x0
	v_and_b32_e32 v3, 0xff, v1
	s_delay_alu instid0(VALU_DEP_1)
	v_cmp_eq_u64_e32 vcc_lo, 0, v[2:3]
	s_cbranch_vccnz .LBB212_4
.LBB212_5:
	v_mov_b32_e32 v1, 0
	global_store_b32 v1, v0, s[2:3]
.LBB212_6:
	s_wait_xcnt 0x0
	s_or_b32 exec_lo, exec_lo, s7
.LBB212_7:
	s_delay_alu instid0(SALU_CYCLE_1) | instskip(NEXT) | instid1(VALU_DEP_1)
	s_mov_b32 s2, exec_lo
	v_cmpx_eq_u32_e32 0, v4
	s_cbranch_execz .LBB212_9
; %bb.8:
	s_load_b64 s[0:1], s[0:1], 0x10
	v_mov_b32_e32 v0, 0
	s_wait_kmcnt 0x0
	global_store_b32 v0, v0, s[0:1]
.LBB212_9:
	s_wait_xcnt 0x0
	s_or_b32 exec_lo, exec_lo, s2
	s_delay_alu instid0(SALU_CYCLE_1)
	s_mov_b32 s0, exec_lo
	v_cmpx_gt_u32_e64 s6, v4
	s_cbranch_execz .LBB212_11
; %bb.10:
	v_mov_b64_e32 v[0:1], 0
	v_add_nc_u32_e32 v2, 32, v4
	global_store_b64 v2, v[0:1], s[4:5] scale_offset
.LBB212_11:
	s_wait_xcnt 0x0
	s_or_b32 exec_lo, exec_lo, s0
	s_delay_alu instid0(SALU_CYCLE_1)
	s_mov_b32 s0, exec_lo
	v_cmpx_gt_u32_e32 32, v4
	s_cbranch_execz .LBB212_13
; %bb.12:
	v_mov_b64_e32 v[0:1], 0xff00000000
	global_store_b64 v4, v[0:1], s[4:5] scale_offset
.LBB212_13:
	s_endpgm
	.section	.rodata,"a",@progbits
	.p2align	6, 0x0
	.amdhsa_kernel _ZN7rocprim17ROCPRIM_400000_NS6detail31init_lookback_scan_state_kernelINS1_19lookback_scan_stateIjLb0ELb1EEENS1_16block_id_wrapperIjLb1EEEEEvT_jT0_jPNS7_10value_typeE
		.amdhsa_group_segment_fixed_size 0
		.amdhsa_private_segment_fixed_size 0
		.amdhsa_kernarg_size 296
		.amdhsa_user_sgpr_count 2
		.amdhsa_user_sgpr_dispatch_ptr 0
		.amdhsa_user_sgpr_queue_ptr 0
		.amdhsa_user_sgpr_kernarg_segment_ptr 1
		.amdhsa_user_sgpr_dispatch_id 0
		.amdhsa_user_sgpr_kernarg_preload_length 0
		.amdhsa_user_sgpr_kernarg_preload_offset 0
		.amdhsa_user_sgpr_private_segment_size 0
		.amdhsa_wavefront_size32 1
		.amdhsa_uses_dynamic_stack 0
		.amdhsa_enable_private_segment 0
		.amdhsa_system_sgpr_workgroup_id_x 1
		.amdhsa_system_sgpr_workgroup_id_y 0
		.amdhsa_system_sgpr_workgroup_id_z 0
		.amdhsa_system_sgpr_workgroup_info 0
		.amdhsa_system_vgpr_workitem_id 0
		.amdhsa_next_free_vgpr 5
		.amdhsa_next_free_sgpr 11
		.amdhsa_named_barrier_count 0
		.amdhsa_reserve_vcc 1
		.amdhsa_float_round_mode_32 0
		.amdhsa_float_round_mode_16_64 0
		.amdhsa_float_denorm_mode_32 3
		.amdhsa_float_denorm_mode_16_64 3
		.amdhsa_fp16_overflow 0
		.amdhsa_memory_ordered 1
		.amdhsa_forward_progress 1
		.amdhsa_inst_pref_size 4
		.amdhsa_round_robin_scheduling 0
		.amdhsa_exception_fp_ieee_invalid_op 0
		.amdhsa_exception_fp_denorm_src 0
		.amdhsa_exception_fp_ieee_div_zero 0
		.amdhsa_exception_fp_ieee_overflow 0
		.amdhsa_exception_fp_ieee_underflow 0
		.amdhsa_exception_fp_ieee_inexact 0
		.amdhsa_exception_int_div_zero 0
	.end_amdhsa_kernel
	.section	.text._ZN7rocprim17ROCPRIM_400000_NS6detail31init_lookback_scan_state_kernelINS1_19lookback_scan_stateIjLb0ELb1EEENS1_16block_id_wrapperIjLb1EEEEEvT_jT0_jPNS7_10value_typeE,"axG",@progbits,_ZN7rocprim17ROCPRIM_400000_NS6detail31init_lookback_scan_state_kernelINS1_19lookback_scan_stateIjLb0ELb1EEENS1_16block_id_wrapperIjLb1EEEEEvT_jT0_jPNS7_10value_typeE,comdat
.Lfunc_end212:
	.size	_ZN7rocprim17ROCPRIM_400000_NS6detail31init_lookback_scan_state_kernelINS1_19lookback_scan_stateIjLb0ELb1EEENS1_16block_id_wrapperIjLb1EEEEEvT_jT0_jPNS7_10value_typeE, .Lfunc_end212-_ZN7rocprim17ROCPRIM_400000_NS6detail31init_lookback_scan_state_kernelINS1_19lookback_scan_stateIjLb0ELb1EEENS1_16block_id_wrapperIjLb1EEEEEvT_jT0_jPNS7_10value_typeE
                                        ; -- End function
	.set _ZN7rocprim17ROCPRIM_400000_NS6detail31init_lookback_scan_state_kernelINS1_19lookback_scan_stateIjLb0ELb1EEENS1_16block_id_wrapperIjLb1EEEEEvT_jT0_jPNS7_10value_typeE.num_vgpr, 5
	.set _ZN7rocprim17ROCPRIM_400000_NS6detail31init_lookback_scan_state_kernelINS1_19lookback_scan_stateIjLb0ELb1EEENS1_16block_id_wrapperIjLb1EEEEEvT_jT0_jPNS7_10value_typeE.num_agpr, 0
	.set _ZN7rocprim17ROCPRIM_400000_NS6detail31init_lookback_scan_state_kernelINS1_19lookback_scan_stateIjLb0ELb1EEENS1_16block_id_wrapperIjLb1EEEEEvT_jT0_jPNS7_10value_typeE.numbered_sgpr, 11
	.set _ZN7rocprim17ROCPRIM_400000_NS6detail31init_lookback_scan_state_kernelINS1_19lookback_scan_stateIjLb0ELb1EEENS1_16block_id_wrapperIjLb1EEEEEvT_jT0_jPNS7_10value_typeE.num_named_barrier, 0
	.set _ZN7rocprim17ROCPRIM_400000_NS6detail31init_lookback_scan_state_kernelINS1_19lookback_scan_stateIjLb0ELb1EEENS1_16block_id_wrapperIjLb1EEEEEvT_jT0_jPNS7_10value_typeE.private_seg_size, 0
	.set _ZN7rocprim17ROCPRIM_400000_NS6detail31init_lookback_scan_state_kernelINS1_19lookback_scan_stateIjLb0ELb1EEENS1_16block_id_wrapperIjLb1EEEEEvT_jT0_jPNS7_10value_typeE.uses_vcc, 1
	.set _ZN7rocprim17ROCPRIM_400000_NS6detail31init_lookback_scan_state_kernelINS1_19lookback_scan_stateIjLb0ELb1EEENS1_16block_id_wrapperIjLb1EEEEEvT_jT0_jPNS7_10value_typeE.uses_flat_scratch, 0
	.set _ZN7rocprim17ROCPRIM_400000_NS6detail31init_lookback_scan_state_kernelINS1_19lookback_scan_stateIjLb0ELb1EEENS1_16block_id_wrapperIjLb1EEEEEvT_jT0_jPNS7_10value_typeE.has_dyn_sized_stack, 0
	.set _ZN7rocprim17ROCPRIM_400000_NS6detail31init_lookback_scan_state_kernelINS1_19lookback_scan_stateIjLb0ELb1EEENS1_16block_id_wrapperIjLb1EEEEEvT_jT0_jPNS7_10value_typeE.has_recursion, 0
	.set _ZN7rocprim17ROCPRIM_400000_NS6detail31init_lookback_scan_state_kernelINS1_19lookback_scan_stateIjLb0ELb1EEENS1_16block_id_wrapperIjLb1EEEEEvT_jT0_jPNS7_10value_typeE.has_indirect_call, 0
	.section	.AMDGPU.csdata,"",@progbits
; Kernel info:
; codeLenInByte = 404
; TotalNumSgprs: 13
; NumVgprs: 5
; ScratchSize: 0
; MemoryBound: 0
; FloatMode: 240
; IeeeMode: 1
; LDSByteSize: 0 bytes/workgroup (compile time only)
; SGPRBlocks: 0
; VGPRBlocks: 0
; NumSGPRsForWavesPerEU: 13
; NumVGPRsForWavesPerEU: 5
; NamedBarCnt: 0
; Occupancy: 16
; WaveLimiterHint : 0
; COMPUTE_PGM_RSRC2:SCRATCH_EN: 0
; COMPUTE_PGM_RSRC2:USER_SGPR: 2
; COMPUTE_PGM_RSRC2:TRAP_HANDLER: 0
; COMPUTE_PGM_RSRC2:TGID_X_EN: 1
; COMPUTE_PGM_RSRC2:TGID_Y_EN: 0
; COMPUTE_PGM_RSRC2:TGID_Z_EN: 0
; COMPUTE_PGM_RSRC2:TIDIG_COMP_CNT: 0
	.section	.text._ZN7rocprim17ROCPRIM_400000_NS6detail17trampoline_kernelINS0_14default_configENS1_25partition_config_selectorILNS1_17partition_subalgoE8EiNS0_10empty_typeEbEEZZNS1_14partition_implILS5_8ELb0ES3_jPKiPS6_PKS6_NS0_5tupleIJPiS6_EEENSE_IJSB_SB_EEENS0_18inequality_wrapperIN6hipcub16HIPCUB_304000_NS8EqualityEEEPlJS6_EEE10hipError_tPvRmT3_T4_T5_T6_T7_T9_mT8_P12ihipStream_tbDpT10_ENKUlT_T0_E_clISt17integral_constantIbLb0EES16_IbLb1EEEEDaS12_S13_EUlS12_E_NS1_11comp_targetILNS1_3genE0ELNS1_11target_archE4294967295ELNS1_3gpuE0ELNS1_3repE0EEENS1_30default_config_static_selectorELNS0_4arch9wavefront6targetE0EEEvT1_,"axG",@progbits,_ZN7rocprim17ROCPRIM_400000_NS6detail17trampoline_kernelINS0_14default_configENS1_25partition_config_selectorILNS1_17partition_subalgoE8EiNS0_10empty_typeEbEEZZNS1_14partition_implILS5_8ELb0ES3_jPKiPS6_PKS6_NS0_5tupleIJPiS6_EEENSE_IJSB_SB_EEENS0_18inequality_wrapperIN6hipcub16HIPCUB_304000_NS8EqualityEEEPlJS6_EEE10hipError_tPvRmT3_T4_T5_T6_T7_T9_mT8_P12ihipStream_tbDpT10_ENKUlT_T0_E_clISt17integral_constantIbLb0EES16_IbLb1EEEEDaS12_S13_EUlS12_E_NS1_11comp_targetILNS1_3genE0ELNS1_11target_archE4294967295ELNS1_3gpuE0ELNS1_3repE0EEENS1_30default_config_static_selectorELNS0_4arch9wavefront6targetE0EEEvT1_,comdat
	.protected	_ZN7rocprim17ROCPRIM_400000_NS6detail17trampoline_kernelINS0_14default_configENS1_25partition_config_selectorILNS1_17partition_subalgoE8EiNS0_10empty_typeEbEEZZNS1_14partition_implILS5_8ELb0ES3_jPKiPS6_PKS6_NS0_5tupleIJPiS6_EEENSE_IJSB_SB_EEENS0_18inequality_wrapperIN6hipcub16HIPCUB_304000_NS8EqualityEEEPlJS6_EEE10hipError_tPvRmT3_T4_T5_T6_T7_T9_mT8_P12ihipStream_tbDpT10_ENKUlT_T0_E_clISt17integral_constantIbLb0EES16_IbLb1EEEEDaS12_S13_EUlS12_E_NS1_11comp_targetILNS1_3genE0ELNS1_11target_archE4294967295ELNS1_3gpuE0ELNS1_3repE0EEENS1_30default_config_static_selectorELNS0_4arch9wavefront6targetE0EEEvT1_ ; -- Begin function _ZN7rocprim17ROCPRIM_400000_NS6detail17trampoline_kernelINS0_14default_configENS1_25partition_config_selectorILNS1_17partition_subalgoE8EiNS0_10empty_typeEbEEZZNS1_14partition_implILS5_8ELb0ES3_jPKiPS6_PKS6_NS0_5tupleIJPiS6_EEENSE_IJSB_SB_EEENS0_18inequality_wrapperIN6hipcub16HIPCUB_304000_NS8EqualityEEEPlJS6_EEE10hipError_tPvRmT3_T4_T5_T6_T7_T9_mT8_P12ihipStream_tbDpT10_ENKUlT_T0_E_clISt17integral_constantIbLb0EES16_IbLb1EEEEDaS12_S13_EUlS12_E_NS1_11comp_targetILNS1_3genE0ELNS1_11target_archE4294967295ELNS1_3gpuE0ELNS1_3repE0EEENS1_30default_config_static_selectorELNS0_4arch9wavefront6targetE0EEEvT1_
	.globl	_ZN7rocprim17ROCPRIM_400000_NS6detail17trampoline_kernelINS0_14default_configENS1_25partition_config_selectorILNS1_17partition_subalgoE8EiNS0_10empty_typeEbEEZZNS1_14partition_implILS5_8ELb0ES3_jPKiPS6_PKS6_NS0_5tupleIJPiS6_EEENSE_IJSB_SB_EEENS0_18inequality_wrapperIN6hipcub16HIPCUB_304000_NS8EqualityEEEPlJS6_EEE10hipError_tPvRmT3_T4_T5_T6_T7_T9_mT8_P12ihipStream_tbDpT10_ENKUlT_T0_E_clISt17integral_constantIbLb0EES16_IbLb1EEEEDaS12_S13_EUlS12_E_NS1_11comp_targetILNS1_3genE0ELNS1_11target_archE4294967295ELNS1_3gpuE0ELNS1_3repE0EEENS1_30default_config_static_selectorELNS0_4arch9wavefront6targetE0EEEvT1_
	.p2align	8
	.type	_ZN7rocprim17ROCPRIM_400000_NS6detail17trampoline_kernelINS0_14default_configENS1_25partition_config_selectorILNS1_17partition_subalgoE8EiNS0_10empty_typeEbEEZZNS1_14partition_implILS5_8ELb0ES3_jPKiPS6_PKS6_NS0_5tupleIJPiS6_EEENSE_IJSB_SB_EEENS0_18inequality_wrapperIN6hipcub16HIPCUB_304000_NS8EqualityEEEPlJS6_EEE10hipError_tPvRmT3_T4_T5_T6_T7_T9_mT8_P12ihipStream_tbDpT10_ENKUlT_T0_E_clISt17integral_constantIbLb0EES16_IbLb1EEEEDaS12_S13_EUlS12_E_NS1_11comp_targetILNS1_3genE0ELNS1_11target_archE4294967295ELNS1_3gpuE0ELNS1_3repE0EEENS1_30default_config_static_selectorELNS0_4arch9wavefront6targetE0EEEvT1_,@function
_ZN7rocprim17ROCPRIM_400000_NS6detail17trampoline_kernelINS0_14default_configENS1_25partition_config_selectorILNS1_17partition_subalgoE8EiNS0_10empty_typeEbEEZZNS1_14partition_implILS5_8ELb0ES3_jPKiPS6_PKS6_NS0_5tupleIJPiS6_EEENSE_IJSB_SB_EEENS0_18inequality_wrapperIN6hipcub16HIPCUB_304000_NS8EqualityEEEPlJS6_EEE10hipError_tPvRmT3_T4_T5_T6_T7_T9_mT8_P12ihipStream_tbDpT10_ENKUlT_T0_E_clISt17integral_constantIbLb0EES16_IbLb1EEEEDaS12_S13_EUlS12_E_NS1_11comp_targetILNS1_3genE0ELNS1_11target_archE4294967295ELNS1_3gpuE0ELNS1_3repE0EEENS1_30default_config_static_selectorELNS0_4arch9wavefront6targetE0EEEvT1_: ; @_ZN7rocprim17ROCPRIM_400000_NS6detail17trampoline_kernelINS0_14default_configENS1_25partition_config_selectorILNS1_17partition_subalgoE8EiNS0_10empty_typeEbEEZZNS1_14partition_implILS5_8ELb0ES3_jPKiPS6_PKS6_NS0_5tupleIJPiS6_EEENSE_IJSB_SB_EEENS0_18inequality_wrapperIN6hipcub16HIPCUB_304000_NS8EqualityEEEPlJS6_EEE10hipError_tPvRmT3_T4_T5_T6_T7_T9_mT8_P12ihipStream_tbDpT10_ENKUlT_T0_E_clISt17integral_constantIbLb0EES16_IbLb1EEEEDaS12_S13_EUlS12_E_NS1_11comp_targetILNS1_3genE0ELNS1_11target_archE4294967295ELNS1_3gpuE0ELNS1_3repE0EEENS1_30default_config_static_selectorELNS0_4arch9wavefront6targetE0EEEvT1_
; %bb.0:
	s_clause 0x2
	s_load_b128 s[20:23], s[0:1], 0x40
	s_load_b64 s[8:9], s[0:1], 0x50
	s_load_b64 s[26:27], s[0:1], 0x60
	v_cmp_ne_u32_e64 s3, 0, v0
	v_cmp_eq_u32_e64 s2, 0, v0
	s_and_saveexec_b32 s4, s2
	s_cbranch_execz .LBB213_4
; %bb.1:
	s_mov_b32 s6, exec_lo
	s_mov_b32 s5, exec_lo
	v_mbcnt_lo_u32_b32 v1, s6, 0
                                        ; implicit-def: $vgpr2
	s_delay_alu instid0(VALU_DEP_1)
	v_cmpx_eq_u32_e32 0, v1
	s_cbranch_execz .LBB213_3
; %bb.2:
	s_load_b64 s[10:11], s[0:1], 0x70
	s_bcnt1_i32_b32 s6, s6
	s_delay_alu instid0(SALU_CYCLE_1)
	v_dual_mov_b32 v2, 0 :: v_dual_mov_b32 v3, s6
	s_wait_xcnt 0x0
	s_wait_kmcnt 0x0
	global_atomic_add_u32 v2, v2, v3, s[10:11] th:TH_ATOMIC_RETURN scope:SCOPE_DEV
.LBB213_3:
	s_wait_xcnt 0x0
	s_or_b32 exec_lo, exec_lo, s5
	s_wait_loadcnt 0x0
	v_readfirstlane_b32 s5, v2
	s_delay_alu instid0(VALU_DEP_1)
	v_dual_mov_b32 v2, 0 :: v_dual_add_nc_u32 v1, s5, v1
	ds_store_b32 v2, v1
.LBB213_4:
	s_or_b32 exec_lo, exec_lo, s4
	v_mov_b32_e32 v3, 0
	s_clause 0x2
	s_load_b128 s[4:7], s[0:1], 0x8
	s_load_b64 s[24:25], s[0:1], 0x28
	s_load_b32 s10, s[0:1], 0x68
	s_wait_dscnt 0x0
	s_barrier_signal -1
	s_barrier_wait -1
	ds_load_b32 v1, v3
	s_wait_dscnt 0x0
	s_barrier_signal -1
	s_barrier_wait -1
	s_wait_kmcnt 0x0
	global_load_b64 v[14:15], v3, s[22:23]
	s_mov_b32 s13, 0
	s_lshl_b64 s[0:1], s[6:7], 2
	s_mul_i32 s12, s10, 0x1600
	s_add_co_i32 s14, s10, -1
	s_add_nc_u64 s[10:11], s[6:7], s[12:13]
	s_add_co_i32 s12, s12, s6
	v_cmp_le_u64_e64 s9, s[8:9], s[10:11]
	v_mul_lo_u32 v2, 0x1600, v1
	v_readfirstlane_b32 s28, v1
	s_sub_co_i32 s29, s8, s12
	s_add_nc_u64 s[0:1], s[4:5], s[0:1]
	s_cmp_eq_u32 s28, s14
	s_wait_xcnt 0x0
	s_cselect_b32 s22, -1, 0
	s_delay_alu instid0(SALU_CYCLE_1) | instskip(SKIP_2) | instid1(SALU_CYCLE_1)
	s_and_b32 s30, s9, s22
	v_lshlrev_b64_e32 v[2:3], 2, v[2:3]
	s_xor_b32 s23, s30, -1
	s_and_b32 vcc_lo, exec_lo, s23
	s_delay_alu instid0(VALU_DEP_1)
	v_add_nc_u64_e32 v[26:27], s[0:1], v[2:3]
	s_mov_b32 s0, -1
	s_cbranch_vccz .LBB213_6
; %bb.5:
	s_delay_alu instid0(VALU_DEP_1) | instskip(NEXT) | instid1(VALU_DEP_2)
	v_readfirstlane_b32 s0, v26
	v_readfirstlane_b32 s1, v27
	v_lshlrev_b32_e32 v12, 2, v0
	s_clause 0xa
	global_load_b32 v1, v0, s[0:1] scale_offset
	global_load_b32 v2, v0, s[0:1] offset:2048 scale_offset
	global_load_b32 v3, v0, s[0:1] offset:4096 scale_offset
	;; [unrolled: 1-line block ×10, first 2 shown]
	s_wait_xcnt 0x0
	s_mov_b32 s0, 0
	s_wait_loadcnt 0x9
	ds_store_2addr_stride64_b32 v12, v1, v2 offset1:8
	s_wait_loadcnt 0x7
	ds_store_2addr_stride64_b32 v12, v3, v4 offset0:16 offset1:24
	s_wait_loadcnt 0x5
	ds_store_2addr_stride64_b32 v12, v5, v6 offset0:32 offset1:40
	;; [unrolled: 2-line block ×4, first 2 shown]
	s_wait_loadcnt 0x0
	ds_store_b32 v12, v11 offset:20480
	s_wait_dscnt 0x0
	s_barrier_signal -1
	s_barrier_wait -1
.LBB213_6:
	s_and_not1_b32 vcc_lo, exec_lo, s0
	s_addk_co_i32 s29, 0x1600
	s_cbranch_vccnz .LBB213_30
; %bb.7:
	v_mov_b32_e32 v2, 0
	s_mov_b32 s0, exec_lo
	s_delay_alu instid0(VALU_DEP_1)
	v_dual_mov_b32 v3, v2 :: v_dual_mov_b32 v4, v2
	v_dual_mov_b32 v5, v2 :: v_dual_mov_b32 v6, v2
	;; [unrolled: 1-line block ×5, first 2 shown]
	v_cmpx_gt_u32_e64 s29, v0
	s_cbranch_execz .LBB213_9
; %bb.8:
	v_readfirstlane_b32 s4, v26
	v_readfirstlane_b32 s5, v27
	v_dual_mov_b32 v29, v2 :: v_dual_mov_b32 v30, v2
	v_dual_mov_b32 v31, v2 :: v_dual_mov_b32 v32, v2
	global_load_b32 v28, v0, s[4:5] scale_offset
	v_dual_mov_b32 v33, v2 :: v_dual_mov_b32 v34, v2
	v_dual_mov_b32 v35, v2 :: v_dual_mov_b32 v36, v2
	;; [unrolled: 1-line block ×3, first 2 shown]
	s_wait_loadcnt 0x0
	v_dual_mov_b32 v2, v28 :: v_dual_mov_b32 v3, v29
	v_dual_mov_b32 v4, v30 :: v_dual_mov_b32 v5, v31
	;; [unrolled: 1-line block ×5, first 2 shown]
	v_mov_b32_e32 v12, v38
.LBB213_9:
	s_or_b32 exec_lo, exec_lo, s0
	v_or_b32_e32 v1, 0x200, v0
	s_mov_b32 s0, exec_lo
	s_delay_alu instid0(VALU_DEP_1)
	v_cmpx_gt_u32_e64 s29, v1
	s_cbranch_execz .LBB213_11
; %bb.10:
	v_readfirstlane_b32 s4, v26
	v_readfirstlane_b32 s5, v27
	global_load_b32 v3, v0, s[4:5] offset:2048 scale_offset
.LBB213_11:
	s_wait_xcnt 0x0
	s_or_b32 exec_lo, exec_lo, s0
	v_or_b32_e32 v1, 0x400, v0
	s_mov_b32 s0, exec_lo
	s_delay_alu instid0(VALU_DEP_1)
	v_cmpx_gt_u32_e64 s29, v1
	s_cbranch_execz .LBB213_13
; %bb.12:
	v_readfirstlane_b32 s4, v26
	v_readfirstlane_b32 s5, v27
	global_load_b32 v4, v0, s[4:5] offset:4096 scale_offset
.LBB213_13:
	s_wait_xcnt 0x0
	;; [unrolled: 12-line block ×10, first 2 shown]
	s_or_b32 exec_lo, exec_lo, s0
	v_lshlrev_b32_e32 v1, 2, v0
	s_wait_loadcnt 0x0
	ds_store_2addr_stride64_b32 v1, v2, v3 offset1:8
	ds_store_2addr_stride64_b32 v1, v4, v5 offset0:16 offset1:24
	ds_store_2addr_stride64_b32 v1, v6, v7 offset0:32 offset1:40
	;; [unrolled: 1-line block ×4, first 2 shown]
	ds_store_b32 v1, v12 offset:20480
	s_wait_dscnt 0x0
	s_barrier_signal -1
	s_barrier_wait -1
.LBB213_30:
	v_mul_u32_u24_e32 v6, 11, v0
	s_wait_loadcnt 0x0
	s_cmp_lg_u32 s28, 0
	s_mov_b32 s18, 0
	s_cselect_b32 s31, -1, 0
	v_lshlrev_b32_e32 v1, 2, v6
	s_cmp_lg_u64 s[6:7], 0
	ds_load_2addr_b32 v[22:23], v1 offset0:2 offset1:3
	ds_load_2addr_b32 v[24:25], v1 offset1:1
	ds_load_2addr_b32 v[12:13], v1 offset0:3 offset1:4
	ds_load_2addr_b32 v[2:3], v1 offset0:1 offset1:2
	;; [unrolled: 1-line block ×5, first 2 shown]
	s_cselect_b32 s0, -1, 0
	s_wait_dscnt 0x0
	s_or_b32 s0, s0, s31
	s_barrier_signal -1
	s_and_b32 vcc_lo, exec_lo, s0
	s_barrier_wait -1
	s_cbranch_vccz .LBB213_35
; %bb.31:
	global_load_b32 v10, v[26:27], off offset:-4
	v_lshlrev_b32_e32 v11, 2, v0
	s_and_b32 vcc_lo, exec_lo, s23
	ds_store_b32 v11, v17
	s_cbranch_vccz .LBB213_37
; %bb.32:
	s_wait_loadcnt 0x0
	v_mov_b32_e32 v4, v10
	s_wait_dscnt 0x0
	s_barrier_signal -1
	s_barrier_wait -1
	s_and_saveexec_b32 s0, s3
; %bb.33:
	v_add_nc_u32_e32 v4, -4, v11
	ds_load_b32 v4, v4
; %bb.34:
	s_or_b32 exec_lo, exec_lo, s0
	v_cmp_ne_u32_e32 vcc_lo, v23, v22
	s_wait_dscnt 0x0
	v_cmp_ne_u32_e64 s0, v4, v24
	v_cndmask_b32_e64 v5, 0, 1, vcc_lo
	v_cmp_ne_u32_e32 vcc_lo, v20, v13
	s_delay_alu instid0(VALU_DEP_2) | instskip(SKIP_2) | instid1(VALU_DEP_2)
	v_lshlrev_b16 v5, 8, v5
	v_cndmask_b32_e64 v7, 0, 1, vcc_lo
	v_cmp_ne_u32_e32 vcc_lo, v25, v24
	v_lshlrev_b16 v7, 8, v7
	v_cndmask_b32_e64 v8, 0, 1, vcc_lo
	v_cmp_ne_u32_e32 vcc_lo, v18, v21
	s_delay_alu instid0(VALU_DEP_3) | instskip(NEXT) | instid1(VALU_DEP_3)
	v_dual_lshrrev_b32 v5, 8, v5 :: v_dual_lshrrev_b32 v26, 8, v7
	v_lshlrev_b16 v8, 8, v8
	v_cndmask_b32_e64 v9, 0, 1, vcc_lo
	v_cmp_ne_u32_e32 vcc_lo, v16, v17
	s_delay_alu instid0(VALU_DEP_4) | instskip(SKIP_1) | instid1(VALU_DEP_4)
	v_lshlrev_b16 v5, 8, v5
	v_lshlrev_b16 v26, 8, v26
	;; [unrolled: 1-line block ×3, first 2 shown]
	v_cndmask_b32_e64 v7, 0, 1, vcc_lo
	v_cmp_ne_u32_e32 vcc_lo, v25, v22
	s_delay_alu instid0(VALU_DEP_2) | instskip(SKIP_2) | instid1(VALU_DEP_2)
	v_lshlrev_b16 v30, 8, v7
	v_cndmask_b32_e64 v27, 0, 1, vcc_lo
	v_cmp_ne_u32_e32 vcc_lo, v23, v13
	v_dual_lshrrev_b32 v8, 8, v8 :: v_dual_bitop2_b32 v5, v27, v5 bitop3:0x54
	v_cndmask_b32_e64 v28, 0, 1, vcc_lo
	v_cmp_ne_u32_e32 vcc_lo, v20, v21
	s_delay_alu instid0(VALU_DEP_3) | instskip(NEXT) | instid1(VALU_DEP_3)
	v_lshlrev_b16 v8, 8, v8
	v_dual_lshlrev_b32 v5, 16, v5 :: v_dual_bitop2_b32 v26, v28, v26 bitop3:0x54
	v_cndmask_b32_e64 v29, 0, 1, vcc_lo
	v_cmp_ne_u32_e32 vcc_lo, v16, v19
	s_delay_alu instid0(VALU_DEP_4) | instskip(NEXT) | instid1(VALU_DEP_4)
	v_and_b32_e32 v28, 0xffff, v8
	v_and_b32_e32 v26, 0xffff, v26
	s_delay_alu instid0(VALU_DEP_4) | instskip(SKIP_3) | instid1(VALU_DEP_3)
	v_or_b32_e32 v9, v29, v9
	v_cndmask_b32_e64 v27, 0, 1, vcc_lo
	v_cmp_ne_u32_e32 vcc_lo, v18, v19
	v_or_b32_e32 v4, v28, v5
	v_dual_lshlrev_b32 v29, 16, v9 :: v_dual_bitop2_b32 v9, v27, v30 bitop3:0x54
	v_cndmask_b32_e64 v8, 0, 1, vcc_lo
	s_delay_alu instid0(VALU_DEP_2)
	v_or_b32_e32 v5, v26, v29
	s_branch .LBB213_41
.LBB213_35:
                                        ; implicit-def: $sgpr0
                                        ; implicit-def: $vgpr7
                                        ; implicit-def: $vgpr9
                                        ; implicit-def: $vgpr8
                                        ; implicit-def: $vgpr5
	s_branch .LBB213_42
.LBB213_36:
                                        ; implicit-def: $vgpr26
                                        ; implicit-def: $vgpr42
                                        ; implicit-def: $vgpr40
                                        ; implicit-def: $vgpr28
                                        ; implicit-def: $vgpr41
                                        ; implicit-def: $vgpr39
                                        ; implicit-def: $vgpr38
                                        ; implicit-def: $vgpr33
                                        ; implicit-def: $vgpr29
                                        ; implicit-def: $vgpr1
	s_branch .LBB213_50
.LBB213_37:
                                        ; implicit-def: $sgpr0
                                        ; implicit-def: $vgpr7
                                        ; implicit-def: $vgpr9
                                        ; implicit-def: $vgpr8
                                        ; implicit-def: $vgpr5
	s_cbranch_execz .LBB213_41
; %bb.38:
	s_wait_loadcnt_dscnt 0x0
	s_barrier_signal -1
	s_barrier_wait -1
	s_and_saveexec_b32 s0, s3
; %bb.39:
	v_add_nc_u32_e32 v4, -4, v11
	ds_load_b32 v10, v4
; %bb.40:
	s_or_b32 exec_lo, exec_lo, s0
	v_dual_add_nc_u32 v4, 10, v6 :: v_dual_add_nc_u32 v5, 9, v6
	v_add_nc_u32_e32 v7, 8, v6
	v_cmp_ne_u32_e64 s11, v20, v13
	v_cmp_ne_u32_e64 s17, v23, v22
	s_delay_alu instid0(VALU_DEP_4)
	v_cmp_gt_u32_e64 s0, s29, v4
	v_add_nc_u32_e32 v4, 7, v6
	v_cmp_gt_u32_e64 s1, s29, v5
	v_add_nc_u32_e32 v5, 5, v6
	;; [unrolled: 2-line block ×6, first 2 shown]
	v_cmp_gt_u32_e64 s13, s29, v4
	s_and_b32 s9, s9, s11
	v_cmp_gt_u32_e64 s14, s29, v5
	v_cmp_ne_u32_e64 s15, v25, v24
	v_add_nc_u32_e32 v4, 2, v6
	s_and_b32 s13, s13, s17
	v_cmp_gt_u32_e64 s16, s29, v7
	v_cndmask_b32_e64 v5, 0, 1, s13
	v_cndmask_b32_e64 v7, 0, 1, s9
	v_cmp_ne_u32_e32 vcc_lo, v16, v17
	v_cmp_ne_u32_e64 s8, v18, v21
	s_and_b32 s14, s14, s15
	v_cmp_gt_u32_e64 s19, s29, v4
	v_cmp_ne_u32_e64 s13, v25, v22
	v_lshlrev_b16 v5, 8, v5
	v_lshlrev_b16 v7, 8, v7
	v_cndmask_b32_e64 v4, 0, 1, s14
	v_cmp_ne_u32_e64 s18, v23, v13
	s_and_b32 s0, s0, vcc_lo
	v_cmp_ne_u32_e64 s12, v20, v21
	s_and_b32 s6, s6, s8
	v_dual_lshrrev_b32 v5, 8, v5 :: v_dual_lshrrev_b32 v11, 8, v7
	v_cndmask_b32_e64 v7, 0, 1, s0
	s_and_b32 s0, s19, s13
	v_lshlrev_b16 v4, 8, v4
	v_cndmask_b32_e64 v9, 0, 1, s6
	v_cndmask_b32_e64 v26, 0, 1, s0
	s_and_b32 s0, s16, s18
	v_lshlrev_b16 v5, 8, v5
	v_cndmask_b32_e64 v27, 0, 1, s0
	s_and_b32 s0, s10, s12
	v_lshlrev_b16 v9, 8, v9
	s_delay_alu instid0(VALU_DEP_3) | instskip(SKIP_3) | instid1(VALU_DEP_4)
	v_dual_lshrrev_b32 v4, 8, v4 :: v_dual_bitop2_b32 v5, v26, v5 bitop3:0x54
	v_lshlrev_b16 v11, 8, v11
	v_cndmask_b32_e64 v28, 0, 1, s0
	v_cmp_ne_u32_e64 s4, v16, v19
	v_lshlrev_b16 v4, 8, v4
	v_cmp_ne_u32_e64 s7, v18, v19
	v_dual_lshlrev_b32 v5, 16, v5 :: v_dual_bitop2_b32 v11, v27, v11 bitop3:0x54
	v_or_b32_e32 v9, v28, v9
	s_and_b32 s0, s1, s4
	v_lshlrev_b16 v29, 8, v7
	v_cndmask_b32_e64 v26, 0, 1, s0
	v_and_b32_e32 v4, 0xffff, v4
	v_and_b32_e32 v11, 0xffff, v11
	v_lshlrev_b32_e32 v27, 16, v9
	s_and_b32 s5, s5, s7
	v_cmp_gt_u32_e32 vcc_lo, s29, v6
	s_wait_dscnt 0x0
	v_cmp_ne_u32_e64 s0, v10, v24
	v_cndmask_b32_e64 v8, 0, 1, s5
	v_or_b32_e32 v9, v26, v29
	v_or_b32_e32 v4, v4, v5
	;; [unrolled: 1-line block ×3, first 2 shown]
	s_and_b32 s0, vcc_lo, s0
.LBB213_41:
	s_mov_b32 s18, -1
	s_cbranch_execnz .LBB213_36
.LBB213_42:
	s_wait_loadcnt 0x0
	v_mad_i32_i24 v10, 0xffffffd8, v0, v1
	v_cmp_ne_u32_e64 s0, v16, v17
	v_cmp_ne_u32_e64 s1, v18, v19
	;; [unrolled: 1-line block ×4, first 2 shown]
	s_and_b32 vcc_lo, exec_lo, s23
	ds_store_b32 v10, v17
	s_cbranch_vccz .LBB213_46
; %bb.43:
	v_cmp_ne_u32_e32 vcc_lo, v25, v22
	v_cndmask_b32_e64 v27, 0, 1, s5
	v_cndmask_b32_e64 v39, 0, 1, s4
	;; [unrolled: 1-line block ×4, first 2 shown]
	v_cndmask_b32_e64 v40, 0, 1, vcc_lo
	v_cmp_ne_u32_e32 vcc_lo, v25, v24
	v_lshlrev_b16 v29, 8, v27
	v_lshlrev_b16 v31, 8, v39
	;; [unrolled: 1-line block ×4, first 2 shown]
	v_cndmask_b32_e64 v11, 0, 1, vcc_lo
	v_cmp_ne_u32_e32 vcc_lo, v23, v22
	v_lshlrev_b16 v36, 8, v1
	v_mov_b32_e32 v26, 1
	s_wait_dscnt 0x0
	s_barrier_signal -1
	v_cndmask_b32_e64 v30, 0, 1, vcc_lo
	v_cmp_ne_u32_e32 vcc_lo, v20, v13
	s_barrier_wait -1
                                        ; implicit-def: $sgpr0
                                        ; implicit-def: $vgpr7
                                        ; implicit-def: $vgpr9
                                        ; implicit-def: $vgpr8
                                        ; implicit-def: $vgpr5
	v_cndmask_b32_e64 v32, 0, 1, vcc_lo
	v_cmp_ne_u32_e32 vcc_lo, v18, v21
	v_cndmask_b32_e64 v35, 0, 1, vcc_lo
	v_cmp_ne_u32_e32 vcc_lo, v16, v19
	v_cndmask_b32_e64 v37, 0, 1, vcc_lo
	s_and_saveexec_b32 s1, s3
	s_delay_alu instid0(SALU_CYCLE_1)
	s_xor_b32 s1, exec_lo, s1
	s_cbranch_execz .LBB213_45
; %bb.44:
	s_delay_alu instid0(VALU_DEP_1) | instskip(SKIP_3) | instid1(VALU_DEP_4)
	v_lshlrev_b16 v5, 8, v37
	v_lshlrev_b16 v4, 8, v32
	;; [unrolled: 1-line block ×4, first 2 shown]
	v_dual_add_nc_u32 v9, -4, v10 :: v_dual_lshrrev_b32 v5, 8, v5
	s_delay_alu instid0(VALU_DEP_3)
	v_dual_lshrrev_b32 v4, 8, v4 :: v_dual_lshrrev_b32 v7, 8, v7
	v_lshlrev_b16 v38, 8, v35
	ds_load_b32 v9, v9
	v_lshlrev_b16 v5, 8, v5
	v_lshrrev_b32_e32 v8, 8, v8
	v_lshlrev_b16 v7, 8, v7
	v_lshlrev_b16 v4, 8, v4
	s_or_b32 s18, s18, exec_lo
	v_or_b32_e32 v5, v33, v5
	v_lshlrev_b16 v8, 8, v8
	s_delay_alu instid0(VALU_DEP_2) | instskip(NEXT) | instid1(VALU_DEP_2)
	v_and_b32_e32 v5, 0xffff, v5
	v_or_b32_e32 v8, 1, v8
	s_delay_alu instid0(VALU_DEP_1) | instskip(NEXT) | instid1(VALU_DEP_3)
	v_and_b32_e32 v41, 0xffff, v8
	v_lshl_or_b32 v8, v1, 16, v5
	v_or_b32_e32 v7, v40, v7
	s_wait_dscnt 0x0
	v_cmp_ne_u32_e64 s0, v9, v24
	s_delay_alu instid0(VALU_DEP_3) | instskip(NEXT) | instid1(VALU_DEP_3)
	v_dual_lshrrev_b32 v9, 8, v8 :: v_dual_bitop2_b32 v38, v39, v38 bitop3:0x54
	v_dual_lshlrev_b32 v7, 16, v7 :: v_dual_bitop2_b32 v4, v27, v4 bitop3:0x54
	s_delay_alu instid0(VALU_DEP_2) | instskip(NEXT) | instid1(VALU_DEP_2)
	v_lshlrev_b32_e32 v38, 16, v38
	v_and_b32_e32 v4, 0xffff, v4
	s_delay_alu instid0(VALU_DEP_1) | instskip(NEXT) | instid1(VALU_DEP_4)
	v_or_b32_e32 v5, v4, v38
	v_dual_lshrrev_b32 v7, 16, v8 :: v_dual_bitop2_b32 v4, v41, v7 bitop3:0x54
.LBB213_45:
	s_or_b32 exec_lo, exec_lo, s1
	v_or_b32_e32 v42, v11, v28
	v_or_b32_e32 v28, v30, v29
	;; [unrolled: 1-line block ×5, first 2 shown]
	s_branch .LBB213_50
.LBB213_46:
                                        ; implicit-def: $sgpr0
                                        ; implicit-def: $vgpr7
                                        ; implicit-def: $vgpr9
                                        ; implicit-def: $vgpr8
                                        ; implicit-def: $vgpr5
                                        ; implicit-def: $vgpr26
                                        ; implicit-def: $vgpr42
                                        ; implicit-def: $vgpr40
                                        ; implicit-def: $vgpr28
                                        ; implicit-def: $vgpr41
                                        ; implicit-def: $vgpr39
                                        ; implicit-def: $vgpr38
                                        ; implicit-def: $vgpr33
                                        ; implicit-def: $vgpr29
                                        ; implicit-def: $vgpr1
	s_cbranch_execz .LBB213_50
; %bb.47:
	v_dual_add_nc_u32 v1, 10, v6 :: v_dual_add_nc_u32 v4, 9, v6
	v_add_nc_u32_e32 v5, 6, v6
	v_cmp_ne_u32_e64 s13, v23, v13
	v_cmp_ne_u32_e64 s11, v18, v19
	s_delay_alu instid0(VALU_DEP_4) | instskip(SKIP_4) | instid1(VALU_DEP_4)
	v_cmp_gt_u32_e64 s0, s29, v1
	v_add_nc_u32_e32 v1, 5, v6
	v_cmp_gt_u32_e64 s1, s29, v4
	v_dual_add_nc_u32 v4, 8, v6 :: v_dual_add_nc_u32 v7, 7, v6
	v_cmp_gt_u32_e64 s5, s29, v5
	v_cmp_gt_u32_e64 s6, s29, v1
	v_dual_add_nc_u32 v1, 4, v6 :: v_dual_add_nc_u32 v5, 3, v6
	s_delay_alu instid0(VALU_DEP_4) | instskip(SKIP_2) | instid1(VALU_DEP_4)
	v_cmp_gt_u32_e64 s7, s29, v4
	v_add_nc_u32_e32 v4, 2, v6
	v_cmp_ne_u32_e64 s9, v20, v21
	v_cmp_gt_u32_e64 s14, s29, v1
	v_cmp_gt_u32_e64 s8, s29, v7
	v_cmp_ne_u32_e64 s12, v21, v18
	v_add_nc_u32_e32 v1, 1, v6
	v_cmp_ne_u32_e64 s15, v25, v3
	s_and_b32 s13, s14, s13
	v_cmp_gt_u32_e64 s17, s29, v4
	v_cndmask_b32_e64 v4, 0, 1, s13
	v_cmp_ne_u32_e64 s13, v22, v12
	v_cmp_gt_u32_e64 s14, s29, v5
	s_and_b32 s7, s7, s11
	s_and_b32 s5, s5, s9
	v_cndmask_b32_e64 v35, 0, 1, s7
	s_and_b32 s15, s17, s15
	s_and_b32 s7, s14, s13
	v_cndmask_b32_e64 v36, 0, 1, s5
	s_and_b32 s5, s8, s12
	v_cndmask_b32_e64 v33, 0, 1, s15
	v_lshlrev_b16 v3, 8, v4
	v_cndmask_b32_e64 v39, 0, 1, s7
	v_lshlrev_b16 v5, 8, v35
	v_cndmask_b32_e64 v37, 0, 1, s5
	v_cmp_ne_u32_e32 vcc_lo, v16, v17
	v_cmp_ne_u32_e64 s16, v24, v2
	v_lshlrev_b16 v2, 8, v33
	v_cmp_ne_u32_e64 s10, v13, v20
	v_or_b32_e32 v38, v37, v5
	v_or_b32_e32 v28, v39, v3
	v_lshlrev_b16 v3, 8, v36
	v_cmp_ne_u32_e64 s4, v19, v16
	v_cmp_gt_u32_e64 s5, s29, v1
	s_and_b32 s0, s0, vcc_lo
	v_and_b32_e32 v5, 0xffff, v2
	v_dual_lshlrev_b32 v27, 16, v38 :: v_dual_lshlrev_b32 v11, 16, v28
	v_and_b32_e32 v7, 0xffff, v3
	v_cndmask_b32_e64 v1, 0, 1, s0
	s_and_b32 s0, s6, s10
	s_and_b32 s5, s5, s16
	v_cndmask_b32_e64 v29, 0, 1, s0
	s_and_b32 s0, s1, s4
	v_cndmask_b32_e64 v12, 0, 1, s5
	v_dual_mov_b32 v26, 1 :: v_dual_bitop2_b32 v30, v5, v11 bitop3:0x54
	v_or_b32_e32 v31, v7, v27
	v_lshlrev_b16 v32, 8, v1
	v_cndmask_b32_e64 v34, 0, 1, s0
	s_wait_dscnt 0x0
	s_barrier_signal -1
	s_barrier_wait -1
                                        ; implicit-def: $sgpr0
                                        ; implicit-def: $vgpr7
                                        ; implicit-def: $vgpr9
                                        ; implicit-def: $vgpr8
                                        ; implicit-def: $vgpr5
	s_and_saveexec_b32 s1, s3
	s_cbranch_execz .LBB213_49
; %bb.48:
	v_lshlrev_b16 v5, 8, v34
	v_lshlrev_b16 v7, 8, v29
	;; [unrolled: 1-line block ×3, first 2 shown]
	v_add_nc_u32_e32 v9, -4, v10
	v_lshlrev_b16 v10, 8, v12
	s_delay_alu instid0(VALU_DEP_4) | instskip(NEXT) | instid1(VALU_DEP_4)
	v_dual_lshrrev_b32 v5, 8, v5 :: v_dual_lshrrev_b32 v7, 8, v7
	v_lshrrev_b32_e32 v8, 8, v8
	ds_load_b32 v9, v9
	v_lshlrev_b16 v37, 8, v37
	v_lshlrev_b16 v5, 8, v5
	v_lshrrev_b32_e32 v10, 8, v10
	v_lshlrev_b16 v7, 8, v7
	v_lshlrev_b16 v8, 8, v8
	v_cmp_gt_u32_e32 vcc_lo, s29, v6
	v_or_b32_e32 v5, v35, v5
	v_lshlrev_b16 v10, 8, v10
	v_or_b32_e32 v4, v4, v7
	v_or_b32_e32 v7, v33, v8
	;; [unrolled: 1-line block ×3, first 2 shown]
	v_and_b32_e32 v5, 0xffff, v5
	v_or_b32_e32 v8, 1, v10
	s_or_b32 s18, s18, exec_lo
	v_lshlrev_b32_e32 v7, 16, v7
	v_lshlrev_b32_e32 v10, 16, v35
	s_delay_alu instid0(VALU_DEP_3) | instskip(SKIP_3) | instid1(VALU_DEP_2)
	v_and_b32_e32 v33, 0xffff, v8
	v_lshl_or_b32 v8, v1, 16, v5
	s_wait_dscnt 0x0
	v_cmp_ne_u32_e64 s0, v9, v24
	v_lshrrev_b32_e32 v9, 8, v8
	v_and_b32_e32 v4, 0xffff, v4
	s_and_b32 s0, vcc_lo, s0
	s_delay_alu instid0(VALU_DEP_1)
	v_or_b32_e32 v5, v4, v10
	v_dual_lshrrev_b32 v7, 16, v8 :: v_dual_bitop2_b32 v4, v33, v7 bitop3:0x54
.LBB213_49:
	s_or_b32 exec_lo, exec_lo, s1
	v_dual_lshrrev_b32 v33, 24, v27 :: v_dual_bitop2_b32 v42, v12, v2 bitop3:0x54
	v_dual_lshrrev_b32 v40, 8, v30 :: v_dual_bitop2_b32 v41, v29, v3 bitop3:0x54
	;; [unrolled: 1-line block ×3, first 2 shown]
	v_lshrrev_b32_e32 v39, 8, v31
.LBB213_50:
	s_wait_xcnt 0x0
	s_and_saveexec_b32 s1, s18
	s_cbranch_execz .LBB213_52
; %bb.51:
	v_lshrrev_b64 v[28:29], 24, v[4:5]
	v_dual_lshrrev_b32 v41, 8, v5 :: v_dual_lshrrev_b32 v39, 16, v5
	v_dual_lshrrev_b32 v38, 24, v5 :: v_dual_lshrrev_b32 v40, 16, v4
	v_dual_mov_b32 v27, v5 :: v_dual_lshrrev_b32 v42, 8, v4
	v_cndmask_b32_e64 v26, 0, 1, s0
	v_dual_mov_b32 v33, v8 :: v_dual_mov_b32 v29, v9
	v_mov_b32_e32 v1, v7
.LBB213_52:
	s_or_b32 exec_lo, exec_lo, s1
	s_delay_alu instid0(SALU_CYCLE_1)
	s_and_not1_b32 vcc_lo, exec_lo, s30
	s_cbranch_vccnz .LBB213_56
; %bb.53:
	v_perm_b32 v2, v26, v42, 0xc0c0004
	v_perm_b32 v3, v40, v28, 0xc0c0004
	v_cmp_gt_u32_e32 vcc_lo, s29, v6
	v_dual_add_nc_u32 v4, 1, v6 :: v_dual_add_nc_u32 v5, 2, v6
	v_perm_b32 v7, v27, v41, 0xc0c0004
	s_delay_alu instid0(VALU_DEP_4) | instskip(SKIP_2) | instid1(VALU_DEP_3)
	v_lshl_or_b32 v2, v3, 16, v2
	v_and_b32_e32 v1, 0xff, v1
	v_perm_b32 v9, v33, v29, 0xc0c0004
	v_cndmask_b32_e32 v3, 0, v2, vcc_lo
	v_cmp_gt_u32_e32 vcc_lo, s29, v4
	v_perm_b32 v4, v39, v38, 0xc0c0004
	s_delay_alu instid0(VALU_DEP_1) | instskip(NEXT) | instid1(VALU_DEP_4)
	v_dual_lshlrev_b32 v1, 16, v1 :: v_dual_lshlrev_b32 v4, 16, v4
	v_and_b32_e32 v3, 0xff, v3
	s_delay_alu instid0(VALU_DEP_2) | instskip(NEXT) | instid1(VALU_DEP_3)
	v_or_b32_e32 v9, v9, v1
	v_or_b32_e32 v8, v7, v4
	v_bitop3_b32 v4, v7, 0xffffff00, v4 bitop3:0xc8
	s_delay_alu instid0(VALU_DEP_4) | instskip(SKIP_2) | instid1(VALU_DEP_3)
	v_cndmask_b32_e32 v3, v3, v2, vcc_lo
	v_cmp_gt_u32_e32 vcc_lo, s29, v5
	v_dual_add_nc_u32 v5, 4, v6 :: v_dual_add_nc_u32 v7, 3, v6
	v_and_b32_e32 v3, 0xffff, v3
	s_delay_alu instid0(VALU_DEP_2) | instskip(SKIP_1) | instid1(VALU_DEP_3)
	v_cmp_gt_u32_e64 s0, s29, v7
	v_lshlrev_b16 v7, 8, v29
	v_cndmask_b32_e32 v3, v3, v2, vcc_lo
	v_cmp_gt_u32_e32 vcc_lo, s29, v5
	v_add_nc_u32_e32 v5, 5, v6
	s_delay_alu instid0(VALU_DEP_3) | instskip(SKIP_1) | instid1(VALU_DEP_1)
	v_and_b32_e32 v3, 0xffffff, v3
	v_cndmask_b32_e32 v4, v4, v8, vcc_lo
	v_and_b32_e32 v4, 0xffff00ff, v4
	s_delay_alu instid0(VALU_DEP_3) | instskip(NEXT) | instid1(VALU_DEP_1)
	v_cndmask_b32_e64 v3, v3, v2, s0
	v_cndmask_b32_e32 v3, v3, v2, vcc_lo
	v_cmp_gt_u32_e32 vcc_lo, s29, v5
	v_and_b32_e32 v5, 0xffff, v7
	v_dual_cndmask_b32 v4, v4, v8 :: v_dual_add_nc_u32 v7, 8, v6
	s_delay_alu instid0(VALU_DEP_2) | instskip(SKIP_1) | instid1(VALU_DEP_3)
	v_dual_add_nc_u32 v5, 6, v6 :: v_dual_bitop2_b32 v1, v5, v1 bitop3:0x54
	v_cndmask_b32_e32 v3, v3, v2, vcc_lo
	v_cmp_gt_u32_e32 vcc_lo, s29, v7
	s_delay_alu instid0(VALU_DEP_4) | instskip(SKIP_4) | instid1(VALU_DEP_3)
	v_and_b32_e32 v4, 0xff00ffff, v4
	v_add_nc_u32_e32 v7, 9, v6
	v_cmp_gt_u32_e64 s0, s29, v5
	s_wait_loadcnt 0x0
	v_dual_cndmask_b32 v1, v1, v9 :: v_dual_add_nc_u32 v10, 7, v6
	v_cmp_gt_u32_e64 s1, s29, v7
	s_delay_alu instid0(VALU_DEP_3) | instskip(NEXT) | instid1(VALU_DEP_3)
	v_cndmask_b32_e64 v4, v4, v8, s0
	v_cmp_gt_u32_e64 s3, s29, v10
	s_delay_alu instid0(VALU_DEP_4) | instskip(NEXT) | instid1(VALU_DEP_3)
	v_and_b32_e32 v1, 0xffff00ff, v1
	v_and_b32_e32 v4, 0xffffff, v4
	s_delay_alu instid0(VALU_DEP_2) | instskip(SKIP_1) | instid1(SALU_CYCLE_1)
	v_cndmask_b32_e64 v33, v1, v9, s1
	s_or_b32 s1, s1, vcc_lo
	s_or_b32 vcc_lo, s1, s3
	s_delay_alu instid0(VALU_DEP_2) | instskip(SKIP_2) | instid1(VALU_DEP_2)
	v_cndmask_b32_e32 v27, v4, v8, vcc_lo
	s_or_b32 vcc_lo, vcc_lo, s0
	v_dual_cndmask_b32 v26, v3, v2 :: v_dual_lshrrev_b32 v1, 16, v33
	v_dual_add_nc_u32 v2, 10, v6 :: v_dual_lshrrev_b32 v39, 16, v27
	v_dual_lshrrev_b32 v38, 24, v27 :: v_dual_lshrrev_b32 v41, 8, v27
	s_delay_alu instid0(VALU_DEP_3)
	v_lshrrev_b64 v[28:29], 24, v[26:27]
	v_dual_lshrrev_b32 v40, 16, v26 :: v_dual_lshrrev_b32 v42, 8, v26
	v_lshrrev_b32_e32 v29, 8, v33
	s_mov_b32 s0, exec_lo
	v_cmpx_le_u32_e64 s29, v2
; %bb.54:
	v_mov_b32_e32 v1, 0
; %bb.55:
	s_or_b32 exec_lo, exec_lo, s0
.LBB213_56:
	v_and_b32_e32 v34, 0xff, v26
	v_and_b32_e32 v35, 0xff, v42
	v_and_b32_e32 v36, 0xff, v40
	v_and_b32_e32 v37, 0xff, v28
	v_and_b32_e32 v43, 0xff, v27
	v_and_b32_e32 v44, 0xff, v41
	v_and_b32_e32 v45, 0xff, v39
	v_add3_u32 v2, v35, v34, v36
	v_and_b32_e32 v46, 0xff, v38
	v_mbcnt_lo_u32_b32 v49, -1, 0
	v_and_b32_e32 v47, 0xff, v33
	v_and_b32_e32 v48, 0xff, v29
	v_add3_u32 v2, v2, v37, v43
	v_and_b32_e32 v4, 0xff, v1
	v_dual_lshrrev_b32 v50, 5, v0 :: v_dual_bitop2_b32 v3, 15, v49 bitop3:0x40
	v_or_b32_e32 v5, 31, v0
	s_delay_alu instid0(VALU_DEP_4) | instskip(SKIP_1) | instid1(VALU_DEP_4)
	v_add3_u32 v2, v2, v44, v45
	v_and_b32_e32 v6, 16, v49
	v_cmp_eq_u32_e64 s4, 0, v3
	v_cmp_lt_u32_e64 s3, 1, v3
	v_cmp_lt_u32_e64 s1, 3, v3
	v_add3_u32 v2, v2, v46, v47
	v_cmp_lt_u32_e64 s0, 7, v3
	v_cmp_eq_u32_e64 s6, 0, v6
	v_cmp_eq_u32_e64 s5, v0, v5
	s_and_b32 vcc_lo, exec_lo, s31
	v_add3_u32 v51, v2, v48, v4
	s_mov_b32 s7, -1
	s_wait_loadcnt_dscnt 0x0
	s_barrier_signal -1
	s_barrier_wait -1
	s_cbranch_vccz .LBB213_78
; %bb.57:
	v_mov_b32_dpp v2, v51 row_shr:1 row_mask:0xf bank_mask:0xf
	s_delay_alu instid0(VALU_DEP_1) | instskip(NEXT) | instid1(VALU_DEP_1)
	v_cndmask_b32_e64 v2, v2, 0, s4
	v_add_nc_u32_e32 v2, v2, v51
	s_delay_alu instid0(VALU_DEP_1) | instskip(NEXT) | instid1(VALU_DEP_1)
	v_mov_b32_dpp v3, v2 row_shr:2 row_mask:0xf bank_mask:0xf
	v_cndmask_b32_e64 v3, 0, v3, s3
	s_delay_alu instid0(VALU_DEP_1) | instskip(NEXT) | instid1(VALU_DEP_1)
	v_add_nc_u32_e32 v2, v2, v3
	v_mov_b32_dpp v3, v2 row_shr:4 row_mask:0xf bank_mask:0xf
	s_delay_alu instid0(VALU_DEP_1) | instskip(NEXT) | instid1(VALU_DEP_1)
	v_cndmask_b32_e64 v3, 0, v3, s1
	v_add_nc_u32_e32 v2, v2, v3
	s_delay_alu instid0(VALU_DEP_1) | instskip(NEXT) | instid1(VALU_DEP_1)
	v_mov_b32_dpp v3, v2 row_shr:8 row_mask:0xf bank_mask:0xf
	v_cndmask_b32_e64 v3, 0, v3, s0
	s_delay_alu instid0(VALU_DEP_1) | instskip(SKIP_3) | instid1(VALU_DEP_1)
	v_add_nc_u32_e32 v2, v2, v3
	ds_swizzle_b32 v3, v2 offset:swizzle(BROADCAST,32,15)
	s_wait_dscnt 0x0
	v_cndmask_b32_e64 v3, v3, 0, s6
	v_add_nc_u32_e32 v2, v2, v3
	s_and_saveexec_b32 s7, s5
; %bb.58:
	v_lshlrev_b32_e32 v3, 2, v50
	ds_store_b32 v3, v2
; %bb.59:
	s_or_b32 exec_lo, exec_lo, s7
	s_delay_alu instid0(SALU_CYCLE_1)
	s_mov_b32 s7, exec_lo
	s_wait_dscnt 0x0
	s_barrier_signal -1
	s_barrier_wait -1
	v_cmpx_gt_u32_e32 16, v0
	s_cbranch_execz .LBB213_61
; %bb.60:
	v_lshlrev_b32_e32 v3, 2, v0
	ds_load_b32 v4, v3
	s_wait_dscnt 0x0
	v_mov_b32_dpp v5, v4 row_shr:1 row_mask:0xf bank_mask:0xf
	s_delay_alu instid0(VALU_DEP_1) | instskip(NEXT) | instid1(VALU_DEP_1)
	v_cndmask_b32_e64 v5, v5, 0, s4
	v_add_nc_u32_e32 v4, v5, v4
	s_delay_alu instid0(VALU_DEP_1) | instskip(NEXT) | instid1(VALU_DEP_1)
	v_mov_b32_dpp v5, v4 row_shr:2 row_mask:0xf bank_mask:0xf
	v_cndmask_b32_e64 v5, 0, v5, s3
	s_delay_alu instid0(VALU_DEP_1) | instskip(NEXT) | instid1(VALU_DEP_1)
	v_add_nc_u32_e32 v4, v4, v5
	v_mov_b32_dpp v5, v4 row_shr:4 row_mask:0xf bank_mask:0xf
	s_delay_alu instid0(VALU_DEP_1) | instskip(NEXT) | instid1(VALU_DEP_1)
	v_cndmask_b32_e64 v5, 0, v5, s1
	v_add_nc_u32_e32 v4, v4, v5
	s_delay_alu instid0(VALU_DEP_1) | instskip(NEXT) | instid1(VALU_DEP_1)
	v_mov_b32_dpp v5, v4 row_shr:8 row_mask:0xf bank_mask:0xf
	v_cndmask_b32_e64 v5, 0, v5, s0
	s_delay_alu instid0(VALU_DEP_1)
	v_add_nc_u32_e32 v4, v4, v5
	ds_store_b32 v3, v4
.LBB213_61:
	s_or_b32 exec_lo, exec_lo, s7
	s_delay_alu instid0(SALU_CYCLE_1)
	s_mov_b32 s8, exec_lo
	v_cmp_gt_u32_e32 vcc_lo, 32, v0
	s_wait_dscnt 0x0
	s_barrier_signal -1
	s_barrier_wait -1
                                        ; implicit-def: $vgpr10
	v_cmpx_lt_u32_e32 31, v0
	s_cbranch_execz .LBB213_63
; %bb.62:
	v_lshl_add_u32 v3, v50, 2, -4
	ds_load_b32 v10, v3
	s_wait_dscnt 0x0
	v_add_nc_u32_e32 v2, v10, v2
.LBB213_63:
	s_or_b32 exec_lo, exec_lo, s8
	v_sub_co_u32 v3, s7, v49, 1
	s_delay_alu instid0(VALU_DEP_1) | instskip(NEXT) | instid1(VALU_DEP_1)
	v_cmp_gt_i32_e64 s8, 0, v3
	v_cndmask_b32_e64 v3, v3, v49, s8
	s_delay_alu instid0(VALU_DEP_1)
	v_lshlrev_b32_e32 v3, 2, v3
	ds_bpermute_b32 v11, v3, v2
	s_and_saveexec_b32 s8, vcc_lo
	s_cbranch_execz .LBB213_83
; %bb.64:
	v_mov_b32_e32 v9, 0
	ds_load_b32 v2, v9 offset:60
	s_and_saveexec_b32 s9, s7
	s_cbranch_execz .LBB213_66
; %bb.65:
	s_add_co_i32 s10, s28, 32
	s_delay_alu instid0(SALU_CYCLE_1)
	v_dual_mov_b32 v3, 1 :: v_dual_mov_b32 v4, s10
	s_wait_dscnt 0x0
	global_store_b64 v4, v[2:3], s[26:27] scale_offset scope:SCOPE_DEV
.LBB213_66:
	s_wait_xcnt 0x0
	s_or_b32 exec_lo, exec_lo, s9
	v_xad_u32 v4, v49, -1, s28
	s_mov_b32 s10, 0
	s_mov_b32 s9, exec_lo
	s_delay_alu instid0(VALU_DEP_1) | instskip(SKIP_4) | instid1(VALU_DEP_1)
	v_add_nc_u32_e32 v8, 32, v4
	global_load_b64 v[6:7], v8, s[26:27] scale_offset scope:SCOPE_DEV
	s_wait_loadcnt 0x0
	v_and_b32_e32 v3, 0xff, v7
	s_wait_xcnt 0x0
	v_cmpx_eq_u16_e32 0, v3
	s_cbranch_execz .LBB213_70
; %bb.67:
	v_lshl_add_u64 v[8:9], v[8:9], 3, s[26:27]
.LBB213_68:                             ; =>This Inner Loop Header: Depth=1
	global_load_b64 v[6:7], v[8:9], off scope:SCOPE_DEV
	s_wait_loadcnt 0x0
	v_and_b32_e32 v3, 0xff, v7
	s_delay_alu instid0(VALU_DEP_1)
	v_cmp_ne_u16_e32 vcc_lo, 0, v3
	s_or_b32 s10, vcc_lo, s10
	s_wait_xcnt 0x0
	s_and_not1_b32 exec_lo, exec_lo, s10
	s_cbranch_execnz .LBB213_68
; %bb.69:
	s_or_b32 exec_lo, exec_lo, s10
.LBB213_70:
	s_delay_alu instid0(SALU_CYCLE_1)
	s_or_b32 exec_lo, exec_lo, s9
	v_cmp_ne_u32_e32 vcc_lo, 31, v49
	v_lshlrev_b32_e64 v30, v49, -1
	v_lshl_or_b32 v56, v49, 2, 64
	v_dual_add_nc_u32 v32, 2, v49 :: v_dual_add_nc_u32 v53, 4, v49
	v_add_co_ci_u32_e64 v3, null, 0, v49, vcc_lo
	v_dual_add_nc_u32 v55, 8, v49 :: v_dual_add_nc_u32 v57, 16, v49
	s_delay_alu instid0(VALU_DEP_2)
	v_lshlrev_b32_e32 v12, 2, v3
	v_and_b32_e32 v3, 0xff, v7
	ds_bpermute_b32 v5, v12, v6
	v_cmp_eq_u16_e32 vcc_lo, 2, v3
	v_and_or_b32 v3, vcc_lo, v30, 0x80000000
	v_cmp_gt_u32_e32 vcc_lo, 30, v49
	s_delay_alu instid0(VALU_DEP_2) | instskip(SKIP_1) | instid1(VALU_DEP_2)
	v_ctz_i32_b32_e32 v3, v3
	v_cndmask_b32_e64 v8, 0, 2, vcc_lo
	v_cmp_lt_u32_e32 vcc_lo, v49, v3
	s_delay_alu instid0(VALU_DEP_2) | instskip(SKIP_3) | instid1(VALU_DEP_2)
	v_add_lshl_u32 v31, v8, v49, 2
	s_wait_dscnt 0x0
	v_cndmask_b32_e32 v5, 0, v5, vcc_lo
	v_cmp_gt_u32_e32 vcc_lo, 28, v49
	v_add_nc_u32_e32 v5, v5, v6
	v_cndmask_b32_e64 v8, 0, 4, vcc_lo
	v_cmp_le_u32_e32 vcc_lo, v32, v3
	ds_bpermute_b32 v6, v31, v5
	v_add_lshl_u32 v52, v8, v49, 2
	s_wait_dscnt 0x0
	v_cndmask_b32_e32 v6, 0, v6, vcc_lo
	v_cmp_gt_u32_e32 vcc_lo, 24, v49
	v_cndmask_b32_e64 v8, 0, 8, vcc_lo
	v_cmp_le_u32_e32 vcc_lo, v53, v3
	s_delay_alu instid0(VALU_DEP_4) | instskip(NEXT) | instid1(VALU_DEP_3)
	v_add_nc_u32_e32 v5, v5, v6
	v_add_lshl_u32 v54, v8, v49, 2
	ds_bpermute_b32 v6, v52, v5
	s_wait_dscnt 0x0
	v_cndmask_b32_e32 v6, 0, v6, vcc_lo
	v_cmp_le_u32_e32 vcc_lo, v55, v3
	s_delay_alu instid0(VALU_DEP_2) | instskip(SKIP_4) | instid1(VALU_DEP_2)
	v_add_nc_u32_e32 v5, v5, v6
	ds_bpermute_b32 v6, v54, v5
	s_wait_dscnt 0x0
	v_cndmask_b32_e32 v6, 0, v6, vcc_lo
	v_cmp_le_u32_e32 vcc_lo, v57, v3
	v_add_nc_u32_e32 v5, v5, v6
	ds_bpermute_b32 v6, v56, v5
	s_wait_dscnt 0x0
	v_cndmask_b32_e32 v3, 0, v6, vcc_lo
	s_delay_alu instid0(VALU_DEP_1)
	v_dual_mov_b32 v5, 0 :: v_dual_add_nc_u32 v6, v5, v3
	s_branch .LBB213_73
.LBB213_71:                             ;   in Loop: Header=BB213_73 Depth=1
	s_or_b32 exec_lo, exec_lo, s9
	v_and_b32_e32 v8, 0xff, v7
	ds_bpermute_b32 v9, v12, v6
	v_subrev_nc_u32_e32 v4, 32, v4
	s_mov_b32 s9, 0
	v_cmp_eq_u16_e32 vcc_lo, 2, v8
	v_and_or_b32 v8, vcc_lo, v30, 0x80000000
	s_delay_alu instid0(VALU_DEP_1) | instskip(NEXT) | instid1(VALU_DEP_1)
	v_ctz_i32_b32_e32 v8, v8
	v_cmp_lt_u32_e32 vcc_lo, v49, v8
	s_wait_dscnt 0x0
	v_cndmask_b32_e32 v9, 0, v9, vcc_lo
	v_cmp_le_u32_e32 vcc_lo, v32, v8
	s_delay_alu instid0(VALU_DEP_2) | instskip(SKIP_4) | instid1(VALU_DEP_2)
	v_add_nc_u32_e32 v6, v9, v6
	ds_bpermute_b32 v9, v31, v6
	s_wait_dscnt 0x0
	v_cndmask_b32_e32 v9, 0, v9, vcc_lo
	v_cmp_le_u32_e32 vcc_lo, v53, v8
	v_add_nc_u32_e32 v6, v6, v9
	ds_bpermute_b32 v9, v52, v6
	s_wait_dscnt 0x0
	v_cndmask_b32_e32 v9, 0, v9, vcc_lo
	v_cmp_le_u32_e32 vcc_lo, v55, v8
	s_delay_alu instid0(VALU_DEP_2) | instskip(SKIP_4) | instid1(VALU_DEP_2)
	v_add_nc_u32_e32 v6, v6, v9
	ds_bpermute_b32 v9, v54, v6
	s_wait_dscnt 0x0
	v_cndmask_b32_e32 v9, 0, v9, vcc_lo
	v_cmp_le_u32_e32 vcc_lo, v57, v8
	v_add_nc_u32_e32 v6, v6, v9
	ds_bpermute_b32 v9, v56, v6
	s_wait_dscnt 0x0
	v_cndmask_b32_e32 v8, 0, v9, vcc_lo
	s_delay_alu instid0(VALU_DEP_1)
	v_add3_u32 v6, v8, v3, v6
.LBB213_72:                             ;   in Loop: Header=BB213_73 Depth=1
	s_and_b32 vcc_lo, exec_lo, s9
	s_cbranch_vccnz .LBB213_79
.LBB213_73:                             ; =>This Loop Header: Depth=1
                                        ;     Child Loop BB213_76 Depth 2
	v_and_b32_e32 v3, 0xff, v7
	s_mov_b32 s9, -1
                                        ; implicit-def: $vgpr7
	s_delay_alu instid0(VALU_DEP_1)
	v_cmp_ne_u16_e32 vcc_lo, 2, v3
	v_mov_b32_e32 v3, v6
                                        ; implicit-def: $vgpr6
	s_cmp_lg_u32 vcc_lo, exec_lo
	s_cbranch_scc1 .LBB213_72
; %bb.74:                               ;   in Loop: Header=BB213_73 Depth=1
	global_load_b64 v[6:7], v4, s[26:27] scale_offset scope:SCOPE_DEV
	s_mov_b32 s9, exec_lo
	s_wait_loadcnt 0x0
	v_and_b32_e32 v8, 0xff, v7
	s_wait_xcnt 0x0
	s_delay_alu instid0(VALU_DEP_1)
	v_cmpx_eq_u16_e32 0, v8
	s_cbranch_execz .LBB213_71
; %bb.75:                               ;   in Loop: Header=BB213_73 Depth=1
	v_lshl_add_u64 v[8:9], v[4:5], 3, s[26:27]
	s_mov_b32 s10, 0
.LBB213_76:                             ;   Parent Loop BB213_73 Depth=1
                                        ; =>  This Inner Loop Header: Depth=2
	global_load_b64 v[6:7], v[8:9], off scope:SCOPE_DEV
	s_wait_loadcnt 0x0
	v_and_b32_e32 v58, 0xff, v7
	s_delay_alu instid0(VALU_DEP_1)
	v_cmp_ne_u16_e32 vcc_lo, 0, v58
	s_or_b32 s10, vcc_lo, s10
	s_wait_xcnt 0x0
	s_and_not1_b32 exec_lo, exec_lo, s10
	s_cbranch_execnz .LBB213_76
; %bb.77:                               ;   in Loop: Header=BB213_73 Depth=1
	s_or_b32 exec_lo, exec_lo, s10
	s_branch .LBB213_71
.LBB213_78:
                                        ; implicit-def: $vgpr32
                                        ; implicit-def: $vgpr30
                                        ; implicit-def: $vgpr2_vgpr3_vgpr4_vgpr5_vgpr6_vgpr7_vgpr8_vgpr9_vgpr10_vgpr11_vgpr12
	s_and_b32 vcc_lo, exec_lo, s7
	s_cbranch_vccnz .LBB213_84
	s_branch .LBB213_93
.LBB213_79:
	s_and_saveexec_b32 s9, s7
	s_cbranch_execz .LBB213_81
; %bb.80:
	s_add_co_i32 s10, s28, 32
	v_dual_mov_b32 v5, 2 :: v_dual_add_nc_u32 v4, v3, v2
	v_dual_mov_b32 v6, s10 :: v_dual_mov_b32 v7, 0
	global_store_b64 v6, v[4:5], s[26:27] scale_offset scope:SCOPE_DEV
	ds_store_b64 v7, v[2:3] offset:22528
.LBB213_81:
	s_wait_xcnt 0x0
	s_or_b32 exec_lo, exec_lo, s9
	s_delay_alu instid0(SALU_CYCLE_1)
	s_and_b32 exec_lo, exec_lo, s2
; %bb.82:
	v_mov_b32_e32 v2, 0
	ds_store_b32 v2, v3 offset:60
.LBB213_83:
	s_or_b32 exec_lo, exec_lo, s8
	s_wait_dscnt 0x0
	v_dual_mov_b32 v9, 0 :: v_dual_cndmask_b32 v3, v11, v10, s7
	s_wait_storecnt 0x0
	s_barrier_signal -1
	s_barrier_wait -1
	ds_load_b32 v2, v9 offset:60
	v_cndmask_b32_e64 v3, v3, 0, s2
	s_wait_dscnt 0x0
	s_barrier_signal -1
	s_barrier_wait -1
	ds_load_b64 v[30:31], v9 offset:22528
	v_add_nc_u32_e32 v2, v2, v3
	s_wait_dscnt 0x0
	s_delay_alu instid0(VALU_DEP_1) | instskip(NEXT) | instid1(VALU_DEP_1)
	v_dual_mov_b32 v32, v31 :: v_dual_add_nc_u32 v3, v2, v34
	v_add_nc_u32_e32 v4, v3, v35
	s_delay_alu instid0(VALU_DEP_1) | instskip(NEXT) | instid1(VALU_DEP_1)
	v_add_nc_u32_e32 v5, v4, v36
	v_add_nc_u32_e32 v6, v5, v37
	s_delay_alu instid0(VALU_DEP_1) | instskip(NEXT) | instid1(VALU_DEP_1)
	v_add_nc_u32_e32 v7, v6, v43
	;; [unrolled: 3-line block ×4, first 2 shown]
	v_add_nc_u32_e32 v12, v11, v48
	s_branch .LBB213_93
.LBB213_84:
	v_mov_b32_dpp v2, v51 row_shr:1 row_mask:0xf bank_mask:0xf
	s_delay_alu instid0(VALU_DEP_1) | instskip(NEXT) | instid1(VALU_DEP_1)
	v_cndmask_b32_e64 v2, v2, 0, s4
	v_add_nc_u32_e32 v2, v2, v51
	s_delay_alu instid0(VALU_DEP_1) | instskip(NEXT) | instid1(VALU_DEP_1)
	v_mov_b32_dpp v3, v2 row_shr:2 row_mask:0xf bank_mask:0xf
	v_cndmask_b32_e64 v3, 0, v3, s3
	s_delay_alu instid0(VALU_DEP_1) | instskip(NEXT) | instid1(VALU_DEP_1)
	v_add_nc_u32_e32 v2, v2, v3
	v_mov_b32_dpp v3, v2 row_shr:4 row_mask:0xf bank_mask:0xf
	s_delay_alu instid0(VALU_DEP_1) | instskip(NEXT) | instid1(VALU_DEP_1)
	v_cndmask_b32_e64 v3, 0, v3, s1
	v_add_nc_u32_e32 v2, v2, v3
	s_delay_alu instid0(VALU_DEP_1) | instskip(NEXT) | instid1(VALU_DEP_1)
	v_mov_b32_dpp v3, v2 row_shr:8 row_mask:0xf bank_mask:0xf
	v_cndmask_b32_e64 v3, 0, v3, s0
	s_delay_alu instid0(VALU_DEP_1) | instskip(SKIP_3) | instid1(VALU_DEP_1)
	v_add_nc_u32_e32 v2, v2, v3
	ds_swizzle_b32 v3, v2 offset:swizzle(BROADCAST,32,15)
	s_wait_dscnt 0x0
	v_cndmask_b32_e64 v3, v3, 0, s6
	v_add_nc_u32_e32 v2, v2, v3
	s_and_saveexec_b32 s6, s5
; %bb.85:
	v_lshlrev_b32_e32 v3, 2, v50
	ds_store_b32 v3, v2
; %bb.86:
	s_or_b32 exec_lo, exec_lo, s6
	s_delay_alu instid0(SALU_CYCLE_1)
	s_mov_b32 s5, exec_lo
	s_wait_dscnt 0x0
	s_barrier_signal -1
	s_barrier_wait -1
	v_cmpx_gt_u32_e32 16, v0
	s_cbranch_execz .LBB213_88
; %bb.87:
	v_lshlrev_b32_e32 v3, 2, v0
	ds_load_b32 v4, v3
	s_wait_dscnt 0x0
	v_mov_b32_dpp v5, v4 row_shr:1 row_mask:0xf bank_mask:0xf
	s_delay_alu instid0(VALU_DEP_1) | instskip(NEXT) | instid1(VALU_DEP_1)
	v_cndmask_b32_e64 v5, v5, 0, s4
	v_add_nc_u32_e32 v4, v5, v4
	s_delay_alu instid0(VALU_DEP_1) | instskip(NEXT) | instid1(VALU_DEP_1)
	v_mov_b32_dpp v5, v4 row_shr:2 row_mask:0xf bank_mask:0xf
	v_cndmask_b32_e64 v5, 0, v5, s3
	s_delay_alu instid0(VALU_DEP_1) | instskip(NEXT) | instid1(VALU_DEP_1)
	v_add_nc_u32_e32 v4, v4, v5
	v_mov_b32_dpp v5, v4 row_shr:4 row_mask:0xf bank_mask:0xf
	s_delay_alu instid0(VALU_DEP_1) | instskip(NEXT) | instid1(VALU_DEP_1)
	v_cndmask_b32_e64 v5, 0, v5, s1
	v_add_nc_u32_e32 v4, v4, v5
	s_delay_alu instid0(VALU_DEP_1) | instskip(NEXT) | instid1(VALU_DEP_1)
	v_mov_b32_dpp v5, v4 row_shr:8 row_mask:0xf bank_mask:0xf
	v_cndmask_b32_e64 v5, 0, v5, s0
	s_delay_alu instid0(VALU_DEP_1)
	v_add_nc_u32_e32 v4, v4, v5
	ds_store_b32 v3, v4
.LBB213_88:
	s_or_b32 exec_lo, exec_lo, s5
	v_dual_mov_b32 v4, 0 :: v_dual_mov_b32 v3, 0
	s_mov_b32 s0, exec_lo
	s_wait_dscnt 0x0
	s_barrier_signal -1
	s_barrier_wait -1
	v_cmpx_lt_u32_e32 31, v0
; %bb.89:
	v_lshl_add_u32 v3, v50, 2, -4
	ds_load_b32 v3, v3
; %bb.90:
	s_or_b32 exec_lo, exec_lo, s0
	v_sub_co_u32 v5, vcc_lo, v49, 1
	ds_load_b32 v30, v4 offset:60
	s_wait_dscnt 0x1
	v_add_nc_u32_e32 v2, v3, v2
	v_cmp_gt_i32_e64 s0, 0, v5
	s_delay_alu instid0(VALU_DEP_1) | instskip(NEXT) | instid1(VALU_DEP_1)
	v_cndmask_b32_e64 v5, v5, v49, s0
	v_lshlrev_b32_e32 v5, 2, v5
	ds_bpermute_b32 v2, v5, v2
	s_and_saveexec_b32 s0, s2
	s_cbranch_execz .LBB213_92
; %bb.91:
	v_dual_mov_b32 v4, 0 :: v_dual_mov_b32 v31, 2
	s_wait_dscnt 0x1
	global_store_b64 v4, v[30:31], s[26:27] offset:256 scope:SCOPE_DEV
.LBB213_92:
	s_wait_xcnt 0x0
	s_or_b32 exec_lo, exec_lo, s0
	s_wait_dscnt 0x0
	v_cndmask_b32_e32 v2, v2, v3, vcc_lo
	s_wait_storecnt 0x0
	s_barrier_signal -1
	s_barrier_wait -1
	s_delay_alu instid0(VALU_DEP_1) | instskip(NEXT) | instid1(VALU_DEP_1)
	v_cndmask_b32_e64 v2, v2, 0, s2
	v_dual_mov_b32 v32, 0 :: v_dual_add_nc_u32 v3, v2, v34
	s_delay_alu instid0(VALU_DEP_1) | instskip(NEXT) | instid1(VALU_DEP_1)
	v_add_nc_u32_e32 v4, v3, v35
	v_add_nc_u32_e32 v5, v4, v36
	s_delay_alu instid0(VALU_DEP_1) | instskip(NEXT) | instid1(VALU_DEP_1)
	v_add_nc_u32_e32 v6, v5, v37
	v_add_nc_u32_e32 v7, v6, v43
	;; [unrolled: 3-line block ×4, first 2 shown]
	s_delay_alu instid0(VALU_DEP_1)
	v_add_nc_u32_e32 v12, v11, v48
.LBB213_93:
	v_and_b32_e32 v26, 1, v26
	v_cmp_gt_u32_e32 vcc_lo, 0x201, v30
	v_lshlrev_b64_e32 v[34:35], 2, v[14:15]
	s_mov_b32 s1, -1
	s_delay_alu instid0(VALU_DEP_3)
	v_cmp_eq_u32_e64 s0, 1, v26
	s_cbranch_vccnz .LBB213_97
; %bb.94:
	s_and_b32 vcc_lo, exec_lo, s1
	s_cbranch_vccnz .LBB213_120
.LBB213_95:
	s_and_b32 s0, s2, s22
	s_delay_alu instid0(SALU_CYCLE_1)
	s_and_saveexec_b32 s1, s0
	s_cbranch_execnz .LBB213_155
.LBB213_96:
	s_endpgm
.LBB213_97:
	v_add_nc_u32_e32 v31, v32, v30
	v_add_nc_u64_e32 v[36:37], s[24:25], v[34:35]
	s_delay_alu instid0(VALU_DEP_2) | instskip(SKIP_1) | instid1(SALU_CYCLE_1)
	v_cmp_lt_u32_e32 vcc_lo, v2, v31
	s_or_b32 s1, s23, vcc_lo
	s_and_b32 s1, s1, s0
	s_delay_alu instid0(SALU_CYCLE_1)
	s_and_saveexec_b32 s0, s1
	s_cbranch_execz .LBB213_99
; %bb.98:
	s_delay_alu instid0(VALU_DEP_2)
	v_readfirstlane_b32 s4, v36
	v_readfirstlane_b32 s5, v37
	global_store_b32 v2, v24, s[4:5] scale_offset
.LBB213_99:
	s_wait_xcnt 0x0
	s_or_b32 exec_lo, exec_lo, s0
	v_and_b32_e32 v43, 1, v42
	v_cmp_lt_u32_e32 vcc_lo, v3, v31
	s_delay_alu instid0(VALU_DEP_2) | instskip(SKIP_1) | instid1(SALU_CYCLE_1)
	v_cmp_eq_u32_e64 s0, 1, v43
	s_or_b32 s1, s23, vcc_lo
	s_and_b32 s1, s1, s0
	s_delay_alu instid0(SALU_CYCLE_1)
	s_and_saveexec_b32 s0, s1
	s_cbranch_execz .LBB213_101
; %bb.100:
	v_readfirstlane_b32 s4, v36
	v_readfirstlane_b32 s5, v37
	global_store_b32 v3, v25, s[4:5] scale_offset
.LBB213_101:
	s_wait_xcnt 0x0
	s_or_b32 exec_lo, exec_lo, s0
	v_and_b32_e32 v43, 1, v40
	v_cmp_lt_u32_e32 vcc_lo, v4, v31
	s_delay_alu instid0(VALU_DEP_2) | instskip(SKIP_1) | instid1(SALU_CYCLE_1)
	v_cmp_eq_u32_e64 s0, 1, v43
	s_or_b32 s1, s23, vcc_lo
	s_and_b32 s1, s1, s0
	s_delay_alu instid0(SALU_CYCLE_1)
	s_and_saveexec_b32 s0, s1
	s_cbranch_execz .LBB213_103
; %bb.102:
	v_readfirstlane_b32 s4, v36
	v_readfirstlane_b32 s5, v37
	global_store_b32 v4, v22, s[4:5] scale_offset
.LBB213_103:
	;; [unrolled: 16-line block ×10, first 2 shown]
	s_wait_xcnt 0x0
	s_or_b32 exec_lo, exec_lo, s0
	s_branch .LBB213_95
.LBB213_120:
	s_mov_b32 s0, exec_lo
	v_cmpx_eq_u32_e32 1, v26
; %bb.121:
	v_sub_nc_u32_e32 v2, v2, v32
	s_delay_alu instid0(VALU_DEP_1)
	v_lshlrev_b32_e32 v2, 2, v2
	ds_store_b32 v2, v24
; %bb.122:
	s_or_b32 exec_lo, exec_lo, s0
	v_and_b32_e32 v2, 1, v42
	s_mov_b32 s0, exec_lo
	s_delay_alu instid0(VALU_DEP_1)
	v_cmpx_eq_u32_e32 1, v2
; %bb.123:
	v_sub_nc_u32_e32 v2, v3, v32
	s_delay_alu instid0(VALU_DEP_1)
	v_lshlrev_b32_e32 v2, 2, v2
	ds_store_b32 v2, v25
; %bb.124:
	s_or_b32 exec_lo, exec_lo, s0
	v_and_b32_e32 v2, 1, v40
	s_mov_b32 s0, exec_lo
	s_delay_alu instid0(VALU_DEP_1)
	;; [unrolled: 11-line block ×10, first 2 shown]
	v_cmpx_eq_u32_e32 1, v1
; %bb.141:
	v_sub_nc_u32_e32 v1, v12, v32
	s_delay_alu instid0(VALU_DEP_1)
	v_lshlrev_b32_e32 v1, 2, v1
	ds_store_b32 v1, v17
; %bb.142:
	s_or_b32 exec_lo, exec_lo, s0
	v_or_b32_e32 v1, 0x200, v0
	v_mov_b32_e32 v33, 0
	s_mov_b32 s1, -1
	s_mov_b32 s0, exec_lo
	s_wait_storecnt_dscnt 0x0
	v_max_u32_e32 v2, v30, v1
	s_barrier_signal -1
	s_barrier_wait -1
	s_delay_alu instid0(VALU_DEP_1) | instskip(SKIP_1) | instid1(VALU_DEP_2)
	v_xad_u32 v4, v0, -1, v2
	v_lshlrev_b64_e32 v[2:3], 2, v[32:33]
	v_cmpx_lt_u32_e32 0x1ff, v4
	s_cbranch_execz .LBB213_151
; %bb.143:
	v_lshrrev_b32_e32 v10, 9, v4
	v_add_nc_u64_e32 v[4:5], s[24:25], v[34:35]
	s_delay_alu instid0(VALU_DEP_2) | instskip(NEXT) | instid1(VALU_DEP_2)
	v_dual_lshlrev_b32 v11, 2, v0 :: v_dual_add_nc_u32 v6, -1, v10
	v_add_nc_u64_e32 v[4:5], v[4:5], v[2:3]
	s_delay_alu instid0(VALU_DEP_2) | instskip(SKIP_1) | instid1(VALU_DEP_2)
	v_lshrrev_b32_e32 v7, 1, v6
	v_cmp_lt_u32_e32 vcc_lo, 13, v6
	v_add_nc_u32_e32 v12, 1, v7
	v_mov_b64_e32 v[6:7], v[0:1]
	s_and_saveexec_b32 s1, vcc_lo
	s_cbranch_execz .LBB213_147
; %bb.144:
	v_mov_b64_e32 v[6:7], v[0:1]
	v_dual_mov_b32 v9, 0 :: v_dual_bitop2_b32 v13, -8, v12 bitop3:0x40
	v_mov_b32_e32 v16, v11
	s_mov_b32 s3, 0
	s_mov_b32 s4, 0
.LBB213_145:                            ; =>This Inner Loop Header: Depth=1
	s_delay_alu instid0(VALU_DEP_2)
	v_dual_mov_b32 v8, v6 :: v_dual_mov_b32 v21, v9
	ds_load_2addr_stride64_b32 v[18:19], v16 offset1:8
	v_add_nc_u32_e32 v13, -8, v13
	ds_load_2addr_stride64_b32 v[22:23], v16 offset0:16 offset1:24
	v_lshl_add_u64 v[54:55], v[8:9], 2, v[4:5]
	v_mov_b32_e32 v8, v7
	ds_load_2addr_stride64_b32 v[26:27], v16 offset0:32 offset1:40
	ds_load_2addr_stride64_b32 v[36:37], v16 offset0:48 offset1:56
	v_dual_mov_b32 v25, v9 :: v_dual_add_nc_u32 v20, 0x400, v7
	v_lshl_add_u64 v[56:57], v[8:9], 2, v[4:5]
	v_add_nc_u32_e32 v8, 0x400, v6
	ds_load_2addr_stride64_b32 v[40:41], v16 offset0:64 offset1:72
	v_lshl_add_u64 v[20:21], v[20:21], 2, v[4:5]
	ds_load_2addr_stride64_b32 v[44:45], v16 offset0:80 offset1:88
	ds_load_2addr_stride64_b32 v[48:49], v16 offset0:96 offset1:104
	v_lshl_add_u64 v[58:59], v[8:9], 2, v[4:5]
	v_add_nc_u32_e32 v8, 0x800, v6
	ds_load_2addr_stride64_b32 v[52:53], v16 offset0:112 offset1:120
	s_wait_dscnt 0x7
	s_clause 0x1
	global_store_b32 v[54:55], v18, off
	global_store_b32 v[56:57], v19, off
	s_wait_dscnt 0x6
	s_clause 0x1
	global_store_b32 v[58:59], v22, off
	global_store_b32 v[20:21], v23, off
	v_lshl_add_u64 v[60:61], v[8:9], 2, v[4:5]
	v_add_nc_u32_e32 v8, 0xc00, v6
	v_dual_mov_b32 v29, v9 :: v_dual_add_nc_u32 v24, 0x800, v7
	v_dual_mov_b32 v39, v9 :: v_dual_add_nc_u32 v28, 0xc00, v7
	s_wait_xcnt 0x2
	s_delay_alu instid0(VALU_DEP_3)
	v_lshl_add_u64 v[18:19], v[8:9], 2, v[4:5]
	v_add_nc_u32_e32 v8, 0x1000, v6
	v_lshl_add_u64 v[24:25], v[24:25], 2, v[4:5]
	v_dual_mov_b32 v43, v9 :: v_dual_add_nc_u32 v38, 0x1000, v7
	v_lshl_add_u64 v[28:29], v[28:29], 2, v[4:5]
	s_wait_xcnt 0x0
	v_lshl_add_u64 v[20:21], v[8:9], 2, v[4:5]
	v_add_nc_u32_e32 v8, 0x1400, v6
	s_wait_dscnt 0x5
	s_clause 0x1
	global_store_b32 v[60:61], v26, off
	global_store_b32 v[24:25], v27, off
	s_wait_dscnt 0x4
	global_store_b32 v[18:19], v36, off
	v_dual_mov_b32 v47, v9 :: v_dual_add_nc_u32 v42, 0x1400, v7
	s_wait_xcnt 0x0
	v_lshl_add_u64 v[18:19], v[8:9], 2, v[4:5]
	v_add_nc_u32_e32 v8, 0x1800, v6
	v_dual_mov_b32 v51, v9 :: v_dual_add_nc_u32 v46, 0x1800, v7
	v_lshl_add_u64 v[38:39], v[38:39], 2, v[4:5]
	global_store_b32 v[28:29], v37, off
	s_wait_dscnt 0x3
	global_store_b32 v[20:21], v40, off
	s_wait_xcnt 0x0
	v_lshl_add_u64 v[20:21], v[8:9], 2, v[4:5]
	v_add_nc_u32_e32 v8, 0x1c00, v6
	s_add_co_i32 s4, s4, 16
	s_delay_alu instid0(SALU_CYCLE_1)
	v_dual_mov_b32 v33, s4 :: v_dual_add_nc_u32 v50, 0x1c00, v7
	v_cmp_eq_u32_e32 vcc_lo, 0, v13
	v_lshl_add_u64 v[42:43], v[42:43], 2, v[4:5]
	v_add_nc_u32_e32 v16, 0x8000, v16
	v_add_nc_u32_e32 v7, 0x2000, v7
	;; [unrolled: 1-line block ×3, first 2 shown]
	v_lshl_add_u64 v[46:47], v[46:47], 2, v[4:5]
	global_store_b32 v[38:39], v41, off
	s_wait_dscnt 0x2
	s_clause 0x1
	global_store_b32 v[18:19], v44, off
	global_store_b32 v[42:43], v45, off
	s_wait_xcnt 0x1
	v_lshl_add_u64 v[18:19], v[8:9], 2, v[4:5]
	v_lshl_add_u64 v[50:51], v[50:51], 2, v[4:5]
	s_or_b32 s3, vcc_lo, s3
	s_wait_dscnt 0x1
	s_clause 0x1
	global_store_b32 v[20:21], v48, off
	global_store_b32 v[46:47], v49, off
	s_wait_dscnt 0x0
	s_clause 0x1
	global_store_b32 v[18:19], v52, off
	global_store_b32 v[50:51], v53, off
	s_wait_xcnt 0x0
	s_and_not1_b32 exec_lo, exec_lo, s3
	s_cbranch_execnz .LBB213_145
; %bb.146:
	s_or_b32 exec_lo, exec_lo, s3
.LBB213_147:
	s_delay_alu instid0(SALU_CYCLE_1) | instskip(SKIP_3) | instid1(VALU_DEP_1)
	s_or_b32 exec_lo, exec_lo, s1
	v_and_b32_e32 v1, 7, v12
	s_mov_b32 s3, 0
	s_mov_b32 s1, exec_lo
	v_cmpx_ne_u32_e32 0, v1
	s_cbranch_execz .LBB213_150
; %bb.148:
	v_lshl_or_b32 v11, v33, 11, v11
	v_mov_b32_e32 v9, 0
.LBB213_149:                            ; =>This Inner Loop Header: Depth=1
	ds_load_2addr_stride64_b32 v[12:13], v11 offset1:8
	v_dual_mov_b32 v8, v6 :: v_dual_add_nc_u32 v1, -1, v1
	v_add_nc_u32_e32 v6, 0x400, v6
	v_add_nc_u32_e32 v11, 0x1000, v11
	s_delay_alu instid0(VALU_DEP_3) | instskip(SKIP_3) | instid1(VALU_DEP_3)
	v_lshl_add_u64 v[16:17], v[8:9], 2, v[4:5]
	v_mov_b32_e32 v8, v7
	v_cmp_eq_u32_e32 vcc_lo, 0, v1
	v_add_nc_u32_e32 v7, 0x400, v7
	v_lshl_add_u64 v[18:19], v[8:9], 2, v[4:5]
	s_or_b32 s3, vcc_lo, s3
	s_wait_dscnt 0x0
	s_clause 0x1
	global_store_b32 v[16:17], v12, off
	global_store_b32 v[18:19], v13, off
	s_wait_xcnt 0x0
	s_and_not1_b32 exec_lo, exec_lo, s3
	s_cbranch_execnz .LBB213_149
.LBB213_150:
	s_or_b32 exec_lo, exec_lo, s1
	v_add_nc_u32_e32 v1, 1, v10
	s_delay_alu instid0(VALU_DEP_1) | instskip(NEXT) | instid1(VALU_DEP_1)
	v_and_b32_e32 v4, 0xfffffe, v1
	v_cmp_ne_u32_e32 vcc_lo, v1, v4
	v_lshl_or_b32 v0, v4, 9, v0
	s_or_not1_b32 s1, vcc_lo, exec_lo
.LBB213_151:
	s_or_b32 exec_lo, exec_lo, s0
	s_and_saveexec_b32 s0, s1
	s_cbranch_execz .LBB213_154
; %bb.152:
	s_delay_alu instid0(VALU_DEP_2) | instskip(SKIP_2) | instid1(VALU_DEP_2)
	v_add_nc_u64_e32 v[2:3], v[34:35], v[2:3]
	v_dual_mov_b32 v1, 0 :: v_dual_lshlrev_b32 v4, 2, v0
	s_mov_b32 s1, 0
	v_add_nc_u64_e32 v[2:3], s[24:25], v[2:3]
	s_delay_alu instid0(VALU_DEP_1)
	v_lshl_add_u64 v[2:3], v[0:1], 2, v[2:3]
.LBB213_153:                            ; =>This Inner Loop Header: Depth=1
	ds_load_b32 v1, v4
	v_add_nc_u32_e32 v0, 0x200, v0
	v_add_nc_u32_e32 v4, 0x800, v4
	s_delay_alu instid0(VALU_DEP_2)
	v_cmp_ge_u32_e32 vcc_lo, v0, v30
	s_or_b32 s1, vcc_lo, s1
	s_wait_dscnt 0x0
	global_store_b32 v[2:3], v1, off
	s_wait_xcnt 0x0
	v_add_nc_u64_e32 v[2:3], 0x800, v[2:3]
	s_and_not1_b32 exec_lo, exec_lo, s1
	s_cbranch_execnz .LBB213_153
.LBB213_154:
	s_or_b32 exec_lo, exec_lo, s0
	s_and_b32 s0, s2, s22
	s_delay_alu instid0(SALU_CYCLE_1)
	s_and_saveexec_b32 s1, s0
	s_cbranch_execz .LBB213_96
.LBB213_155:
	v_mov_b32_e32 v31, 0
	s_delay_alu instid0(VALU_DEP_1) | instskip(SKIP_1) | instid1(VALU_DEP_1)
	v_add_nc_u64_e32 v[0:1], v[14:15], v[30:31]
	v_mov_b32_e32 v33, v31
	v_add_nc_u64_e32 v[0:1], v[0:1], v[32:33]
	global_store_b64 v31, v[0:1], s[20:21]
	s_endpgm
	.section	.rodata,"a",@progbits
	.p2align	6, 0x0
	.amdhsa_kernel _ZN7rocprim17ROCPRIM_400000_NS6detail17trampoline_kernelINS0_14default_configENS1_25partition_config_selectorILNS1_17partition_subalgoE8EiNS0_10empty_typeEbEEZZNS1_14partition_implILS5_8ELb0ES3_jPKiPS6_PKS6_NS0_5tupleIJPiS6_EEENSE_IJSB_SB_EEENS0_18inequality_wrapperIN6hipcub16HIPCUB_304000_NS8EqualityEEEPlJS6_EEE10hipError_tPvRmT3_T4_T5_T6_T7_T9_mT8_P12ihipStream_tbDpT10_ENKUlT_T0_E_clISt17integral_constantIbLb0EES16_IbLb1EEEEDaS12_S13_EUlS12_E_NS1_11comp_targetILNS1_3genE0ELNS1_11target_archE4294967295ELNS1_3gpuE0ELNS1_3repE0EEENS1_30default_config_static_selectorELNS0_4arch9wavefront6targetE0EEEvT1_
		.amdhsa_group_segment_fixed_size 22536
		.amdhsa_private_segment_fixed_size 0
		.amdhsa_kernarg_size 128
		.amdhsa_user_sgpr_count 2
		.amdhsa_user_sgpr_dispatch_ptr 0
		.amdhsa_user_sgpr_queue_ptr 0
		.amdhsa_user_sgpr_kernarg_segment_ptr 1
		.amdhsa_user_sgpr_dispatch_id 0
		.amdhsa_user_sgpr_kernarg_preload_length 0
		.amdhsa_user_sgpr_kernarg_preload_offset 0
		.amdhsa_user_sgpr_private_segment_size 0
		.amdhsa_wavefront_size32 1
		.amdhsa_uses_dynamic_stack 0
		.amdhsa_enable_private_segment 0
		.amdhsa_system_sgpr_workgroup_id_x 1
		.amdhsa_system_sgpr_workgroup_id_y 0
		.amdhsa_system_sgpr_workgroup_id_z 0
		.amdhsa_system_sgpr_workgroup_info 0
		.amdhsa_system_vgpr_workitem_id 0
		.amdhsa_next_free_vgpr 62
		.amdhsa_next_free_sgpr 32
		.amdhsa_named_barrier_count 0
		.amdhsa_reserve_vcc 1
		.amdhsa_float_round_mode_32 0
		.amdhsa_float_round_mode_16_64 0
		.amdhsa_float_denorm_mode_32 3
		.amdhsa_float_denorm_mode_16_64 3
		.amdhsa_fp16_overflow 0
		.amdhsa_memory_ordered 1
		.amdhsa_forward_progress 1
		.amdhsa_inst_pref_size 70
		.amdhsa_round_robin_scheduling 0
		.amdhsa_exception_fp_ieee_invalid_op 0
		.amdhsa_exception_fp_denorm_src 0
		.amdhsa_exception_fp_ieee_div_zero 0
		.amdhsa_exception_fp_ieee_overflow 0
		.amdhsa_exception_fp_ieee_underflow 0
		.amdhsa_exception_fp_ieee_inexact 0
		.amdhsa_exception_int_div_zero 0
	.end_amdhsa_kernel
	.section	.text._ZN7rocprim17ROCPRIM_400000_NS6detail17trampoline_kernelINS0_14default_configENS1_25partition_config_selectorILNS1_17partition_subalgoE8EiNS0_10empty_typeEbEEZZNS1_14partition_implILS5_8ELb0ES3_jPKiPS6_PKS6_NS0_5tupleIJPiS6_EEENSE_IJSB_SB_EEENS0_18inequality_wrapperIN6hipcub16HIPCUB_304000_NS8EqualityEEEPlJS6_EEE10hipError_tPvRmT3_T4_T5_T6_T7_T9_mT8_P12ihipStream_tbDpT10_ENKUlT_T0_E_clISt17integral_constantIbLb0EES16_IbLb1EEEEDaS12_S13_EUlS12_E_NS1_11comp_targetILNS1_3genE0ELNS1_11target_archE4294967295ELNS1_3gpuE0ELNS1_3repE0EEENS1_30default_config_static_selectorELNS0_4arch9wavefront6targetE0EEEvT1_,"axG",@progbits,_ZN7rocprim17ROCPRIM_400000_NS6detail17trampoline_kernelINS0_14default_configENS1_25partition_config_selectorILNS1_17partition_subalgoE8EiNS0_10empty_typeEbEEZZNS1_14partition_implILS5_8ELb0ES3_jPKiPS6_PKS6_NS0_5tupleIJPiS6_EEENSE_IJSB_SB_EEENS0_18inequality_wrapperIN6hipcub16HIPCUB_304000_NS8EqualityEEEPlJS6_EEE10hipError_tPvRmT3_T4_T5_T6_T7_T9_mT8_P12ihipStream_tbDpT10_ENKUlT_T0_E_clISt17integral_constantIbLb0EES16_IbLb1EEEEDaS12_S13_EUlS12_E_NS1_11comp_targetILNS1_3genE0ELNS1_11target_archE4294967295ELNS1_3gpuE0ELNS1_3repE0EEENS1_30default_config_static_selectorELNS0_4arch9wavefront6targetE0EEEvT1_,comdat
.Lfunc_end213:
	.size	_ZN7rocprim17ROCPRIM_400000_NS6detail17trampoline_kernelINS0_14default_configENS1_25partition_config_selectorILNS1_17partition_subalgoE8EiNS0_10empty_typeEbEEZZNS1_14partition_implILS5_8ELb0ES3_jPKiPS6_PKS6_NS0_5tupleIJPiS6_EEENSE_IJSB_SB_EEENS0_18inequality_wrapperIN6hipcub16HIPCUB_304000_NS8EqualityEEEPlJS6_EEE10hipError_tPvRmT3_T4_T5_T6_T7_T9_mT8_P12ihipStream_tbDpT10_ENKUlT_T0_E_clISt17integral_constantIbLb0EES16_IbLb1EEEEDaS12_S13_EUlS12_E_NS1_11comp_targetILNS1_3genE0ELNS1_11target_archE4294967295ELNS1_3gpuE0ELNS1_3repE0EEENS1_30default_config_static_selectorELNS0_4arch9wavefront6targetE0EEEvT1_, .Lfunc_end213-_ZN7rocprim17ROCPRIM_400000_NS6detail17trampoline_kernelINS0_14default_configENS1_25partition_config_selectorILNS1_17partition_subalgoE8EiNS0_10empty_typeEbEEZZNS1_14partition_implILS5_8ELb0ES3_jPKiPS6_PKS6_NS0_5tupleIJPiS6_EEENSE_IJSB_SB_EEENS0_18inequality_wrapperIN6hipcub16HIPCUB_304000_NS8EqualityEEEPlJS6_EEE10hipError_tPvRmT3_T4_T5_T6_T7_T9_mT8_P12ihipStream_tbDpT10_ENKUlT_T0_E_clISt17integral_constantIbLb0EES16_IbLb1EEEEDaS12_S13_EUlS12_E_NS1_11comp_targetILNS1_3genE0ELNS1_11target_archE4294967295ELNS1_3gpuE0ELNS1_3repE0EEENS1_30default_config_static_selectorELNS0_4arch9wavefront6targetE0EEEvT1_
                                        ; -- End function
	.set _ZN7rocprim17ROCPRIM_400000_NS6detail17trampoline_kernelINS0_14default_configENS1_25partition_config_selectorILNS1_17partition_subalgoE8EiNS0_10empty_typeEbEEZZNS1_14partition_implILS5_8ELb0ES3_jPKiPS6_PKS6_NS0_5tupleIJPiS6_EEENSE_IJSB_SB_EEENS0_18inequality_wrapperIN6hipcub16HIPCUB_304000_NS8EqualityEEEPlJS6_EEE10hipError_tPvRmT3_T4_T5_T6_T7_T9_mT8_P12ihipStream_tbDpT10_ENKUlT_T0_E_clISt17integral_constantIbLb0EES16_IbLb1EEEEDaS12_S13_EUlS12_E_NS1_11comp_targetILNS1_3genE0ELNS1_11target_archE4294967295ELNS1_3gpuE0ELNS1_3repE0EEENS1_30default_config_static_selectorELNS0_4arch9wavefront6targetE0EEEvT1_.num_vgpr, 62
	.set _ZN7rocprim17ROCPRIM_400000_NS6detail17trampoline_kernelINS0_14default_configENS1_25partition_config_selectorILNS1_17partition_subalgoE8EiNS0_10empty_typeEbEEZZNS1_14partition_implILS5_8ELb0ES3_jPKiPS6_PKS6_NS0_5tupleIJPiS6_EEENSE_IJSB_SB_EEENS0_18inequality_wrapperIN6hipcub16HIPCUB_304000_NS8EqualityEEEPlJS6_EEE10hipError_tPvRmT3_T4_T5_T6_T7_T9_mT8_P12ihipStream_tbDpT10_ENKUlT_T0_E_clISt17integral_constantIbLb0EES16_IbLb1EEEEDaS12_S13_EUlS12_E_NS1_11comp_targetILNS1_3genE0ELNS1_11target_archE4294967295ELNS1_3gpuE0ELNS1_3repE0EEENS1_30default_config_static_selectorELNS0_4arch9wavefront6targetE0EEEvT1_.num_agpr, 0
	.set _ZN7rocprim17ROCPRIM_400000_NS6detail17trampoline_kernelINS0_14default_configENS1_25partition_config_selectorILNS1_17partition_subalgoE8EiNS0_10empty_typeEbEEZZNS1_14partition_implILS5_8ELb0ES3_jPKiPS6_PKS6_NS0_5tupleIJPiS6_EEENSE_IJSB_SB_EEENS0_18inequality_wrapperIN6hipcub16HIPCUB_304000_NS8EqualityEEEPlJS6_EEE10hipError_tPvRmT3_T4_T5_T6_T7_T9_mT8_P12ihipStream_tbDpT10_ENKUlT_T0_E_clISt17integral_constantIbLb0EES16_IbLb1EEEEDaS12_S13_EUlS12_E_NS1_11comp_targetILNS1_3genE0ELNS1_11target_archE4294967295ELNS1_3gpuE0ELNS1_3repE0EEENS1_30default_config_static_selectorELNS0_4arch9wavefront6targetE0EEEvT1_.numbered_sgpr, 32
	.set _ZN7rocprim17ROCPRIM_400000_NS6detail17trampoline_kernelINS0_14default_configENS1_25partition_config_selectorILNS1_17partition_subalgoE8EiNS0_10empty_typeEbEEZZNS1_14partition_implILS5_8ELb0ES3_jPKiPS6_PKS6_NS0_5tupleIJPiS6_EEENSE_IJSB_SB_EEENS0_18inequality_wrapperIN6hipcub16HIPCUB_304000_NS8EqualityEEEPlJS6_EEE10hipError_tPvRmT3_T4_T5_T6_T7_T9_mT8_P12ihipStream_tbDpT10_ENKUlT_T0_E_clISt17integral_constantIbLb0EES16_IbLb1EEEEDaS12_S13_EUlS12_E_NS1_11comp_targetILNS1_3genE0ELNS1_11target_archE4294967295ELNS1_3gpuE0ELNS1_3repE0EEENS1_30default_config_static_selectorELNS0_4arch9wavefront6targetE0EEEvT1_.num_named_barrier, 0
	.set _ZN7rocprim17ROCPRIM_400000_NS6detail17trampoline_kernelINS0_14default_configENS1_25partition_config_selectorILNS1_17partition_subalgoE8EiNS0_10empty_typeEbEEZZNS1_14partition_implILS5_8ELb0ES3_jPKiPS6_PKS6_NS0_5tupleIJPiS6_EEENSE_IJSB_SB_EEENS0_18inequality_wrapperIN6hipcub16HIPCUB_304000_NS8EqualityEEEPlJS6_EEE10hipError_tPvRmT3_T4_T5_T6_T7_T9_mT8_P12ihipStream_tbDpT10_ENKUlT_T0_E_clISt17integral_constantIbLb0EES16_IbLb1EEEEDaS12_S13_EUlS12_E_NS1_11comp_targetILNS1_3genE0ELNS1_11target_archE4294967295ELNS1_3gpuE0ELNS1_3repE0EEENS1_30default_config_static_selectorELNS0_4arch9wavefront6targetE0EEEvT1_.private_seg_size, 0
	.set _ZN7rocprim17ROCPRIM_400000_NS6detail17trampoline_kernelINS0_14default_configENS1_25partition_config_selectorILNS1_17partition_subalgoE8EiNS0_10empty_typeEbEEZZNS1_14partition_implILS5_8ELb0ES3_jPKiPS6_PKS6_NS0_5tupleIJPiS6_EEENSE_IJSB_SB_EEENS0_18inequality_wrapperIN6hipcub16HIPCUB_304000_NS8EqualityEEEPlJS6_EEE10hipError_tPvRmT3_T4_T5_T6_T7_T9_mT8_P12ihipStream_tbDpT10_ENKUlT_T0_E_clISt17integral_constantIbLb0EES16_IbLb1EEEEDaS12_S13_EUlS12_E_NS1_11comp_targetILNS1_3genE0ELNS1_11target_archE4294967295ELNS1_3gpuE0ELNS1_3repE0EEENS1_30default_config_static_selectorELNS0_4arch9wavefront6targetE0EEEvT1_.uses_vcc, 1
	.set _ZN7rocprim17ROCPRIM_400000_NS6detail17trampoline_kernelINS0_14default_configENS1_25partition_config_selectorILNS1_17partition_subalgoE8EiNS0_10empty_typeEbEEZZNS1_14partition_implILS5_8ELb0ES3_jPKiPS6_PKS6_NS0_5tupleIJPiS6_EEENSE_IJSB_SB_EEENS0_18inequality_wrapperIN6hipcub16HIPCUB_304000_NS8EqualityEEEPlJS6_EEE10hipError_tPvRmT3_T4_T5_T6_T7_T9_mT8_P12ihipStream_tbDpT10_ENKUlT_T0_E_clISt17integral_constantIbLb0EES16_IbLb1EEEEDaS12_S13_EUlS12_E_NS1_11comp_targetILNS1_3genE0ELNS1_11target_archE4294967295ELNS1_3gpuE0ELNS1_3repE0EEENS1_30default_config_static_selectorELNS0_4arch9wavefront6targetE0EEEvT1_.uses_flat_scratch, 0
	.set _ZN7rocprim17ROCPRIM_400000_NS6detail17trampoline_kernelINS0_14default_configENS1_25partition_config_selectorILNS1_17partition_subalgoE8EiNS0_10empty_typeEbEEZZNS1_14partition_implILS5_8ELb0ES3_jPKiPS6_PKS6_NS0_5tupleIJPiS6_EEENSE_IJSB_SB_EEENS0_18inequality_wrapperIN6hipcub16HIPCUB_304000_NS8EqualityEEEPlJS6_EEE10hipError_tPvRmT3_T4_T5_T6_T7_T9_mT8_P12ihipStream_tbDpT10_ENKUlT_T0_E_clISt17integral_constantIbLb0EES16_IbLb1EEEEDaS12_S13_EUlS12_E_NS1_11comp_targetILNS1_3genE0ELNS1_11target_archE4294967295ELNS1_3gpuE0ELNS1_3repE0EEENS1_30default_config_static_selectorELNS0_4arch9wavefront6targetE0EEEvT1_.has_dyn_sized_stack, 0
	.set _ZN7rocprim17ROCPRIM_400000_NS6detail17trampoline_kernelINS0_14default_configENS1_25partition_config_selectorILNS1_17partition_subalgoE8EiNS0_10empty_typeEbEEZZNS1_14partition_implILS5_8ELb0ES3_jPKiPS6_PKS6_NS0_5tupleIJPiS6_EEENSE_IJSB_SB_EEENS0_18inequality_wrapperIN6hipcub16HIPCUB_304000_NS8EqualityEEEPlJS6_EEE10hipError_tPvRmT3_T4_T5_T6_T7_T9_mT8_P12ihipStream_tbDpT10_ENKUlT_T0_E_clISt17integral_constantIbLb0EES16_IbLb1EEEEDaS12_S13_EUlS12_E_NS1_11comp_targetILNS1_3genE0ELNS1_11target_archE4294967295ELNS1_3gpuE0ELNS1_3repE0EEENS1_30default_config_static_selectorELNS0_4arch9wavefront6targetE0EEEvT1_.has_recursion, 0
	.set _ZN7rocprim17ROCPRIM_400000_NS6detail17trampoline_kernelINS0_14default_configENS1_25partition_config_selectorILNS1_17partition_subalgoE8EiNS0_10empty_typeEbEEZZNS1_14partition_implILS5_8ELb0ES3_jPKiPS6_PKS6_NS0_5tupleIJPiS6_EEENSE_IJSB_SB_EEENS0_18inequality_wrapperIN6hipcub16HIPCUB_304000_NS8EqualityEEEPlJS6_EEE10hipError_tPvRmT3_T4_T5_T6_T7_T9_mT8_P12ihipStream_tbDpT10_ENKUlT_T0_E_clISt17integral_constantIbLb0EES16_IbLb1EEEEDaS12_S13_EUlS12_E_NS1_11comp_targetILNS1_3genE0ELNS1_11target_archE4294967295ELNS1_3gpuE0ELNS1_3repE0EEENS1_30default_config_static_selectorELNS0_4arch9wavefront6targetE0EEEvT1_.has_indirect_call, 0
	.section	.AMDGPU.csdata,"",@progbits
; Kernel info:
; codeLenInByte = 8944
; TotalNumSgprs: 34
; NumVgprs: 62
; ScratchSize: 0
; MemoryBound: 0
; FloatMode: 240
; IeeeMode: 1
; LDSByteSize: 22536 bytes/workgroup (compile time only)
; SGPRBlocks: 0
; VGPRBlocks: 3
; NumSGPRsForWavesPerEU: 34
; NumVGPRsForWavesPerEU: 62
; NamedBarCnt: 0
; Occupancy: 16
; WaveLimiterHint : 1
; COMPUTE_PGM_RSRC2:SCRATCH_EN: 0
; COMPUTE_PGM_RSRC2:USER_SGPR: 2
; COMPUTE_PGM_RSRC2:TRAP_HANDLER: 0
; COMPUTE_PGM_RSRC2:TGID_X_EN: 1
; COMPUTE_PGM_RSRC2:TGID_Y_EN: 0
; COMPUTE_PGM_RSRC2:TGID_Z_EN: 0
; COMPUTE_PGM_RSRC2:TIDIG_COMP_CNT: 0
	.section	.text._ZN7rocprim17ROCPRIM_400000_NS6detail17trampoline_kernelINS0_14default_configENS1_25partition_config_selectorILNS1_17partition_subalgoE8EiNS0_10empty_typeEbEEZZNS1_14partition_implILS5_8ELb0ES3_jPKiPS6_PKS6_NS0_5tupleIJPiS6_EEENSE_IJSB_SB_EEENS0_18inequality_wrapperIN6hipcub16HIPCUB_304000_NS8EqualityEEEPlJS6_EEE10hipError_tPvRmT3_T4_T5_T6_T7_T9_mT8_P12ihipStream_tbDpT10_ENKUlT_T0_E_clISt17integral_constantIbLb0EES16_IbLb1EEEEDaS12_S13_EUlS12_E_NS1_11comp_targetILNS1_3genE5ELNS1_11target_archE942ELNS1_3gpuE9ELNS1_3repE0EEENS1_30default_config_static_selectorELNS0_4arch9wavefront6targetE0EEEvT1_,"axG",@progbits,_ZN7rocprim17ROCPRIM_400000_NS6detail17trampoline_kernelINS0_14default_configENS1_25partition_config_selectorILNS1_17partition_subalgoE8EiNS0_10empty_typeEbEEZZNS1_14partition_implILS5_8ELb0ES3_jPKiPS6_PKS6_NS0_5tupleIJPiS6_EEENSE_IJSB_SB_EEENS0_18inequality_wrapperIN6hipcub16HIPCUB_304000_NS8EqualityEEEPlJS6_EEE10hipError_tPvRmT3_T4_T5_T6_T7_T9_mT8_P12ihipStream_tbDpT10_ENKUlT_T0_E_clISt17integral_constantIbLb0EES16_IbLb1EEEEDaS12_S13_EUlS12_E_NS1_11comp_targetILNS1_3genE5ELNS1_11target_archE942ELNS1_3gpuE9ELNS1_3repE0EEENS1_30default_config_static_selectorELNS0_4arch9wavefront6targetE0EEEvT1_,comdat
	.protected	_ZN7rocprim17ROCPRIM_400000_NS6detail17trampoline_kernelINS0_14default_configENS1_25partition_config_selectorILNS1_17partition_subalgoE8EiNS0_10empty_typeEbEEZZNS1_14partition_implILS5_8ELb0ES3_jPKiPS6_PKS6_NS0_5tupleIJPiS6_EEENSE_IJSB_SB_EEENS0_18inequality_wrapperIN6hipcub16HIPCUB_304000_NS8EqualityEEEPlJS6_EEE10hipError_tPvRmT3_T4_T5_T6_T7_T9_mT8_P12ihipStream_tbDpT10_ENKUlT_T0_E_clISt17integral_constantIbLb0EES16_IbLb1EEEEDaS12_S13_EUlS12_E_NS1_11comp_targetILNS1_3genE5ELNS1_11target_archE942ELNS1_3gpuE9ELNS1_3repE0EEENS1_30default_config_static_selectorELNS0_4arch9wavefront6targetE0EEEvT1_ ; -- Begin function _ZN7rocprim17ROCPRIM_400000_NS6detail17trampoline_kernelINS0_14default_configENS1_25partition_config_selectorILNS1_17partition_subalgoE8EiNS0_10empty_typeEbEEZZNS1_14partition_implILS5_8ELb0ES3_jPKiPS6_PKS6_NS0_5tupleIJPiS6_EEENSE_IJSB_SB_EEENS0_18inequality_wrapperIN6hipcub16HIPCUB_304000_NS8EqualityEEEPlJS6_EEE10hipError_tPvRmT3_T4_T5_T6_T7_T9_mT8_P12ihipStream_tbDpT10_ENKUlT_T0_E_clISt17integral_constantIbLb0EES16_IbLb1EEEEDaS12_S13_EUlS12_E_NS1_11comp_targetILNS1_3genE5ELNS1_11target_archE942ELNS1_3gpuE9ELNS1_3repE0EEENS1_30default_config_static_selectorELNS0_4arch9wavefront6targetE0EEEvT1_
	.globl	_ZN7rocprim17ROCPRIM_400000_NS6detail17trampoline_kernelINS0_14default_configENS1_25partition_config_selectorILNS1_17partition_subalgoE8EiNS0_10empty_typeEbEEZZNS1_14partition_implILS5_8ELb0ES3_jPKiPS6_PKS6_NS0_5tupleIJPiS6_EEENSE_IJSB_SB_EEENS0_18inequality_wrapperIN6hipcub16HIPCUB_304000_NS8EqualityEEEPlJS6_EEE10hipError_tPvRmT3_T4_T5_T6_T7_T9_mT8_P12ihipStream_tbDpT10_ENKUlT_T0_E_clISt17integral_constantIbLb0EES16_IbLb1EEEEDaS12_S13_EUlS12_E_NS1_11comp_targetILNS1_3genE5ELNS1_11target_archE942ELNS1_3gpuE9ELNS1_3repE0EEENS1_30default_config_static_selectorELNS0_4arch9wavefront6targetE0EEEvT1_
	.p2align	8
	.type	_ZN7rocprim17ROCPRIM_400000_NS6detail17trampoline_kernelINS0_14default_configENS1_25partition_config_selectorILNS1_17partition_subalgoE8EiNS0_10empty_typeEbEEZZNS1_14partition_implILS5_8ELb0ES3_jPKiPS6_PKS6_NS0_5tupleIJPiS6_EEENSE_IJSB_SB_EEENS0_18inequality_wrapperIN6hipcub16HIPCUB_304000_NS8EqualityEEEPlJS6_EEE10hipError_tPvRmT3_T4_T5_T6_T7_T9_mT8_P12ihipStream_tbDpT10_ENKUlT_T0_E_clISt17integral_constantIbLb0EES16_IbLb1EEEEDaS12_S13_EUlS12_E_NS1_11comp_targetILNS1_3genE5ELNS1_11target_archE942ELNS1_3gpuE9ELNS1_3repE0EEENS1_30default_config_static_selectorELNS0_4arch9wavefront6targetE0EEEvT1_,@function
_ZN7rocprim17ROCPRIM_400000_NS6detail17trampoline_kernelINS0_14default_configENS1_25partition_config_selectorILNS1_17partition_subalgoE8EiNS0_10empty_typeEbEEZZNS1_14partition_implILS5_8ELb0ES3_jPKiPS6_PKS6_NS0_5tupleIJPiS6_EEENSE_IJSB_SB_EEENS0_18inequality_wrapperIN6hipcub16HIPCUB_304000_NS8EqualityEEEPlJS6_EEE10hipError_tPvRmT3_T4_T5_T6_T7_T9_mT8_P12ihipStream_tbDpT10_ENKUlT_T0_E_clISt17integral_constantIbLb0EES16_IbLb1EEEEDaS12_S13_EUlS12_E_NS1_11comp_targetILNS1_3genE5ELNS1_11target_archE942ELNS1_3gpuE9ELNS1_3repE0EEENS1_30default_config_static_selectorELNS0_4arch9wavefront6targetE0EEEvT1_: ; @_ZN7rocprim17ROCPRIM_400000_NS6detail17trampoline_kernelINS0_14default_configENS1_25partition_config_selectorILNS1_17partition_subalgoE8EiNS0_10empty_typeEbEEZZNS1_14partition_implILS5_8ELb0ES3_jPKiPS6_PKS6_NS0_5tupleIJPiS6_EEENSE_IJSB_SB_EEENS0_18inequality_wrapperIN6hipcub16HIPCUB_304000_NS8EqualityEEEPlJS6_EEE10hipError_tPvRmT3_T4_T5_T6_T7_T9_mT8_P12ihipStream_tbDpT10_ENKUlT_T0_E_clISt17integral_constantIbLb0EES16_IbLb1EEEEDaS12_S13_EUlS12_E_NS1_11comp_targetILNS1_3genE5ELNS1_11target_archE942ELNS1_3gpuE9ELNS1_3repE0EEENS1_30default_config_static_selectorELNS0_4arch9wavefront6targetE0EEEvT1_
; %bb.0:
	.section	.rodata,"a",@progbits
	.p2align	6, 0x0
	.amdhsa_kernel _ZN7rocprim17ROCPRIM_400000_NS6detail17trampoline_kernelINS0_14default_configENS1_25partition_config_selectorILNS1_17partition_subalgoE8EiNS0_10empty_typeEbEEZZNS1_14partition_implILS5_8ELb0ES3_jPKiPS6_PKS6_NS0_5tupleIJPiS6_EEENSE_IJSB_SB_EEENS0_18inequality_wrapperIN6hipcub16HIPCUB_304000_NS8EqualityEEEPlJS6_EEE10hipError_tPvRmT3_T4_T5_T6_T7_T9_mT8_P12ihipStream_tbDpT10_ENKUlT_T0_E_clISt17integral_constantIbLb0EES16_IbLb1EEEEDaS12_S13_EUlS12_E_NS1_11comp_targetILNS1_3genE5ELNS1_11target_archE942ELNS1_3gpuE9ELNS1_3repE0EEENS1_30default_config_static_selectorELNS0_4arch9wavefront6targetE0EEEvT1_
		.amdhsa_group_segment_fixed_size 0
		.amdhsa_private_segment_fixed_size 0
		.amdhsa_kernarg_size 128
		.amdhsa_user_sgpr_count 2
		.amdhsa_user_sgpr_dispatch_ptr 0
		.amdhsa_user_sgpr_queue_ptr 0
		.amdhsa_user_sgpr_kernarg_segment_ptr 1
		.amdhsa_user_sgpr_dispatch_id 0
		.amdhsa_user_sgpr_kernarg_preload_length 0
		.amdhsa_user_sgpr_kernarg_preload_offset 0
		.amdhsa_user_sgpr_private_segment_size 0
		.amdhsa_wavefront_size32 1
		.amdhsa_uses_dynamic_stack 0
		.amdhsa_enable_private_segment 0
		.amdhsa_system_sgpr_workgroup_id_x 1
		.amdhsa_system_sgpr_workgroup_id_y 0
		.amdhsa_system_sgpr_workgroup_id_z 0
		.amdhsa_system_sgpr_workgroup_info 0
		.amdhsa_system_vgpr_workitem_id 0
		.amdhsa_next_free_vgpr 1
		.amdhsa_next_free_sgpr 1
		.amdhsa_named_barrier_count 0
		.amdhsa_reserve_vcc 0
		.amdhsa_float_round_mode_32 0
		.amdhsa_float_round_mode_16_64 0
		.amdhsa_float_denorm_mode_32 3
		.amdhsa_float_denorm_mode_16_64 3
		.amdhsa_fp16_overflow 0
		.amdhsa_memory_ordered 1
		.amdhsa_forward_progress 1
		.amdhsa_inst_pref_size 0
		.amdhsa_round_robin_scheduling 0
		.amdhsa_exception_fp_ieee_invalid_op 0
		.amdhsa_exception_fp_denorm_src 0
		.amdhsa_exception_fp_ieee_div_zero 0
		.amdhsa_exception_fp_ieee_overflow 0
		.amdhsa_exception_fp_ieee_underflow 0
		.amdhsa_exception_fp_ieee_inexact 0
		.amdhsa_exception_int_div_zero 0
	.end_amdhsa_kernel
	.section	.text._ZN7rocprim17ROCPRIM_400000_NS6detail17trampoline_kernelINS0_14default_configENS1_25partition_config_selectorILNS1_17partition_subalgoE8EiNS0_10empty_typeEbEEZZNS1_14partition_implILS5_8ELb0ES3_jPKiPS6_PKS6_NS0_5tupleIJPiS6_EEENSE_IJSB_SB_EEENS0_18inequality_wrapperIN6hipcub16HIPCUB_304000_NS8EqualityEEEPlJS6_EEE10hipError_tPvRmT3_T4_T5_T6_T7_T9_mT8_P12ihipStream_tbDpT10_ENKUlT_T0_E_clISt17integral_constantIbLb0EES16_IbLb1EEEEDaS12_S13_EUlS12_E_NS1_11comp_targetILNS1_3genE5ELNS1_11target_archE942ELNS1_3gpuE9ELNS1_3repE0EEENS1_30default_config_static_selectorELNS0_4arch9wavefront6targetE0EEEvT1_,"axG",@progbits,_ZN7rocprim17ROCPRIM_400000_NS6detail17trampoline_kernelINS0_14default_configENS1_25partition_config_selectorILNS1_17partition_subalgoE8EiNS0_10empty_typeEbEEZZNS1_14partition_implILS5_8ELb0ES3_jPKiPS6_PKS6_NS0_5tupleIJPiS6_EEENSE_IJSB_SB_EEENS0_18inequality_wrapperIN6hipcub16HIPCUB_304000_NS8EqualityEEEPlJS6_EEE10hipError_tPvRmT3_T4_T5_T6_T7_T9_mT8_P12ihipStream_tbDpT10_ENKUlT_T0_E_clISt17integral_constantIbLb0EES16_IbLb1EEEEDaS12_S13_EUlS12_E_NS1_11comp_targetILNS1_3genE5ELNS1_11target_archE942ELNS1_3gpuE9ELNS1_3repE0EEENS1_30default_config_static_selectorELNS0_4arch9wavefront6targetE0EEEvT1_,comdat
.Lfunc_end214:
	.size	_ZN7rocprim17ROCPRIM_400000_NS6detail17trampoline_kernelINS0_14default_configENS1_25partition_config_selectorILNS1_17partition_subalgoE8EiNS0_10empty_typeEbEEZZNS1_14partition_implILS5_8ELb0ES3_jPKiPS6_PKS6_NS0_5tupleIJPiS6_EEENSE_IJSB_SB_EEENS0_18inequality_wrapperIN6hipcub16HIPCUB_304000_NS8EqualityEEEPlJS6_EEE10hipError_tPvRmT3_T4_T5_T6_T7_T9_mT8_P12ihipStream_tbDpT10_ENKUlT_T0_E_clISt17integral_constantIbLb0EES16_IbLb1EEEEDaS12_S13_EUlS12_E_NS1_11comp_targetILNS1_3genE5ELNS1_11target_archE942ELNS1_3gpuE9ELNS1_3repE0EEENS1_30default_config_static_selectorELNS0_4arch9wavefront6targetE0EEEvT1_, .Lfunc_end214-_ZN7rocprim17ROCPRIM_400000_NS6detail17trampoline_kernelINS0_14default_configENS1_25partition_config_selectorILNS1_17partition_subalgoE8EiNS0_10empty_typeEbEEZZNS1_14partition_implILS5_8ELb0ES3_jPKiPS6_PKS6_NS0_5tupleIJPiS6_EEENSE_IJSB_SB_EEENS0_18inequality_wrapperIN6hipcub16HIPCUB_304000_NS8EqualityEEEPlJS6_EEE10hipError_tPvRmT3_T4_T5_T6_T7_T9_mT8_P12ihipStream_tbDpT10_ENKUlT_T0_E_clISt17integral_constantIbLb0EES16_IbLb1EEEEDaS12_S13_EUlS12_E_NS1_11comp_targetILNS1_3genE5ELNS1_11target_archE942ELNS1_3gpuE9ELNS1_3repE0EEENS1_30default_config_static_selectorELNS0_4arch9wavefront6targetE0EEEvT1_
                                        ; -- End function
	.set _ZN7rocprim17ROCPRIM_400000_NS6detail17trampoline_kernelINS0_14default_configENS1_25partition_config_selectorILNS1_17partition_subalgoE8EiNS0_10empty_typeEbEEZZNS1_14partition_implILS5_8ELb0ES3_jPKiPS6_PKS6_NS0_5tupleIJPiS6_EEENSE_IJSB_SB_EEENS0_18inequality_wrapperIN6hipcub16HIPCUB_304000_NS8EqualityEEEPlJS6_EEE10hipError_tPvRmT3_T4_T5_T6_T7_T9_mT8_P12ihipStream_tbDpT10_ENKUlT_T0_E_clISt17integral_constantIbLb0EES16_IbLb1EEEEDaS12_S13_EUlS12_E_NS1_11comp_targetILNS1_3genE5ELNS1_11target_archE942ELNS1_3gpuE9ELNS1_3repE0EEENS1_30default_config_static_selectorELNS0_4arch9wavefront6targetE0EEEvT1_.num_vgpr, 0
	.set _ZN7rocprim17ROCPRIM_400000_NS6detail17trampoline_kernelINS0_14default_configENS1_25partition_config_selectorILNS1_17partition_subalgoE8EiNS0_10empty_typeEbEEZZNS1_14partition_implILS5_8ELb0ES3_jPKiPS6_PKS6_NS0_5tupleIJPiS6_EEENSE_IJSB_SB_EEENS0_18inequality_wrapperIN6hipcub16HIPCUB_304000_NS8EqualityEEEPlJS6_EEE10hipError_tPvRmT3_T4_T5_T6_T7_T9_mT8_P12ihipStream_tbDpT10_ENKUlT_T0_E_clISt17integral_constantIbLb0EES16_IbLb1EEEEDaS12_S13_EUlS12_E_NS1_11comp_targetILNS1_3genE5ELNS1_11target_archE942ELNS1_3gpuE9ELNS1_3repE0EEENS1_30default_config_static_selectorELNS0_4arch9wavefront6targetE0EEEvT1_.num_agpr, 0
	.set _ZN7rocprim17ROCPRIM_400000_NS6detail17trampoline_kernelINS0_14default_configENS1_25partition_config_selectorILNS1_17partition_subalgoE8EiNS0_10empty_typeEbEEZZNS1_14partition_implILS5_8ELb0ES3_jPKiPS6_PKS6_NS0_5tupleIJPiS6_EEENSE_IJSB_SB_EEENS0_18inequality_wrapperIN6hipcub16HIPCUB_304000_NS8EqualityEEEPlJS6_EEE10hipError_tPvRmT3_T4_T5_T6_T7_T9_mT8_P12ihipStream_tbDpT10_ENKUlT_T0_E_clISt17integral_constantIbLb0EES16_IbLb1EEEEDaS12_S13_EUlS12_E_NS1_11comp_targetILNS1_3genE5ELNS1_11target_archE942ELNS1_3gpuE9ELNS1_3repE0EEENS1_30default_config_static_selectorELNS0_4arch9wavefront6targetE0EEEvT1_.numbered_sgpr, 0
	.set _ZN7rocprim17ROCPRIM_400000_NS6detail17trampoline_kernelINS0_14default_configENS1_25partition_config_selectorILNS1_17partition_subalgoE8EiNS0_10empty_typeEbEEZZNS1_14partition_implILS5_8ELb0ES3_jPKiPS6_PKS6_NS0_5tupleIJPiS6_EEENSE_IJSB_SB_EEENS0_18inequality_wrapperIN6hipcub16HIPCUB_304000_NS8EqualityEEEPlJS6_EEE10hipError_tPvRmT3_T4_T5_T6_T7_T9_mT8_P12ihipStream_tbDpT10_ENKUlT_T0_E_clISt17integral_constantIbLb0EES16_IbLb1EEEEDaS12_S13_EUlS12_E_NS1_11comp_targetILNS1_3genE5ELNS1_11target_archE942ELNS1_3gpuE9ELNS1_3repE0EEENS1_30default_config_static_selectorELNS0_4arch9wavefront6targetE0EEEvT1_.num_named_barrier, 0
	.set _ZN7rocprim17ROCPRIM_400000_NS6detail17trampoline_kernelINS0_14default_configENS1_25partition_config_selectorILNS1_17partition_subalgoE8EiNS0_10empty_typeEbEEZZNS1_14partition_implILS5_8ELb0ES3_jPKiPS6_PKS6_NS0_5tupleIJPiS6_EEENSE_IJSB_SB_EEENS0_18inequality_wrapperIN6hipcub16HIPCUB_304000_NS8EqualityEEEPlJS6_EEE10hipError_tPvRmT3_T4_T5_T6_T7_T9_mT8_P12ihipStream_tbDpT10_ENKUlT_T0_E_clISt17integral_constantIbLb0EES16_IbLb1EEEEDaS12_S13_EUlS12_E_NS1_11comp_targetILNS1_3genE5ELNS1_11target_archE942ELNS1_3gpuE9ELNS1_3repE0EEENS1_30default_config_static_selectorELNS0_4arch9wavefront6targetE0EEEvT1_.private_seg_size, 0
	.set _ZN7rocprim17ROCPRIM_400000_NS6detail17trampoline_kernelINS0_14default_configENS1_25partition_config_selectorILNS1_17partition_subalgoE8EiNS0_10empty_typeEbEEZZNS1_14partition_implILS5_8ELb0ES3_jPKiPS6_PKS6_NS0_5tupleIJPiS6_EEENSE_IJSB_SB_EEENS0_18inequality_wrapperIN6hipcub16HIPCUB_304000_NS8EqualityEEEPlJS6_EEE10hipError_tPvRmT3_T4_T5_T6_T7_T9_mT8_P12ihipStream_tbDpT10_ENKUlT_T0_E_clISt17integral_constantIbLb0EES16_IbLb1EEEEDaS12_S13_EUlS12_E_NS1_11comp_targetILNS1_3genE5ELNS1_11target_archE942ELNS1_3gpuE9ELNS1_3repE0EEENS1_30default_config_static_selectorELNS0_4arch9wavefront6targetE0EEEvT1_.uses_vcc, 0
	.set _ZN7rocprim17ROCPRIM_400000_NS6detail17trampoline_kernelINS0_14default_configENS1_25partition_config_selectorILNS1_17partition_subalgoE8EiNS0_10empty_typeEbEEZZNS1_14partition_implILS5_8ELb0ES3_jPKiPS6_PKS6_NS0_5tupleIJPiS6_EEENSE_IJSB_SB_EEENS0_18inequality_wrapperIN6hipcub16HIPCUB_304000_NS8EqualityEEEPlJS6_EEE10hipError_tPvRmT3_T4_T5_T6_T7_T9_mT8_P12ihipStream_tbDpT10_ENKUlT_T0_E_clISt17integral_constantIbLb0EES16_IbLb1EEEEDaS12_S13_EUlS12_E_NS1_11comp_targetILNS1_3genE5ELNS1_11target_archE942ELNS1_3gpuE9ELNS1_3repE0EEENS1_30default_config_static_selectorELNS0_4arch9wavefront6targetE0EEEvT1_.uses_flat_scratch, 0
	.set _ZN7rocprim17ROCPRIM_400000_NS6detail17trampoline_kernelINS0_14default_configENS1_25partition_config_selectorILNS1_17partition_subalgoE8EiNS0_10empty_typeEbEEZZNS1_14partition_implILS5_8ELb0ES3_jPKiPS6_PKS6_NS0_5tupleIJPiS6_EEENSE_IJSB_SB_EEENS0_18inequality_wrapperIN6hipcub16HIPCUB_304000_NS8EqualityEEEPlJS6_EEE10hipError_tPvRmT3_T4_T5_T6_T7_T9_mT8_P12ihipStream_tbDpT10_ENKUlT_T0_E_clISt17integral_constantIbLb0EES16_IbLb1EEEEDaS12_S13_EUlS12_E_NS1_11comp_targetILNS1_3genE5ELNS1_11target_archE942ELNS1_3gpuE9ELNS1_3repE0EEENS1_30default_config_static_selectorELNS0_4arch9wavefront6targetE0EEEvT1_.has_dyn_sized_stack, 0
	.set _ZN7rocprim17ROCPRIM_400000_NS6detail17trampoline_kernelINS0_14default_configENS1_25partition_config_selectorILNS1_17partition_subalgoE8EiNS0_10empty_typeEbEEZZNS1_14partition_implILS5_8ELb0ES3_jPKiPS6_PKS6_NS0_5tupleIJPiS6_EEENSE_IJSB_SB_EEENS0_18inequality_wrapperIN6hipcub16HIPCUB_304000_NS8EqualityEEEPlJS6_EEE10hipError_tPvRmT3_T4_T5_T6_T7_T9_mT8_P12ihipStream_tbDpT10_ENKUlT_T0_E_clISt17integral_constantIbLb0EES16_IbLb1EEEEDaS12_S13_EUlS12_E_NS1_11comp_targetILNS1_3genE5ELNS1_11target_archE942ELNS1_3gpuE9ELNS1_3repE0EEENS1_30default_config_static_selectorELNS0_4arch9wavefront6targetE0EEEvT1_.has_recursion, 0
	.set _ZN7rocprim17ROCPRIM_400000_NS6detail17trampoline_kernelINS0_14default_configENS1_25partition_config_selectorILNS1_17partition_subalgoE8EiNS0_10empty_typeEbEEZZNS1_14partition_implILS5_8ELb0ES3_jPKiPS6_PKS6_NS0_5tupleIJPiS6_EEENSE_IJSB_SB_EEENS0_18inequality_wrapperIN6hipcub16HIPCUB_304000_NS8EqualityEEEPlJS6_EEE10hipError_tPvRmT3_T4_T5_T6_T7_T9_mT8_P12ihipStream_tbDpT10_ENKUlT_T0_E_clISt17integral_constantIbLb0EES16_IbLb1EEEEDaS12_S13_EUlS12_E_NS1_11comp_targetILNS1_3genE5ELNS1_11target_archE942ELNS1_3gpuE9ELNS1_3repE0EEENS1_30default_config_static_selectorELNS0_4arch9wavefront6targetE0EEEvT1_.has_indirect_call, 0
	.section	.AMDGPU.csdata,"",@progbits
; Kernel info:
; codeLenInByte = 0
; TotalNumSgprs: 0
; NumVgprs: 0
; ScratchSize: 0
; MemoryBound: 0
; FloatMode: 240
; IeeeMode: 1
; LDSByteSize: 0 bytes/workgroup (compile time only)
; SGPRBlocks: 0
; VGPRBlocks: 0
; NumSGPRsForWavesPerEU: 1
; NumVGPRsForWavesPerEU: 1
; NamedBarCnt: 0
; Occupancy: 16
; WaveLimiterHint : 0
; COMPUTE_PGM_RSRC2:SCRATCH_EN: 0
; COMPUTE_PGM_RSRC2:USER_SGPR: 2
; COMPUTE_PGM_RSRC2:TRAP_HANDLER: 0
; COMPUTE_PGM_RSRC2:TGID_X_EN: 1
; COMPUTE_PGM_RSRC2:TGID_Y_EN: 0
; COMPUTE_PGM_RSRC2:TGID_Z_EN: 0
; COMPUTE_PGM_RSRC2:TIDIG_COMP_CNT: 0
	.section	.text._ZN7rocprim17ROCPRIM_400000_NS6detail17trampoline_kernelINS0_14default_configENS1_25partition_config_selectorILNS1_17partition_subalgoE8EiNS0_10empty_typeEbEEZZNS1_14partition_implILS5_8ELb0ES3_jPKiPS6_PKS6_NS0_5tupleIJPiS6_EEENSE_IJSB_SB_EEENS0_18inequality_wrapperIN6hipcub16HIPCUB_304000_NS8EqualityEEEPlJS6_EEE10hipError_tPvRmT3_T4_T5_T6_T7_T9_mT8_P12ihipStream_tbDpT10_ENKUlT_T0_E_clISt17integral_constantIbLb0EES16_IbLb1EEEEDaS12_S13_EUlS12_E_NS1_11comp_targetILNS1_3genE4ELNS1_11target_archE910ELNS1_3gpuE8ELNS1_3repE0EEENS1_30default_config_static_selectorELNS0_4arch9wavefront6targetE0EEEvT1_,"axG",@progbits,_ZN7rocprim17ROCPRIM_400000_NS6detail17trampoline_kernelINS0_14default_configENS1_25partition_config_selectorILNS1_17partition_subalgoE8EiNS0_10empty_typeEbEEZZNS1_14partition_implILS5_8ELb0ES3_jPKiPS6_PKS6_NS0_5tupleIJPiS6_EEENSE_IJSB_SB_EEENS0_18inequality_wrapperIN6hipcub16HIPCUB_304000_NS8EqualityEEEPlJS6_EEE10hipError_tPvRmT3_T4_T5_T6_T7_T9_mT8_P12ihipStream_tbDpT10_ENKUlT_T0_E_clISt17integral_constantIbLb0EES16_IbLb1EEEEDaS12_S13_EUlS12_E_NS1_11comp_targetILNS1_3genE4ELNS1_11target_archE910ELNS1_3gpuE8ELNS1_3repE0EEENS1_30default_config_static_selectorELNS0_4arch9wavefront6targetE0EEEvT1_,comdat
	.protected	_ZN7rocprim17ROCPRIM_400000_NS6detail17trampoline_kernelINS0_14default_configENS1_25partition_config_selectorILNS1_17partition_subalgoE8EiNS0_10empty_typeEbEEZZNS1_14partition_implILS5_8ELb0ES3_jPKiPS6_PKS6_NS0_5tupleIJPiS6_EEENSE_IJSB_SB_EEENS0_18inequality_wrapperIN6hipcub16HIPCUB_304000_NS8EqualityEEEPlJS6_EEE10hipError_tPvRmT3_T4_T5_T6_T7_T9_mT8_P12ihipStream_tbDpT10_ENKUlT_T0_E_clISt17integral_constantIbLb0EES16_IbLb1EEEEDaS12_S13_EUlS12_E_NS1_11comp_targetILNS1_3genE4ELNS1_11target_archE910ELNS1_3gpuE8ELNS1_3repE0EEENS1_30default_config_static_selectorELNS0_4arch9wavefront6targetE0EEEvT1_ ; -- Begin function _ZN7rocprim17ROCPRIM_400000_NS6detail17trampoline_kernelINS0_14default_configENS1_25partition_config_selectorILNS1_17partition_subalgoE8EiNS0_10empty_typeEbEEZZNS1_14partition_implILS5_8ELb0ES3_jPKiPS6_PKS6_NS0_5tupleIJPiS6_EEENSE_IJSB_SB_EEENS0_18inequality_wrapperIN6hipcub16HIPCUB_304000_NS8EqualityEEEPlJS6_EEE10hipError_tPvRmT3_T4_T5_T6_T7_T9_mT8_P12ihipStream_tbDpT10_ENKUlT_T0_E_clISt17integral_constantIbLb0EES16_IbLb1EEEEDaS12_S13_EUlS12_E_NS1_11comp_targetILNS1_3genE4ELNS1_11target_archE910ELNS1_3gpuE8ELNS1_3repE0EEENS1_30default_config_static_selectorELNS0_4arch9wavefront6targetE0EEEvT1_
	.globl	_ZN7rocprim17ROCPRIM_400000_NS6detail17trampoline_kernelINS0_14default_configENS1_25partition_config_selectorILNS1_17partition_subalgoE8EiNS0_10empty_typeEbEEZZNS1_14partition_implILS5_8ELb0ES3_jPKiPS6_PKS6_NS0_5tupleIJPiS6_EEENSE_IJSB_SB_EEENS0_18inequality_wrapperIN6hipcub16HIPCUB_304000_NS8EqualityEEEPlJS6_EEE10hipError_tPvRmT3_T4_T5_T6_T7_T9_mT8_P12ihipStream_tbDpT10_ENKUlT_T0_E_clISt17integral_constantIbLb0EES16_IbLb1EEEEDaS12_S13_EUlS12_E_NS1_11comp_targetILNS1_3genE4ELNS1_11target_archE910ELNS1_3gpuE8ELNS1_3repE0EEENS1_30default_config_static_selectorELNS0_4arch9wavefront6targetE0EEEvT1_
	.p2align	8
	.type	_ZN7rocprim17ROCPRIM_400000_NS6detail17trampoline_kernelINS0_14default_configENS1_25partition_config_selectorILNS1_17partition_subalgoE8EiNS0_10empty_typeEbEEZZNS1_14partition_implILS5_8ELb0ES3_jPKiPS6_PKS6_NS0_5tupleIJPiS6_EEENSE_IJSB_SB_EEENS0_18inequality_wrapperIN6hipcub16HIPCUB_304000_NS8EqualityEEEPlJS6_EEE10hipError_tPvRmT3_T4_T5_T6_T7_T9_mT8_P12ihipStream_tbDpT10_ENKUlT_T0_E_clISt17integral_constantIbLb0EES16_IbLb1EEEEDaS12_S13_EUlS12_E_NS1_11comp_targetILNS1_3genE4ELNS1_11target_archE910ELNS1_3gpuE8ELNS1_3repE0EEENS1_30default_config_static_selectorELNS0_4arch9wavefront6targetE0EEEvT1_,@function
_ZN7rocprim17ROCPRIM_400000_NS6detail17trampoline_kernelINS0_14default_configENS1_25partition_config_selectorILNS1_17partition_subalgoE8EiNS0_10empty_typeEbEEZZNS1_14partition_implILS5_8ELb0ES3_jPKiPS6_PKS6_NS0_5tupleIJPiS6_EEENSE_IJSB_SB_EEENS0_18inequality_wrapperIN6hipcub16HIPCUB_304000_NS8EqualityEEEPlJS6_EEE10hipError_tPvRmT3_T4_T5_T6_T7_T9_mT8_P12ihipStream_tbDpT10_ENKUlT_T0_E_clISt17integral_constantIbLb0EES16_IbLb1EEEEDaS12_S13_EUlS12_E_NS1_11comp_targetILNS1_3genE4ELNS1_11target_archE910ELNS1_3gpuE8ELNS1_3repE0EEENS1_30default_config_static_selectorELNS0_4arch9wavefront6targetE0EEEvT1_: ; @_ZN7rocprim17ROCPRIM_400000_NS6detail17trampoline_kernelINS0_14default_configENS1_25partition_config_selectorILNS1_17partition_subalgoE8EiNS0_10empty_typeEbEEZZNS1_14partition_implILS5_8ELb0ES3_jPKiPS6_PKS6_NS0_5tupleIJPiS6_EEENSE_IJSB_SB_EEENS0_18inequality_wrapperIN6hipcub16HIPCUB_304000_NS8EqualityEEEPlJS6_EEE10hipError_tPvRmT3_T4_T5_T6_T7_T9_mT8_P12ihipStream_tbDpT10_ENKUlT_T0_E_clISt17integral_constantIbLb0EES16_IbLb1EEEEDaS12_S13_EUlS12_E_NS1_11comp_targetILNS1_3genE4ELNS1_11target_archE910ELNS1_3gpuE8ELNS1_3repE0EEENS1_30default_config_static_selectorELNS0_4arch9wavefront6targetE0EEEvT1_
; %bb.0:
	.section	.rodata,"a",@progbits
	.p2align	6, 0x0
	.amdhsa_kernel _ZN7rocprim17ROCPRIM_400000_NS6detail17trampoline_kernelINS0_14default_configENS1_25partition_config_selectorILNS1_17partition_subalgoE8EiNS0_10empty_typeEbEEZZNS1_14partition_implILS5_8ELb0ES3_jPKiPS6_PKS6_NS0_5tupleIJPiS6_EEENSE_IJSB_SB_EEENS0_18inequality_wrapperIN6hipcub16HIPCUB_304000_NS8EqualityEEEPlJS6_EEE10hipError_tPvRmT3_T4_T5_T6_T7_T9_mT8_P12ihipStream_tbDpT10_ENKUlT_T0_E_clISt17integral_constantIbLb0EES16_IbLb1EEEEDaS12_S13_EUlS12_E_NS1_11comp_targetILNS1_3genE4ELNS1_11target_archE910ELNS1_3gpuE8ELNS1_3repE0EEENS1_30default_config_static_selectorELNS0_4arch9wavefront6targetE0EEEvT1_
		.amdhsa_group_segment_fixed_size 0
		.amdhsa_private_segment_fixed_size 0
		.amdhsa_kernarg_size 128
		.amdhsa_user_sgpr_count 2
		.amdhsa_user_sgpr_dispatch_ptr 0
		.amdhsa_user_sgpr_queue_ptr 0
		.amdhsa_user_sgpr_kernarg_segment_ptr 1
		.amdhsa_user_sgpr_dispatch_id 0
		.amdhsa_user_sgpr_kernarg_preload_length 0
		.amdhsa_user_sgpr_kernarg_preload_offset 0
		.amdhsa_user_sgpr_private_segment_size 0
		.amdhsa_wavefront_size32 1
		.amdhsa_uses_dynamic_stack 0
		.amdhsa_enable_private_segment 0
		.amdhsa_system_sgpr_workgroup_id_x 1
		.amdhsa_system_sgpr_workgroup_id_y 0
		.amdhsa_system_sgpr_workgroup_id_z 0
		.amdhsa_system_sgpr_workgroup_info 0
		.amdhsa_system_vgpr_workitem_id 0
		.amdhsa_next_free_vgpr 1
		.amdhsa_next_free_sgpr 1
		.amdhsa_named_barrier_count 0
		.amdhsa_reserve_vcc 0
		.amdhsa_float_round_mode_32 0
		.amdhsa_float_round_mode_16_64 0
		.amdhsa_float_denorm_mode_32 3
		.amdhsa_float_denorm_mode_16_64 3
		.amdhsa_fp16_overflow 0
		.amdhsa_memory_ordered 1
		.amdhsa_forward_progress 1
		.amdhsa_inst_pref_size 0
		.amdhsa_round_robin_scheduling 0
		.amdhsa_exception_fp_ieee_invalid_op 0
		.amdhsa_exception_fp_denorm_src 0
		.amdhsa_exception_fp_ieee_div_zero 0
		.amdhsa_exception_fp_ieee_overflow 0
		.amdhsa_exception_fp_ieee_underflow 0
		.amdhsa_exception_fp_ieee_inexact 0
		.amdhsa_exception_int_div_zero 0
	.end_amdhsa_kernel
	.section	.text._ZN7rocprim17ROCPRIM_400000_NS6detail17trampoline_kernelINS0_14default_configENS1_25partition_config_selectorILNS1_17partition_subalgoE8EiNS0_10empty_typeEbEEZZNS1_14partition_implILS5_8ELb0ES3_jPKiPS6_PKS6_NS0_5tupleIJPiS6_EEENSE_IJSB_SB_EEENS0_18inequality_wrapperIN6hipcub16HIPCUB_304000_NS8EqualityEEEPlJS6_EEE10hipError_tPvRmT3_T4_T5_T6_T7_T9_mT8_P12ihipStream_tbDpT10_ENKUlT_T0_E_clISt17integral_constantIbLb0EES16_IbLb1EEEEDaS12_S13_EUlS12_E_NS1_11comp_targetILNS1_3genE4ELNS1_11target_archE910ELNS1_3gpuE8ELNS1_3repE0EEENS1_30default_config_static_selectorELNS0_4arch9wavefront6targetE0EEEvT1_,"axG",@progbits,_ZN7rocprim17ROCPRIM_400000_NS6detail17trampoline_kernelINS0_14default_configENS1_25partition_config_selectorILNS1_17partition_subalgoE8EiNS0_10empty_typeEbEEZZNS1_14partition_implILS5_8ELb0ES3_jPKiPS6_PKS6_NS0_5tupleIJPiS6_EEENSE_IJSB_SB_EEENS0_18inequality_wrapperIN6hipcub16HIPCUB_304000_NS8EqualityEEEPlJS6_EEE10hipError_tPvRmT3_T4_T5_T6_T7_T9_mT8_P12ihipStream_tbDpT10_ENKUlT_T0_E_clISt17integral_constantIbLb0EES16_IbLb1EEEEDaS12_S13_EUlS12_E_NS1_11comp_targetILNS1_3genE4ELNS1_11target_archE910ELNS1_3gpuE8ELNS1_3repE0EEENS1_30default_config_static_selectorELNS0_4arch9wavefront6targetE0EEEvT1_,comdat
.Lfunc_end215:
	.size	_ZN7rocprim17ROCPRIM_400000_NS6detail17trampoline_kernelINS0_14default_configENS1_25partition_config_selectorILNS1_17partition_subalgoE8EiNS0_10empty_typeEbEEZZNS1_14partition_implILS5_8ELb0ES3_jPKiPS6_PKS6_NS0_5tupleIJPiS6_EEENSE_IJSB_SB_EEENS0_18inequality_wrapperIN6hipcub16HIPCUB_304000_NS8EqualityEEEPlJS6_EEE10hipError_tPvRmT3_T4_T5_T6_T7_T9_mT8_P12ihipStream_tbDpT10_ENKUlT_T0_E_clISt17integral_constantIbLb0EES16_IbLb1EEEEDaS12_S13_EUlS12_E_NS1_11comp_targetILNS1_3genE4ELNS1_11target_archE910ELNS1_3gpuE8ELNS1_3repE0EEENS1_30default_config_static_selectorELNS0_4arch9wavefront6targetE0EEEvT1_, .Lfunc_end215-_ZN7rocprim17ROCPRIM_400000_NS6detail17trampoline_kernelINS0_14default_configENS1_25partition_config_selectorILNS1_17partition_subalgoE8EiNS0_10empty_typeEbEEZZNS1_14partition_implILS5_8ELb0ES3_jPKiPS6_PKS6_NS0_5tupleIJPiS6_EEENSE_IJSB_SB_EEENS0_18inequality_wrapperIN6hipcub16HIPCUB_304000_NS8EqualityEEEPlJS6_EEE10hipError_tPvRmT3_T4_T5_T6_T7_T9_mT8_P12ihipStream_tbDpT10_ENKUlT_T0_E_clISt17integral_constantIbLb0EES16_IbLb1EEEEDaS12_S13_EUlS12_E_NS1_11comp_targetILNS1_3genE4ELNS1_11target_archE910ELNS1_3gpuE8ELNS1_3repE0EEENS1_30default_config_static_selectorELNS0_4arch9wavefront6targetE0EEEvT1_
                                        ; -- End function
	.set _ZN7rocprim17ROCPRIM_400000_NS6detail17trampoline_kernelINS0_14default_configENS1_25partition_config_selectorILNS1_17partition_subalgoE8EiNS0_10empty_typeEbEEZZNS1_14partition_implILS5_8ELb0ES3_jPKiPS6_PKS6_NS0_5tupleIJPiS6_EEENSE_IJSB_SB_EEENS0_18inequality_wrapperIN6hipcub16HIPCUB_304000_NS8EqualityEEEPlJS6_EEE10hipError_tPvRmT3_T4_T5_T6_T7_T9_mT8_P12ihipStream_tbDpT10_ENKUlT_T0_E_clISt17integral_constantIbLb0EES16_IbLb1EEEEDaS12_S13_EUlS12_E_NS1_11comp_targetILNS1_3genE4ELNS1_11target_archE910ELNS1_3gpuE8ELNS1_3repE0EEENS1_30default_config_static_selectorELNS0_4arch9wavefront6targetE0EEEvT1_.num_vgpr, 0
	.set _ZN7rocprim17ROCPRIM_400000_NS6detail17trampoline_kernelINS0_14default_configENS1_25partition_config_selectorILNS1_17partition_subalgoE8EiNS0_10empty_typeEbEEZZNS1_14partition_implILS5_8ELb0ES3_jPKiPS6_PKS6_NS0_5tupleIJPiS6_EEENSE_IJSB_SB_EEENS0_18inequality_wrapperIN6hipcub16HIPCUB_304000_NS8EqualityEEEPlJS6_EEE10hipError_tPvRmT3_T4_T5_T6_T7_T9_mT8_P12ihipStream_tbDpT10_ENKUlT_T0_E_clISt17integral_constantIbLb0EES16_IbLb1EEEEDaS12_S13_EUlS12_E_NS1_11comp_targetILNS1_3genE4ELNS1_11target_archE910ELNS1_3gpuE8ELNS1_3repE0EEENS1_30default_config_static_selectorELNS0_4arch9wavefront6targetE0EEEvT1_.num_agpr, 0
	.set _ZN7rocprim17ROCPRIM_400000_NS6detail17trampoline_kernelINS0_14default_configENS1_25partition_config_selectorILNS1_17partition_subalgoE8EiNS0_10empty_typeEbEEZZNS1_14partition_implILS5_8ELb0ES3_jPKiPS6_PKS6_NS0_5tupleIJPiS6_EEENSE_IJSB_SB_EEENS0_18inequality_wrapperIN6hipcub16HIPCUB_304000_NS8EqualityEEEPlJS6_EEE10hipError_tPvRmT3_T4_T5_T6_T7_T9_mT8_P12ihipStream_tbDpT10_ENKUlT_T0_E_clISt17integral_constantIbLb0EES16_IbLb1EEEEDaS12_S13_EUlS12_E_NS1_11comp_targetILNS1_3genE4ELNS1_11target_archE910ELNS1_3gpuE8ELNS1_3repE0EEENS1_30default_config_static_selectorELNS0_4arch9wavefront6targetE0EEEvT1_.numbered_sgpr, 0
	.set _ZN7rocprim17ROCPRIM_400000_NS6detail17trampoline_kernelINS0_14default_configENS1_25partition_config_selectorILNS1_17partition_subalgoE8EiNS0_10empty_typeEbEEZZNS1_14partition_implILS5_8ELb0ES3_jPKiPS6_PKS6_NS0_5tupleIJPiS6_EEENSE_IJSB_SB_EEENS0_18inequality_wrapperIN6hipcub16HIPCUB_304000_NS8EqualityEEEPlJS6_EEE10hipError_tPvRmT3_T4_T5_T6_T7_T9_mT8_P12ihipStream_tbDpT10_ENKUlT_T0_E_clISt17integral_constantIbLb0EES16_IbLb1EEEEDaS12_S13_EUlS12_E_NS1_11comp_targetILNS1_3genE4ELNS1_11target_archE910ELNS1_3gpuE8ELNS1_3repE0EEENS1_30default_config_static_selectorELNS0_4arch9wavefront6targetE0EEEvT1_.num_named_barrier, 0
	.set _ZN7rocprim17ROCPRIM_400000_NS6detail17trampoline_kernelINS0_14default_configENS1_25partition_config_selectorILNS1_17partition_subalgoE8EiNS0_10empty_typeEbEEZZNS1_14partition_implILS5_8ELb0ES3_jPKiPS6_PKS6_NS0_5tupleIJPiS6_EEENSE_IJSB_SB_EEENS0_18inequality_wrapperIN6hipcub16HIPCUB_304000_NS8EqualityEEEPlJS6_EEE10hipError_tPvRmT3_T4_T5_T6_T7_T9_mT8_P12ihipStream_tbDpT10_ENKUlT_T0_E_clISt17integral_constantIbLb0EES16_IbLb1EEEEDaS12_S13_EUlS12_E_NS1_11comp_targetILNS1_3genE4ELNS1_11target_archE910ELNS1_3gpuE8ELNS1_3repE0EEENS1_30default_config_static_selectorELNS0_4arch9wavefront6targetE0EEEvT1_.private_seg_size, 0
	.set _ZN7rocprim17ROCPRIM_400000_NS6detail17trampoline_kernelINS0_14default_configENS1_25partition_config_selectorILNS1_17partition_subalgoE8EiNS0_10empty_typeEbEEZZNS1_14partition_implILS5_8ELb0ES3_jPKiPS6_PKS6_NS0_5tupleIJPiS6_EEENSE_IJSB_SB_EEENS0_18inequality_wrapperIN6hipcub16HIPCUB_304000_NS8EqualityEEEPlJS6_EEE10hipError_tPvRmT3_T4_T5_T6_T7_T9_mT8_P12ihipStream_tbDpT10_ENKUlT_T0_E_clISt17integral_constantIbLb0EES16_IbLb1EEEEDaS12_S13_EUlS12_E_NS1_11comp_targetILNS1_3genE4ELNS1_11target_archE910ELNS1_3gpuE8ELNS1_3repE0EEENS1_30default_config_static_selectorELNS0_4arch9wavefront6targetE0EEEvT1_.uses_vcc, 0
	.set _ZN7rocprim17ROCPRIM_400000_NS6detail17trampoline_kernelINS0_14default_configENS1_25partition_config_selectorILNS1_17partition_subalgoE8EiNS0_10empty_typeEbEEZZNS1_14partition_implILS5_8ELb0ES3_jPKiPS6_PKS6_NS0_5tupleIJPiS6_EEENSE_IJSB_SB_EEENS0_18inequality_wrapperIN6hipcub16HIPCUB_304000_NS8EqualityEEEPlJS6_EEE10hipError_tPvRmT3_T4_T5_T6_T7_T9_mT8_P12ihipStream_tbDpT10_ENKUlT_T0_E_clISt17integral_constantIbLb0EES16_IbLb1EEEEDaS12_S13_EUlS12_E_NS1_11comp_targetILNS1_3genE4ELNS1_11target_archE910ELNS1_3gpuE8ELNS1_3repE0EEENS1_30default_config_static_selectorELNS0_4arch9wavefront6targetE0EEEvT1_.uses_flat_scratch, 0
	.set _ZN7rocprim17ROCPRIM_400000_NS6detail17trampoline_kernelINS0_14default_configENS1_25partition_config_selectorILNS1_17partition_subalgoE8EiNS0_10empty_typeEbEEZZNS1_14partition_implILS5_8ELb0ES3_jPKiPS6_PKS6_NS0_5tupleIJPiS6_EEENSE_IJSB_SB_EEENS0_18inequality_wrapperIN6hipcub16HIPCUB_304000_NS8EqualityEEEPlJS6_EEE10hipError_tPvRmT3_T4_T5_T6_T7_T9_mT8_P12ihipStream_tbDpT10_ENKUlT_T0_E_clISt17integral_constantIbLb0EES16_IbLb1EEEEDaS12_S13_EUlS12_E_NS1_11comp_targetILNS1_3genE4ELNS1_11target_archE910ELNS1_3gpuE8ELNS1_3repE0EEENS1_30default_config_static_selectorELNS0_4arch9wavefront6targetE0EEEvT1_.has_dyn_sized_stack, 0
	.set _ZN7rocprim17ROCPRIM_400000_NS6detail17trampoline_kernelINS0_14default_configENS1_25partition_config_selectorILNS1_17partition_subalgoE8EiNS0_10empty_typeEbEEZZNS1_14partition_implILS5_8ELb0ES3_jPKiPS6_PKS6_NS0_5tupleIJPiS6_EEENSE_IJSB_SB_EEENS0_18inequality_wrapperIN6hipcub16HIPCUB_304000_NS8EqualityEEEPlJS6_EEE10hipError_tPvRmT3_T4_T5_T6_T7_T9_mT8_P12ihipStream_tbDpT10_ENKUlT_T0_E_clISt17integral_constantIbLb0EES16_IbLb1EEEEDaS12_S13_EUlS12_E_NS1_11comp_targetILNS1_3genE4ELNS1_11target_archE910ELNS1_3gpuE8ELNS1_3repE0EEENS1_30default_config_static_selectorELNS0_4arch9wavefront6targetE0EEEvT1_.has_recursion, 0
	.set _ZN7rocprim17ROCPRIM_400000_NS6detail17trampoline_kernelINS0_14default_configENS1_25partition_config_selectorILNS1_17partition_subalgoE8EiNS0_10empty_typeEbEEZZNS1_14partition_implILS5_8ELb0ES3_jPKiPS6_PKS6_NS0_5tupleIJPiS6_EEENSE_IJSB_SB_EEENS0_18inequality_wrapperIN6hipcub16HIPCUB_304000_NS8EqualityEEEPlJS6_EEE10hipError_tPvRmT3_T4_T5_T6_T7_T9_mT8_P12ihipStream_tbDpT10_ENKUlT_T0_E_clISt17integral_constantIbLb0EES16_IbLb1EEEEDaS12_S13_EUlS12_E_NS1_11comp_targetILNS1_3genE4ELNS1_11target_archE910ELNS1_3gpuE8ELNS1_3repE0EEENS1_30default_config_static_selectorELNS0_4arch9wavefront6targetE0EEEvT1_.has_indirect_call, 0
	.section	.AMDGPU.csdata,"",@progbits
; Kernel info:
; codeLenInByte = 0
; TotalNumSgprs: 0
; NumVgprs: 0
; ScratchSize: 0
; MemoryBound: 0
; FloatMode: 240
; IeeeMode: 1
; LDSByteSize: 0 bytes/workgroup (compile time only)
; SGPRBlocks: 0
; VGPRBlocks: 0
; NumSGPRsForWavesPerEU: 1
; NumVGPRsForWavesPerEU: 1
; NamedBarCnt: 0
; Occupancy: 16
; WaveLimiterHint : 0
; COMPUTE_PGM_RSRC2:SCRATCH_EN: 0
; COMPUTE_PGM_RSRC2:USER_SGPR: 2
; COMPUTE_PGM_RSRC2:TRAP_HANDLER: 0
; COMPUTE_PGM_RSRC2:TGID_X_EN: 1
; COMPUTE_PGM_RSRC2:TGID_Y_EN: 0
; COMPUTE_PGM_RSRC2:TGID_Z_EN: 0
; COMPUTE_PGM_RSRC2:TIDIG_COMP_CNT: 0
	.section	.text._ZN7rocprim17ROCPRIM_400000_NS6detail17trampoline_kernelINS0_14default_configENS1_25partition_config_selectorILNS1_17partition_subalgoE8EiNS0_10empty_typeEbEEZZNS1_14partition_implILS5_8ELb0ES3_jPKiPS6_PKS6_NS0_5tupleIJPiS6_EEENSE_IJSB_SB_EEENS0_18inequality_wrapperIN6hipcub16HIPCUB_304000_NS8EqualityEEEPlJS6_EEE10hipError_tPvRmT3_T4_T5_T6_T7_T9_mT8_P12ihipStream_tbDpT10_ENKUlT_T0_E_clISt17integral_constantIbLb0EES16_IbLb1EEEEDaS12_S13_EUlS12_E_NS1_11comp_targetILNS1_3genE3ELNS1_11target_archE908ELNS1_3gpuE7ELNS1_3repE0EEENS1_30default_config_static_selectorELNS0_4arch9wavefront6targetE0EEEvT1_,"axG",@progbits,_ZN7rocprim17ROCPRIM_400000_NS6detail17trampoline_kernelINS0_14default_configENS1_25partition_config_selectorILNS1_17partition_subalgoE8EiNS0_10empty_typeEbEEZZNS1_14partition_implILS5_8ELb0ES3_jPKiPS6_PKS6_NS0_5tupleIJPiS6_EEENSE_IJSB_SB_EEENS0_18inequality_wrapperIN6hipcub16HIPCUB_304000_NS8EqualityEEEPlJS6_EEE10hipError_tPvRmT3_T4_T5_T6_T7_T9_mT8_P12ihipStream_tbDpT10_ENKUlT_T0_E_clISt17integral_constantIbLb0EES16_IbLb1EEEEDaS12_S13_EUlS12_E_NS1_11comp_targetILNS1_3genE3ELNS1_11target_archE908ELNS1_3gpuE7ELNS1_3repE0EEENS1_30default_config_static_selectorELNS0_4arch9wavefront6targetE0EEEvT1_,comdat
	.protected	_ZN7rocprim17ROCPRIM_400000_NS6detail17trampoline_kernelINS0_14default_configENS1_25partition_config_selectorILNS1_17partition_subalgoE8EiNS0_10empty_typeEbEEZZNS1_14partition_implILS5_8ELb0ES3_jPKiPS6_PKS6_NS0_5tupleIJPiS6_EEENSE_IJSB_SB_EEENS0_18inequality_wrapperIN6hipcub16HIPCUB_304000_NS8EqualityEEEPlJS6_EEE10hipError_tPvRmT3_T4_T5_T6_T7_T9_mT8_P12ihipStream_tbDpT10_ENKUlT_T0_E_clISt17integral_constantIbLb0EES16_IbLb1EEEEDaS12_S13_EUlS12_E_NS1_11comp_targetILNS1_3genE3ELNS1_11target_archE908ELNS1_3gpuE7ELNS1_3repE0EEENS1_30default_config_static_selectorELNS0_4arch9wavefront6targetE0EEEvT1_ ; -- Begin function _ZN7rocprim17ROCPRIM_400000_NS6detail17trampoline_kernelINS0_14default_configENS1_25partition_config_selectorILNS1_17partition_subalgoE8EiNS0_10empty_typeEbEEZZNS1_14partition_implILS5_8ELb0ES3_jPKiPS6_PKS6_NS0_5tupleIJPiS6_EEENSE_IJSB_SB_EEENS0_18inequality_wrapperIN6hipcub16HIPCUB_304000_NS8EqualityEEEPlJS6_EEE10hipError_tPvRmT3_T4_T5_T6_T7_T9_mT8_P12ihipStream_tbDpT10_ENKUlT_T0_E_clISt17integral_constantIbLb0EES16_IbLb1EEEEDaS12_S13_EUlS12_E_NS1_11comp_targetILNS1_3genE3ELNS1_11target_archE908ELNS1_3gpuE7ELNS1_3repE0EEENS1_30default_config_static_selectorELNS0_4arch9wavefront6targetE0EEEvT1_
	.globl	_ZN7rocprim17ROCPRIM_400000_NS6detail17trampoline_kernelINS0_14default_configENS1_25partition_config_selectorILNS1_17partition_subalgoE8EiNS0_10empty_typeEbEEZZNS1_14partition_implILS5_8ELb0ES3_jPKiPS6_PKS6_NS0_5tupleIJPiS6_EEENSE_IJSB_SB_EEENS0_18inequality_wrapperIN6hipcub16HIPCUB_304000_NS8EqualityEEEPlJS6_EEE10hipError_tPvRmT3_T4_T5_T6_T7_T9_mT8_P12ihipStream_tbDpT10_ENKUlT_T0_E_clISt17integral_constantIbLb0EES16_IbLb1EEEEDaS12_S13_EUlS12_E_NS1_11comp_targetILNS1_3genE3ELNS1_11target_archE908ELNS1_3gpuE7ELNS1_3repE0EEENS1_30default_config_static_selectorELNS0_4arch9wavefront6targetE0EEEvT1_
	.p2align	8
	.type	_ZN7rocprim17ROCPRIM_400000_NS6detail17trampoline_kernelINS0_14default_configENS1_25partition_config_selectorILNS1_17partition_subalgoE8EiNS0_10empty_typeEbEEZZNS1_14partition_implILS5_8ELb0ES3_jPKiPS6_PKS6_NS0_5tupleIJPiS6_EEENSE_IJSB_SB_EEENS0_18inequality_wrapperIN6hipcub16HIPCUB_304000_NS8EqualityEEEPlJS6_EEE10hipError_tPvRmT3_T4_T5_T6_T7_T9_mT8_P12ihipStream_tbDpT10_ENKUlT_T0_E_clISt17integral_constantIbLb0EES16_IbLb1EEEEDaS12_S13_EUlS12_E_NS1_11comp_targetILNS1_3genE3ELNS1_11target_archE908ELNS1_3gpuE7ELNS1_3repE0EEENS1_30default_config_static_selectorELNS0_4arch9wavefront6targetE0EEEvT1_,@function
_ZN7rocprim17ROCPRIM_400000_NS6detail17trampoline_kernelINS0_14default_configENS1_25partition_config_selectorILNS1_17partition_subalgoE8EiNS0_10empty_typeEbEEZZNS1_14partition_implILS5_8ELb0ES3_jPKiPS6_PKS6_NS0_5tupleIJPiS6_EEENSE_IJSB_SB_EEENS0_18inequality_wrapperIN6hipcub16HIPCUB_304000_NS8EqualityEEEPlJS6_EEE10hipError_tPvRmT3_T4_T5_T6_T7_T9_mT8_P12ihipStream_tbDpT10_ENKUlT_T0_E_clISt17integral_constantIbLb0EES16_IbLb1EEEEDaS12_S13_EUlS12_E_NS1_11comp_targetILNS1_3genE3ELNS1_11target_archE908ELNS1_3gpuE7ELNS1_3repE0EEENS1_30default_config_static_selectorELNS0_4arch9wavefront6targetE0EEEvT1_: ; @_ZN7rocprim17ROCPRIM_400000_NS6detail17trampoline_kernelINS0_14default_configENS1_25partition_config_selectorILNS1_17partition_subalgoE8EiNS0_10empty_typeEbEEZZNS1_14partition_implILS5_8ELb0ES3_jPKiPS6_PKS6_NS0_5tupleIJPiS6_EEENSE_IJSB_SB_EEENS0_18inequality_wrapperIN6hipcub16HIPCUB_304000_NS8EqualityEEEPlJS6_EEE10hipError_tPvRmT3_T4_T5_T6_T7_T9_mT8_P12ihipStream_tbDpT10_ENKUlT_T0_E_clISt17integral_constantIbLb0EES16_IbLb1EEEEDaS12_S13_EUlS12_E_NS1_11comp_targetILNS1_3genE3ELNS1_11target_archE908ELNS1_3gpuE7ELNS1_3repE0EEENS1_30default_config_static_selectorELNS0_4arch9wavefront6targetE0EEEvT1_
; %bb.0:
	.section	.rodata,"a",@progbits
	.p2align	6, 0x0
	.amdhsa_kernel _ZN7rocprim17ROCPRIM_400000_NS6detail17trampoline_kernelINS0_14default_configENS1_25partition_config_selectorILNS1_17partition_subalgoE8EiNS0_10empty_typeEbEEZZNS1_14partition_implILS5_8ELb0ES3_jPKiPS6_PKS6_NS0_5tupleIJPiS6_EEENSE_IJSB_SB_EEENS0_18inequality_wrapperIN6hipcub16HIPCUB_304000_NS8EqualityEEEPlJS6_EEE10hipError_tPvRmT3_T4_T5_T6_T7_T9_mT8_P12ihipStream_tbDpT10_ENKUlT_T0_E_clISt17integral_constantIbLb0EES16_IbLb1EEEEDaS12_S13_EUlS12_E_NS1_11comp_targetILNS1_3genE3ELNS1_11target_archE908ELNS1_3gpuE7ELNS1_3repE0EEENS1_30default_config_static_selectorELNS0_4arch9wavefront6targetE0EEEvT1_
		.amdhsa_group_segment_fixed_size 0
		.amdhsa_private_segment_fixed_size 0
		.amdhsa_kernarg_size 128
		.amdhsa_user_sgpr_count 2
		.amdhsa_user_sgpr_dispatch_ptr 0
		.amdhsa_user_sgpr_queue_ptr 0
		.amdhsa_user_sgpr_kernarg_segment_ptr 1
		.amdhsa_user_sgpr_dispatch_id 0
		.amdhsa_user_sgpr_kernarg_preload_length 0
		.amdhsa_user_sgpr_kernarg_preload_offset 0
		.amdhsa_user_sgpr_private_segment_size 0
		.amdhsa_wavefront_size32 1
		.amdhsa_uses_dynamic_stack 0
		.amdhsa_enable_private_segment 0
		.amdhsa_system_sgpr_workgroup_id_x 1
		.amdhsa_system_sgpr_workgroup_id_y 0
		.amdhsa_system_sgpr_workgroup_id_z 0
		.amdhsa_system_sgpr_workgroup_info 0
		.amdhsa_system_vgpr_workitem_id 0
		.amdhsa_next_free_vgpr 1
		.amdhsa_next_free_sgpr 1
		.amdhsa_named_barrier_count 0
		.amdhsa_reserve_vcc 0
		.amdhsa_float_round_mode_32 0
		.amdhsa_float_round_mode_16_64 0
		.amdhsa_float_denorm_mode_32 3
		.amdhsa_float_denorm_mode_16_64 3
		.amdhsa_fp16_overflow 0
		.amdhsa_memory_ordered 1
		.amdhsa_forward_progress 1
		.amdhsa_inst_pref_size 0
		.amdhsa_round_robin_scheduling 0
		.amdhsa_exception_fp_ieee_invalid_op 0
		.amdhsa_exception_fp_denorm_src 0
		.amdhsa_exception_fp_ieee_div_zero 0
		.amdhsa_exception_fp_ieee_overflow 0
		.amdhsa_exception_fp_ieee_underflow 0
		.amdhsa_exception_fp_ieee_inexact 0
		.amdhsa_exception_int_div_zero 0
	.end_amdhsa_kernel
	.section	.text._ZN7rocprim17ROCPRIM_400000_NS6detail17trampoline_kernelINS0_14default_configENS1_25partition_config_selectorILNS1_17partition_subalgoE8EiNS0_10empty_typeEbEEZZNS1_14partition_implILS5_8ELb0ES3_jPKiPS6_PKS6_NS0_5tupleIJPiS6_EEENSE_IJSB_SB_EEENS0_18inequality_wrapperIN6hipcub16HIPCUB_304000_NS8EqualityEEEPlJS6_EEE10hipError_tPvRmT3_T4_T5_T6_T7_T9_mT8_P12ihipStream_tbDpT10_ENKUlT_T0_E_clISt17integral_constantIbLb0EES16_IbLb1EEEEDaS12_S13_EUlS12_E_NS1_11comp_targetILNS1_3genE3ELNS1_11target_archE908ELNS1_3gpuE7ELNS1_3repE0EEENS1_30default_config_static_selectorELNS0_4arch9wavefront6targetE0EEEvT1_,"axG",@progbits,_ZN7rocprim17ROCPRIM_400000_NS6detail17trampoline_kernelINS0_14default_configENS1_25partition_config_selectorILNS1_17partition_subalgoE8EiNS0_10empty_typeEbEEZZNS1_14partition_implILS5_8ELb0ES3_jPKiPS6_PKS6_NS0_5tupleIJPiS6_EEENSE_IJSB_SB_EEENS0_18inequality_wrapperIN6hipcub16HIPCUB_304000_NS8EqualityEEEPlJS6_EEE10hipError_tPvRmT3_T4_T5_T6_T7_T9_mT8_P12ihipStream_tbDpT10_ENKUlT_T0_E_clISt17integral_constantIbLb0EES16_IbLb1EEEEDaS12_S13_EUlS12_E_NS1_11comp_targetILNS1_3genE3ELNS1_11target_archE908ELNS1_3gpuE7ELNS1_3repE0EEENS1_30default_config_static_selectorELNS0_4arch9wavefront6targetE0EEEvT1_,comdat
.Lfunc_end216:
	.size	_ZN7rocprim17ROCPRIM_400000_NS6detail17trampoline_kernelINS0_14default_configENS1_25partition_config_selectorILNS1_17partition_subalgoE8EiNS0_10empty_typeEbEEZZNS1_14partition_implILS5_8ELb0ES3_jPKiPS6_PKS6_NS0_5tupleIJPiS6_EEENSE_IJSB_SB_EEENS0_18inequality_wrapperIN6hipcub16HIPCUB_304000_NS8EqualityEEEPlJS6_EEE10hipError_tPvRmT3_T4_T5_T6_T7_T9_mT8_P12ihipStream_tbDpT10_ENKUlT_T0_E_clISt17integral_constantIbLb0EES16_IbLb1EEEEDaS12_S13_EUlS12_E_NS1_11comp_targetILNS1_3genE3ELNS1_11target_archE908ELNS1_3gpuE7ELNS1_3repE0EEENS1_30default_config_static_selectorELNS0_4arch9wavefront6targetE0EEEvT1_, .Lfunc_end216-_ZN7rocprim17ROCPRIM_400000_NS6detail17trampoline_kernelINS0_14default_configENS1_25partition_config_selectorILNS1_17partition_subalgoE8EiNS0_10empty_typeEbEEZZNS1_14partition_implILS5_8ELb0ES3_jPKiPS6_PKS6_NS0_5tupleIJPiS6_EEENSE_IJSB_SB_EEENS0_18inequality_wrapperIN6hipcub16HIPCUB_304000_NS8EqualityEEEPlJS6_EEE10hipError_tPvRmT3_T4_T5_T6_T7_T9_mT8_P12ihipStream_tbDpT10_ENKUlT_T0_E_clISt17integral_constantIbLb0EES16_IbLb1EEEEDaS12_S13_EUlS12_E_NS1_11comp_targetILNS1_3genE3ELNS1_11target_archE908ELNS1_3gpuE7ELNS1_3repE0EEENS1_30default_config_static_selectorELNS0_4arch9wavefront6targetE0EEEvT1_
                                        ; -- End function
	.set _ZN7rocprim17ROCPRIM_400000_NS6detail17trampoline_kernelINS0_14default_configENS1_25partition_config_selectorILNS1_17partition_subalgoE8EiNS0_10empty_typeEbEEZZNS1_14partition_implILS5_8ELb0ES3_jPKiPS6_PKS6_NS0_5tupleIJPiS6_EEENSE_IJSB_SB_EEENS0_18inequality_wrapperIN6hipcub16HIPCUB_304000_NS8EqualityEEEPlJS6_EEE10hipError_tPvRmT3_T4_T5_T6_T7_T9_mT8_P12ihipStream_tbDpT10_ENKUlT_T0_E_clISt17integral_constantIbLb0EES16_IbLb1EEEEDaS12_S13_EUlS12_E_NS1_11comp_targetILNS1_3genE3ELNS1_11target_archE908ELNS1_3gpuE7ELNS1_3repE0EEENS1_30default_config_static_selectorELNS0_4arch9wavefront6targetE0EEEvT1_.num_vgpr, 0
	.set _ZN7rocprim17ROCPRIM_400000_NS6detail17trampoline_kernelINS0_14default_configENS1_25partition_config_selectorILNS1_17partition_subalgoE8EiNS0_10empty_typeEbEEZZNS1_14partition_implILS5_8ELb0ES3_jPKiPS6_PKS6_NS0_5tupleIJPiS6_EEENSE_IJSB_SB_EEENS0_18inequality_wrapperIN6hipcub16HIPCUB_304000_NS8EqualityEEEPlJS6_EEE10hipError_tPvRmT3_T4_T5_T6_T7_T9_mT8_P12ihipStream_tbDpT10_ENKUlT_T0_E_clISt17integral_constantIbLb0EES16_IbLb1EEEEDaS12_S13_EUlS12_E_NS1_11comp_targetILNS1_3genE3ELNS1_11target_archE908ELNS1_3gpuE7ELNS1_3repE0EEENS1_30default_config_static_selectorELNS0_4arch9wavefront6targetE0EEEvT1_.num_agpr, 0
	.set _ZN7rocprim17ROCPRIM_400000_NS6detail17trampoline_kernelINS0_14default_configENS1_25partition_config_selectorILNS1_17partition_subalgoE8EiNS0_10empty_typeEbEEZZNS1_14partition_implILS5_8ELb0ES3_jPKiPS6_PKS6_NS0_5tupleIJPiS6_EEENSE_IJSB_SB_EEENS0_18inequality_wrapperIN6hipcub16HIPCUB_304000_NS8EqualityEEEPlJS6_EEE10hipError_tPvRmT3_T4_T5_T6_T7_T9_mT8_P12ihipStream_tbDpT10_ENKUlT_T0_E_clISt17integral_constantIbLb0EES16_IbLb1EEEEDaS12_S13_EUlS12_E_NS1_11comp_targetILNS1_3genE3ELNS1_11target_archE908ELNS1_3gpuE7ELNS1_3repE0EEENS1_30default_config_static_selectorELNS0_4arch9wavefront6targetE0EEEvT1_.numbered_sgpr, 0
	.set _ZN7rocprim17ROCPRIM_400000_NS6detail17trampoline_kernelINS0_14default_configENS1_25partition_config_selectorILNS1_17partition_subalgoE8EiNS0_10empty_typeEbEEZZNS1_14partition_implILS5_8ELb0ES3_jPKiPS6_PKS6_NS0_5tupleIJPiS6_EEENSE_IJSB_SB_EEENS0_18inequality_wrapperIN6hipcub16HIPCUB_304000_NS8EqualityEEEPlJS6_EEE10hipError_tPvRmT3_T4_T5_T6_T7_T9_mT8_P12ihipStream_tbDpT10_ENKUlT_T0_E_clISt17integral_constantIbLb0EES16_IbLb1EEEEDaS12_S13_EUlS12_E_NS1_11comp_targetILNS1_3genE3ELNS1_11target_archE908ELNS1_3gpuE7ELNS1_3repE0EEENS1_30default_config_static_selectorELNS0_4arch9wavefront6targetE0EEEvT1_.num_named_barrier, 0
	.set _ZN7rocprim17ROCPRIM_400000_NS6detail17trampoline_kernelINS0_14default_configENS1_25partition_config_selectorILNS1_17partition_subalgoE8EiNS0_10empty_typeEbEEZZNS1_14partition_implILS5_8ELb0ES3_jPKiPS6_PKS6_NS0_5tupleIJPiS6_EEENSE_IJSB_SB_EEENS0_18inequality_wrapperIN6hipcub16HIPCUB_304000_NS8EqualityEEEPlJS6_EEE10hipError_tPvRmT3_T4_T5_T6_T7_T9_mT8_P12ihipStream_tbDpT10_ENKUlT_T0_E_clISt17integral_constantIbLb0EES16_IbLb1EEEEDaS12_S13_EUlS12_E_NS1_11comp_targetILNS1_3genE3ELNS1_11target_archE908ELNS1_3gpuE7ELNS1_3repE0EEENS1_30default_config_static_selectorELNS0_4arch9wavefront6targetE0EEEvT1_.private_seg_size, 0
	.set _ZN7rocprim17ROCPRIM_400000_NS6detail17trampoline_kernelINS0_14default_configENS1_25partition_config_selectorILNS1_17partition_subalgoE8EiNS0_10empty_typeEbEEZZNS1_14partition_implILS5_8ELb0ES3_jPKiPS6_PKS6_NS0_5tupleIJPiS6_EEENSE_IJSB_SB_EEENS0_18inequality_wrapperIN6hipcub16HIPCUB_304000_NS8EqualityEEEPlJS6_EEE10hipError_tPvRmT3_T4_T5_T6_T7_T9_mT8_P12ihipStream_tbDpT10_ENKUlT_T0_E_clISt17integral_constantIbLb0EES16_IbLb1EEEEDaS12_S13_EUlS12_E_NS1_11comp_targetILNS1_3genE3ELNS1_11target_archE908ELNS1_3gpuE7ELNS1_3repE0EEENS1_30default_config_static_selectorELNS0_4arch9wavefront6targetE0EEEvT1_.uses_vcc, 0
	.set _ZN7rocprim17ROCPRIM_400000_NS6detail17trampoline_kernelINS0_14default_configENS1_25partition_config_selectorILNS1_17partition_subalgoE8EiNS0_10empty_typeEbEEZZNS1_14partition_implILS5_8ELb0ES3_jPKiPS6_PKS6_NS0_5tupleIJPiS6_EEENSE_IJSB_SB_EEENS0_18inequality_wrapperIN6hipcub16HIPCUB_304000_NS8EqualityEEEPlJS6_EEE10hipError_tPvRmT3_T4_T5_T6_T7_T9_mT8_P12ihipStream_tbDpT10_ENKUlT_T0_E_clISt17integral_constantIbLb0EES16_IbLb1EEEEDaS12_S13_EUlS12_E_NS1_11comp_targetILNS1_3genE3ELNS1_11target_archE908ELNS1_3gpuE7ELNS1_3repE0EEENS1_30default_config_static_selectorELNS0_4arch9wavefront6targetE0EEEvT1_.uses_flat_scratch, 0
	.set _ZN7rocprim17ROCPRIM_400000_NS6detail17trampoline_kernelINS0_14default_configENS1_25partition_config_selectorILNS1_17partition_subalgoE8EiNS0_10empty_typeEbEEZZNS1_14partition_implILS5_8ELb0ES3_jPKiPS6_PKS6_NS0_5tupleIJPiS6_EEENSE_IJSB_SB_EEENS0_18inequality_wrapperIN6hipcub16HIPCUB_304000_NS8EqualityEEEPlJS6_EEE10hipError_tPvRmT3_T4_T5_T6_T7_T9_mT8_P12ihipStream_tbDpT10_ENKUlT_T0_E_clISt17integral_constantIbLb0EES16_IbLb1EEEEDaS12_S13_EUlS12_E_NS1_11comp_targetILNS1_3genE3ELNS1_11target_archE908ELNS1_3gpuE7ELNS1_3repE0EEENS1_30default_config_static_selectorELNS0_4arch9wavefront6targetE0EEEvT1_.has_dyn_sized_stack, 0
	.set _ZN7rocprim17ROCPRIM_400000_NS6detail17trampoline_kernelINS0_14default_configENS1_25partition_config_selectorILNS1_17partition_subalgoE8EiNS0_10empty_typeEbEEZZNS1_14partition_implILS5_8ELb0ES3_jPKiPS6_PKS6_NS0_5tupleIJPiS6_EEENSE_IJSB_SB_EEENS0_18inequality_wrapperIN6hipcub16HIPCUB_304000_NS8EqualityEEEPlJS6_EEE10hipError_tPvRmT3_T4_T5_T6_T7_T9_mT8_P12ihipStream_tbDpT10_ENKUlT_T0_E_clISt17integral_constantIbLb0EES16_IbLb1EEEEDaS12_S13_EUlS12_E_NS1_11comp_targetILNS1_3genE3ELNS1_11target_archE908ELNS1_3gpuE7ELNS1_3repE0EEENS1_30default_config_static_selectorELNS0_4arch9wavefront6targetE0EEEvT1_.has_recursion, 0
	.set _ZN7rocprim17ROCPRIM_400000_NS6detail17trampoline_kernelINS0_14default_configENS1_25partition_config_selectorILNS1_17partition_subalgoE8EiNS0_10empty_typeEbEEZZNS1_14partition_implILS5_8ELb0ES3_jPKiPS6_PKS6_NS0_5tupleIJPiS6_EEENSE_IJSB_SB_EEENS0_18inequality_wrapperIN6hipcub16HIPCUB_304000_NS8EqualityEEEPlJS6_EEE10hipError_tPvRmT3_T4_T5_T6_T7_T9_mT8_P12ihipStream_tbDpT10_ENKUlT_T0_E_clISt17integral_constantIbLb0EES16_IbLb1EEEEDaS12_S13_EUlS12_E_NS1_11comp_targetILNS1_3genE3ELNS1_11target_archE908ELNS1_3gpuE7ELNS1_3repE0EEENS1_30default_config_static_selectorELNS0_4arch9wavefront6targetE0EEEvT1_.has_indirect_call, 0
	.section	.AMDGPU.csdata,"",@progbits
; Kernel info:
; codeLenInByte = 0
; TotalNumSgprs: 0
; NumVgprs: 0
; ScratchSize: 0
; MemoryBound: 0
; FloatMode: 240
; IeeeMode: 1
; LDSByteSize: 0 bytes/workgroup (compile time only)
; SGPRBlocks: 0
; VGPRBlocks: 0
; NumSGPRsForWavesPerEU: 1
; NumVGPRsForWavesPerEU: 1
; NamedBarCnt: 0
; Occupancy: 16
; WaveLimiterHint : 0
; COMPUTE_PGM_RSRC2:SCRATCH_EN: 0
; COMPUTE_PGM_RSRC2:USER_SGPR: 2
; COMPUTE_PGM_RSRC2:TRAP_HANDLER: 0
; COMPUTE_PGM_RSRC2:TGID_X_EN: 1
; COMPUTE_PGM_RSRC2:TGID_Y_EN: 0
; COMPUTE_PGM_RSRC2:TGID_Z_EN: 0
; COMPUTE_PGM_RSRC2:TIDIG_COMP_CNT: 0
	.section	.text._ZN7rocprim17ROCPRIM_400000_NS6detail17trampoline_kernelINS0_14default_configENS1_25partition_config_selectorILNS1_17partition_subalgoE8EiNS0_10empty_typeEbEEZZNS1_14partition_implILS5_8ELb0ES3_jPKiPS6_PKS6_NS0_5tupleIJPiS6_EEENSE_IJSB_SB_EEENS0_18inequality_wrapperIN6hipcub16HIPCUB_304000_NS8EqualityEEEPlJS6_EEE10hipError_tPvRmT3_T4_T5_T6_T7_T9_mT8_P12ihipStream_tbDpT10_ENKUlT_T0_E_clISt17integral_constantIbLb0EES16_IbLb1EEEEDaS12_S13_EUlS12_E_NS1_11comp_targetILNS1_3genE2ELNS1_11target_archE906ELNS1_3gpuE6ELNS1_3repE0EEENS1_30default_config_static_selectorELNS0_4arch9wavefront6targetE0EEEvT1_,"axG",@progbits,_ZN7rocprim17ROCPRIM_400000_NS6detail17trampoline_kernelINS0_14default_configENS1_25partition_config_selectorILNS1_17partition_subalgoE8EiNS0_10empty_typeEbEEZZNS1_14partition_implILS5_8ELb0ES3_jPKiPS6_PKS6_NS0_5tupleIJPiS6_EEENSE_IJSB_SB_EEENS0_18inequality_wrapperIN6hipcub16HIPCUB_304000_NS8EqualityEEEPlJS6_EEE10hipError_tPvRmT3_T4_T5_T6_T7_T9_mT8_P12ihipStream_tbDpT10_ENKUlT_T0_E_clISt17integral_constantIbLb0EES16_IbLb1EEEEDaS12_S13_EUlS12_E_NS1_11comp_targetILNS1_3genE2ELNS1_11target_archE906ELNS1_3gpuE6ELNS1_3repE0EEENS1_30default_config_static_selectorELNS0_4arch9wavefront6targetE0EEEvT1_,comdat
	.protected	_ZN7rocprim17ROCPRIM_400000_NS6detail17trampoline_kernelINS0_14default_configENS1_25partition_config_selectorILNS1_17partition_subalgoE8EiNS0_10empty_typeEbEEZZNS1_14partition_implILS5_8ELb0ES3_jPKiPS6_PKS6_NS0_5tupleIJPiS6_EEENSE_IJSB_SB_EEENS0_18inequality_wrapperIN6hipcub16HIPCUB_304000_NS8EqualityEEEPlJS6_EEE10hipError_tPvRmT3_T4_T5_T6_T7_T9_mT8_P12ihipStream_tbDpT10_ENKUlT_T0_E_clISt17integral_constantIbLb0EES16_IbLb1EEEEDaS12_S13_EUlS12_E_NS1_11comp_targetILNS1_3genE2ELNS1_11target_archE906ELNS1_3gpuE6ELNS1_3repE0EEENS1_30default_config_static_selectorELNS0_4arch9wavefront6targetE0EEEvT1_ ; -- Begin function _ZN7rocprim17ROCPRIM_400000_NS6detail17trampoline_kernelINS0_14default_configENS1_25partition_config_selectorILNS1_17partition_subalgoE8EiNS0_10empty_typeEbEEZZNS1_14partition_implILS5_8ELb0ES3_jPKiPS6_PKS6_NS0_5tupleIJPiS6_EEENSE_IJSB_SB_EEENS0_18inequality_wrapperIN6hipcub16HIPCUB_304000_NS8EqualityEEEPlJS6_EEE10hipError_tPvRmT3_T4_T5_T6_T7_T9_mT8_P12ihipStream_tbDpT10_ENKUlT_T0_E_clISt17integral_constantIbLb0EES16_IbLb1EEEEDaS12_S13_EUlS12_E_NS1_11comp_targetILNS1_3genE2ELNS1_11target_archE906ELNS1_3gpuE6ELNS1_3repE0EEENS1_30default_config_static_selectorELNS0_4arch9wavefront6targetE0EEEvT1_
	.globl	_ZN7rocprim17ROCPRIM_400000_NS6detail17trampoline_kernelINS0_14default_configENS1_25partition_config_selectorILNS1_17partition_subalgoE8EiNS0_10empty_typeEbEEZZNS1_14partition_implILS5_8ELb0ES3_jPKiPS6_PKS6_NS0_5tupleIJPiS6_EEENSE_IJSB_SB_EEENS0_18inequality_wrapperIN6hipcub16HIPCUB_304000_NS8EqualityEEEPlJS6_EEE10hipError_tPvRmT3_T4_T5_T6_T7_T9_mT8_P12ihipStream_tbDpT10_ENKUlT_T0_E_clISt17integral_constantIbLb0EES16_IbLb1EEEEDaS12_S13_EUlS12_E_NS1_11comp_targetILNS1_3genE2ELNS1_11target_archE906ELNS1_3gpuE6ELNS1_3repE0EEENS1_30default_config_static_selectorELNS0_4arch9wavefront6targetE0EEEvT1_
	.p2align	8
	.type	_ZN7rocprim17ROCPRIM_400000_NS6detail17trampoline_kernelINS0_14default_configENS1_25partition_config_selectorILNS1_17partition_subalgoE8EiNS0_10empty_typeEbEEZZNS1_14partition_implILS5_8ELb0ES3_jPKiPS6_PKS6_NS0_5tupleIJPiS6_EEENSE_IJSB_SB_EEENS0_18inequality_wrapperIN6hipcub16HIPCUB_304000_NS8EqualityEEEPlJS6_EEE10hipError_tPvRmT3_T4_T5_T6_T7_T9_mT8_P12ihipStream_tbDpT10_ENKUlT_T0_E_clISt17integral_constantIbLb0EES16_IbLb1EEEEDaS12_S13_EUlS12_E_NS1_11comp_targetILNS1_3genE2ELNS1_11target_archE906ELNS1_3gpuE6ELNS1_3repE0EEENS1_30default_config_static_selectorELNS0_4arch9wavefront6targetE0EEEvT1_,@function
_ZN7rocprim17ROCPRIM_400000_NS6detail17trampoline_kernelINS0_14default_configENS1_25partition_config_selectorILNS1_17partition_subalgoE8EiNS0_10empty_typeEbEEZZNS1_14partition_implILS5_8ELb0ES3_jPKiPS6_PKS6_NS0_5tupleIJPiS6_EEENSE_IJSB_SB_EEENS0_18inequality_wrapperIN6hipcub16HIPCUB_304000_NS8EqualityEEEPlJS6_EEE10hipError_tPvRmT3_T4_T5_T6_T7_T9_mT8_P12ihipStream_tbDpT10_ENKUlT_T0_E_clISt17integral_constantIbLb0EES16_IbLb1EEEEDaS12_S13_EUlS12_E_NS1_11comp_targetILNS1_3genE2ELNS1_11target_archE906ELNS1_3gpuE6ELNS1_3repE0EEENS1_30default_config_static_selectorELNS0_4arch9wavefront6targetE0EEEvT1_: ; @_ZN7rocprim17ROCPRIM_400000_NS6detail17trampoline_kernelINS0_14default_configENS1_25partition_config_selectorILNS1_17partition_subalgoE8EiNS0_10empty_typeEbEEZZNS1_14partition_implILS5_8ELb0ES3_jPKiPS6_PKS6_NS0_5tupleIJPiS6_EEENSE_IJSB_SB_EEENS0_18inequality_wrapperIN6hipcub16HIPCUB_304000_NS8EqualityEEEPlJS6_EEE10hipError_tPvRmT3_T4_T5_T6_T7_T9_mT8_P12ihipStream_tbDpT10_ENKUlT_T0_E_clISt17integral_constantIbLb0EES16_IbLb1EEEEDaS12_S13_EUlS12_E_NS1_11comp_targetILNS1_3genE2ELNS1_11target_archE906ELNS1_3gpuE6ELNS1_3repE0EEENS1_30default_config_static_selectorELNS0_4arch9wavefront6targetE0EEEvT1_
; %bb.0:
	.section	.rodata,"a",@progbits
	.p2align	6, 0x0
	.amdhsa_kernel _ZN7rocprim17ROCPRIM_400000_NS6detail17trampoline_kernelINS0_14default_configENS1_25partition_config_selectorILNS1_17partition_subalgoE8EiNS0_10empty_typeEbEEZZNS1_14partition_implILS5_8ELb0ES3_jPKiPS6_PKS6_NS0_5tupleIJPiS6_EEENSE_IJSB_SB_EEENS0_18inequality_wrapperIN6hipcub16HIPCUB_304000_NS8EqualityEEEPlJS6_EEE10hipError_tPvRmT3_T4_T5_T6_T7_T9_mT8_P12ihipStream_tbDpT10_ENKUlT_T0_E_clISt17integral_constantIbLb0EES16_IbLb1EEEEDaS12_S13_EUlS12_E_NS1_11comp_targetILNS1_3genE2ELNS1_11target_archE906ELNS1_3gpuE6ELNS1_3repE0EEENS1_30default_config_static_selectorELNS0_4arch9wavefront6targetE0EEEvT1_
		.amdhsa_group_segment_fixed_size 0
		.amdhsa_private_segment_fixed_size 0
		.amdhsa_kernarg_size 128
		.amdhsa_user_sgpr_count 2
		.amdhsa_user_sgpr_dispatch_ptr 0
		.amdhsa_user_sgpr_queue_ptr 0
		.amdhsa_user_sgpr_kernarg_segment_ptr 1
		.amdhsa_user_sgpr_dispatch_id 0
		.amdhsa_user_sgpr_kernarg_preload_length 0
		.amdhsa_user_sgpr_kernarg_preload_offset 0
		.amdhsa_user_sgpr_private_segment_size 0
		.amdhsa_wavefront_size32 1
		.amdhsa_uses_dynamic_stack 0
		.amdhsa_enable_private_segment 0
		.amdhsa_system_sgpr_workgroup_id_x 1
		.amdhsa_system_sgpr_workgroup_id_y 0
		.amdhsa_system_sgpr_workgroup_id_z 0
		.amdhsa_system_sgpr_workgroup_info 0
		.amdhsa_system_vgpr_workitem_id 0
		.amdhsa_next_free_vgpr 1
		.amdhsa_next_free_sgpr 1
		.amdhsa_named_barrier_count 0
		.amdhsa_reserve_vcc 0
		.amdhsa_float_round_mode_32 0
		.amdhsa_float_round_mode_16_64 0
		.amdhsa_float_denorm_mode_32 3
		.amdhsa_float_denorm_mode_16_64 3
		.amdhsa_fp16_overflow 0
		.amdhsa_memory_ordered 1
		.amdhsa_forward_progress 1
		.amdhsa_inst_pref_size 0
		.amdhsa_round_robin_scheduling 0
		.amdhsa_exception_fp_ieee_invalid_op 0
		.amdhsa_exception_fp_denorm_src 0
		.amdhsa_exception_fp_ieee_div_zero 0
		.amdhsa_exception_fp_ieee_overflow 0
		.amdhsa_exception_fp_ieee_underflow 0
		.amdhsa_exception_fp_ieee_inexact 0
		.amdhsa_exception_int_div_zero 0
	.end_amdhsa_kernel
	.section	.text._ZN7rocprim17ROCPRIM_400000_NS6detail17trampoline_kernelINS0_14default_configENS1_25partition_config_selectorILNS1_17partition_subalgoE8EiNS0_10empty_typeEbEEZZNS1_14partition_implILS5_8ELb0ES3_jPKiPS6_PKS6_NS0_5tupleIJPiS6_EEENSE_IJSB_SB_EEENS0_18inequality_wrapperIN6hipcub16HIPCUB_304000_NS8EqualityEEEPlJS6_EEE10hipError_tPvRmT3_T4_T5_T6_T7_T9_mT8_P12ihipStream_tbDpT10_ENKUlT_T0_E_clISt17integral_constantIbLb0EES16_IbLb1EEEEDaS12_S13_EUlS12_E_NS1_11comp_targetILNS1_3genE2ELNS1_11target_archE906ELNS1_3gpuE6ELNS1_3repE0EEENS1_30default_config_static_selectorELNS0_4arch9wavefront6targetE0EEEvT1_,"axG",@progbits,_ZN7rocprim17ROCPRIM_400000_NS6detail17trampoline_kernelINS0_14default_configENS1_25partition_config_selectorILNS1_17partition_subalgoE8EiNS0_10empty_typeEbEEZZNS1_14partition_implILS5_8ELb0ES3_jPKiPS6_PKS6_NS0_5tupleIJPiS6_EEENSE_IJSB_SB_EEENS0_18inequality_wrapperIN6hipcub16HIPCUB_304000_NS8EqualityEEEPlJS6_EEE10hipError_tPvRmT3_T4_T5_T6_T7_T9_mT8_P12ihipStream_tbDpT10_ENKUlT_T0_E_clISt17integral_constantIbLb0EES16_IbLb1EEEEDaS12_S13_EUlS12_E_NS1_11comp_targetILNS1_3genE2ELNS1_11target_archE906ELNS1_3gpuE6ELNS1_3repE0EEENS1_30default_config_static_selectorELNS0_4arch9wavefront6targetE0EEEvT1_,comdat
.Lfunc_end217:
	.size	_ZN7rocprim17ROCPRIM_400000_NS6detail17trampoline_kernelINS0_14default_configENS1_25partition_config_selectorILNS1_17partition_subalgoE8EiNS0_10empty_typeEbEEZZNS1_14partition_implILS5_8ELb0ES3_jPKiPS6_PKS6_NS0_5tupleIJPiS6_EEENSE_IJSB_SB_EEENS0_18inequality_wrapperIN6hipcub16HIPCUB_304000_NS8EqualityEEEPlJS6_EEE10hipError_tPvRmT3_T4_T5_T6_T7_T9_mT8_P12ihipStream_tbDpT10_ENKUlT_T0_E_clISt17integral_constantIbLb0EES16_IbLb1EEEEDaS12_S13_EUlS12_E_NS1_11comp_targetILNS1_3genE2ELNS1_11target_archE906ELNS1_3gpuE6ELNS1_3repE0EEENS1_30default_config_static_selectorELNS0_4arch9wavefront6targetE0EEEvT1_, .Lfunc_end217-_ZN7rocprim17ROCPRIM_400000_NS6detail17trampoline_kernelINS0_14default_configENS1_25partition_config_selectorILNS1_17partition_subalgoE8EiNS0_10empty_typeEbEEZZNS1_14partition_implILS5_8ELb0ES3_jPKiPS6_PKS6_NS0_5tupleIJPiS6_EEENSE_IJSB_SB_EEENS0_18inequality_wrapperIN6hipcub16HIPCUB_304000_NS8EqualityEEEPlJS6_EEE10hipError_tPvRmT3_T4_T5_T6_T7_T9_mT8_P12ihipStream_tbDpT10_ENKUlT_T0_E_clISt17integral_constantIbLb0EES16_IbLb1EEEEDaS12_S13_EUlS12_E_NS1_11comp_targetILNS1_3genE2ELNS1_11target_archE906ELNS1_3gpuE6ELNS1_3repE0EEENS1_30default_config_static_selectorELNS0_4arch9wavefront6targetE0EEEvT1_
                                        ; -- End function
	.set _ZN7rocprim17ROCPRIM_400000_NS6detail17trampoline_kernelINS0_14default_configENS1_25partition_config_selectorILNS1_17partition_subalgoE8EiNS0_10empty_typeEbEEZZNS1_14partition_implILS5_8ELb0ES3_jPKiPS6_PKS6_NS0_5tupleIJPiS6_EEENSE_IJSB_SB_EEENS0_18inequality_wrapperIN6hipcub16HIPCUB_304000_NS8EqualityEEEPlJS6_EEE10hipError_tPvRmT3_T4_T5_T6_T7_T9_mT8_P12ihipStream_tbDpT10_ENKUlT_T0_E_clISt17integral_constantIbLb0EES16_IbLb1EEEEDaS12_S13_EUlS12_E_NS1_11comp_targetILNS1_3genE2ELNS1_11target_archE906ELNS1_3gpuE6ELNS1_3repE0EEENS1_30default_config_static_selectorELNS0_4arch9wavefront6targetE0EEEvT1_.num_vgpr, 0
	.set _ZN7rocprim17ROCPRIM_400000_NS6detail17trampoline_kernelINS0_14default_configENS1_25partition_config_selectorILNS1_17partition_subalgoE8EiNS0_10empty_typeEbEEZZNS1_14partition_implILS5_8ELb0ES3_jPKiPS6_PKS6_NS0_5tupleIJPiS6_EEENSE_IJSB_SB_EEENS0_18inequality_wrapperIN6hipcub16HIPCUB_304000_NS8EqualityEEEPlJS6_EEE10hipError_tPvRmT3_T4_T5_T6_T7_T9_mT8_P12ihipStream_tbDpT10_ENKUlT_T0_E_clISt17integral_constantIbLb0EES16_IbLb1EEEEDaS12_S13_EUlS12_E_NS1_11comp_targetILNS1_3genE2ELNS1_11target_archE906ELNS1_3gpuE6ELNS1_3repE0EEENS1_30default_config_static_selectorELNS0_4arch9wavefront6targetE0EEEvT1_.num_agpr, 0
	.set _ZN7rocprim17ROCPRIM_400000_NS6detail17trampoline_kernelINS0_14default_configENS1_25partition_config_selectorILNS1_17partition_subalgoE8EiNS0_10empty_typeEbEEZZNS1_14partition_implILS5_8ELb0ES3_jPKiPS6_PKS6_NS0_5tupleIJPiS6_EEENSE_IJSB_SB_EEENS0_18inequality_wrapperIN6hipcub16HIPCUB_304000_NS8EqualityEEEPlJS6_EEE10hipError_tPvRmT3_T4_T5_T6_T7_T9_mT8_P12ihipStream_tbDpT10_ENKUlT_T0_E_clISt17integral_constantIbLb0EES16_IbLb1EEEEDaS12_S13_EUlS12_E_NS1_11comp_targetILNS1_3genE2ELNS1_11target_archE906ELNS1_3gpuE6ELNS1_3repE0EEENS1_30default_config_static_selectorELNS0_4arch9wavefront6targetE0EEEvT1_.numbered_sgpr, 0
	.set _ZN7rocprim17ROCPRIM_400000_NS6detail17trampoline_kernelINS0_14default_configENS1_25partition_config_selectorILNS1_17partition_subalgoE8EiNS0_10empty_typeEbEEZZNS1_14partition_implILS5_8ELb0ES3_jPKiPS6_PKS6_NS0_5tupleIJPiS6_EEENSE_IJSB_SB_EEENS0_18inequality_wrapperIN6hipcub16HIPCUB_304000_NS8EqualityEEEPlJS6_EEE10hipError_tPvRmT3_T4_T5_T6_T7_T9_mT8_P12ihipStream_tbDpT10_ENKUlT_T0_E_clISt17integral_constantIbLb0EES16_IbLb1EEEEDaS12_S13_EUlS12_E_NS1_11comp_targetILNS1_3genE2ELNS1_11target_archE906ELNS1_3gpuE6ELNS1_3repE0EEENS1_30default_config_static_selectorELNS0_4arch9wavefront6targetE0EEEvT1_.num_named_barrier, 0
	.set _ZN7rocprim17ROCPRIM_400000_NS6detail17trampoline_kernelINS0_14default_configENS1_25partition_config_selectorILNS1_17partition_subalgoE8EiNS0_10empty_typeEbEEZZNS1_14partition_implILS5_8ELb0ES3_jPKiPS6_PKS6_NS0_5tupleIJPiS6_EEENSE_IJSB_SB_EEENS0_18inequality_wrapperIN6hipcub16HIPCUB_304000_NS8EqualityEEEPlJS6_EEE10hipError_tPvRmT3_T4_T5_T6_T7_T9_mT8_P12ihipStream_tbDpT10_ENKUlT_T0_E_clISt17integral_constantIbLb0EES16_IbLb1EEEEDaS12_S13_EUlS12_E_NS1_11comp_targetILNS1_3genE2ELNS1_11target_archE906ELNS1_3gpuE6ELNS1_3repE0EEENS1_30default_config_static_selectorELNS0_4arch9wavefront6targetE0EEEvT1_.private_seg_size, 0
	.set _ZN7rocprim17ROCPRIM_400000_NS6detail17trampoline_kernelINS0_14default_configENS1_25partition_config_selectorILNS1_17partition_subalgoE8EiNS0_10empty_typeEbEEZZNS1_14partition_implILS5_8ELb0ES3_jPKiPS6_PKS6_NS0_5tupleIJPiS6_EEENSE_IJSB_SB_EEENS0_18inequality_wrapperIN6hipcub16HIPCUB_304000_NS8EqualityEEEPlJS6_EEE10hipError_tPvRmT3_T4_T5_T6_T7_T9_mT8_P12ihipStream_tbDpT10_ENKUlT_T0_E_clISt17integral_constantIbLb0EES16_IbLb1EEEEDaS12_S13_EUlS12_E_NS1_11comp_targetILNS1_3genE2ELNS1_11target_archE906ELNS1_3gpuE6ELNS1_3repE0EEENS1_30default_config_static_selectorELNS0_4arch9wavefront6targetE0EEEvT1_.uses_vcc, 0
	.set _ZN7rocprim17ROCPRIM_400000_NS6detail17trampoline_kernelINS0_14default_configENS1_25partition_config_selectorILNS1_17partition_subalgoE8EiNS0_10empty_typeEbEEZZNS1_14partition_implILS5_8ELb0ES3_jPKiPS6_PKS6_NS0_5tupleIJPiS6_EEENSE_IJSB_SB_EEENS0_18inequality_wrapperIN6hipcub16HIPCUB_304000_NS8EqualityEEEPlJS6_EEE10hipError_tPvRmT3_T4_T5_T6_T7_T9_mT8_P12ihipStream_tbDpT10_ENKUlT_T0_E_clISt17integral_constantIbLb0EES16_IbLb1EEEEDaS12_S13_EUlS12_E_NS1_11comp_targetILNS1_3genE2ELNS1_11target_archE906ELNS1_3gpuE6ELNS1_3repE0EEENS1_30default_config_static_selectorELNS0_4arch9wavefront6targetE0EEEvT1_.uses_flat_scratch, 0
	.set _ZN7rocprim17ROCPRIM_400000_NS6detail17trampoline_kernelINS0_14default_configENS1_25partition_config_selectorILNS1_17partition_subalgoE8EiNS0_10empty_typeEbEEZZNS1_14partition_implILS5_8ELb0ES3_jPKiPS6_PKS6_NS0_5tupleIJPiS6_EEENSE_IJSB_SB_EEENS0_18inequality_wrapperIN6hipcub16HIPCUB_304000_NS8EqualityEEEPlJS6_EEE10hipError_tPvRmT3_T4_T5_T6_T7_T9_mT8_P12ihipStream_tbDpT10_ENKUlT_T0_E_clISt17integral_constantIbLb0EES16_IbLb1EEEEDaS12_S13_EUlS12_E_NS1_11comp_targetILNS1_3genE2ELNS1_11target_archE906ELNS1_3gpuE6ELNS1_3repE0EEENS1_30default_config_static_selectorELNS0_4arch9wavefront6targetE0EEEvT1_.has_dyn_sized_stack, 0
	.set _ZN7rocprim17ROCPRIM_400000_NS6detail17trampoline_kernelINS0_14default_configENS1_25partition_config_selectorILNS1_17partition_subalgoE8EiNS0_10empty_typeEbEEZZNS1_14partition_implILS5_8ELb0ES3_jPKiPS6_PKS6_NS0_5tupleIJPiS6_EEENSE_IJSB_SB_EEENS0_18inequality_wrapperIN6hipcub16HIPCUB_304000_NS8EqualityEEEPlJS6_EEE10hipError_tPvRmT3_T4_T5_T6_T7_T9_mT8_P12ihipStream_tbDpT10_ENKUlT_T0_E_clISt17integral_constantIbLb0EES16_IbLb1EEEEDaS12_S13_EUlS12_E_NS1_11comp_targetILNS1_3genE2ELNS1_11target_archE906ELNS1_3gpuE6ELNS1_3repE0EEENS1_30default_config_static_selectorELNS0_4arch9wavefront6targetE0EEEvT1_.has_recursion, 0
	.set _ZN7rocprim17ROCPRIM_400000_NS6detail17trampoline_kernelINS0_14default_configENS1_25partition_config_selectorILNS1_17partition_subalgoE8EiNS0_10empty_typeEbEEZZNS1_14partition_implILS5_8ELb0ES3_jPKiPS6_PKS6_NS0_5tupleIJPiS6_EEENSE_IJSB_SB_EEENS0_18inequality_wrapperIN6hipcub16HIPCUB_304000_NS8EqualityEEEPlJS6_EEE10hipError_tPvRmT3_T4_T5_T6_T7_T9_mT8_P12ihipStream_tbDpT10_ENKUlT_T0_E_clISt17integral_constantIbLb0EES16_IbLb1EEEEDaS12_S13_EUlS12_E_NS1_11comp_targetILNS1_3genE2ELNS1_11target_archE906ELNS1_3gpuE6ELNS1_3repE0EEENS1_30default_config_static_selectorELNS0_4arch9wavefront6targetE0EEEvT1_.has_indirect_call, 0
	.section	.AMDGPU.csdata,"",@progbits
; Kernel info:
; codeLenInByte = 0
; TotalNumSgprs: 0
; NumVgprs: 0
; ScratchSize: 0
; MemoryBound: 0
; FloatMode: 240
; IeeeMode: 1
; LDSByteSize: 0 bytes/workgroup (compile time only)
; SGPRBlocks: 0
; VGPRBlocks: 0
; NumSGPRsForWavesPerEU: 1
; NumVGPRsForWavesPerEU: 1
; NamedBarCnt: 0
; Occupancy: 16
; WaveLimiterHint : 0
; COMPUTE_PGM_RSRC2:SCRATCH_EN: 0
; COMPUTE_PGM_RSRC2:USER_SGPR: 2
; COMPUTE_PGM_RSRC2:TRAP_HANDLER: 0
; COMPUTE_PGM_RSRC2:TGID_X_EN: 1
; COMPUTE_PGM_RSRC2:TGID_Y_EN: 0
; COMPUTE_PGM_RSRC2:TGID_Z_EN: 0
; COMPUTE_PGM_RSRC2:TIDIG_COMP_CNT: 0
	.section	.text._ZN7rocprim17ROCPRIM_400000_NS6detail17trampoline_kernelINS0_14default_configENS1_25partition_config_selectorILNS1_17partition_subalgoE8EiNS0_10empty_typeEbEEZZNS1_14partition_implILS5_8ELb0ES3_jPKiPS6_PKS6_NS0_5tupleIJPiS6_EEENSE_IJSB_SB_EEENS0_18inequality_wrapperIN6hipcub16HIPCUB_304000_NS8EqualityEEEPlJS6_EEE10hipError_tPvRmT3_T4_T5_T6_T7_T9_mT8_P12ihipStream_tbDpT10_ENKUlT_T0_E_clISt17integral_constantIbLb0EES16_IbLb1EEEEDaS12_S13_EUlS12_E_NS1_11comp_targetILNS1_3genE10ELNS1_11target_archE1200ELNS1_3gpuE4ELNS1_3repE0EEENS1_30default_config_static_selectorELNS0_4arch9wavefront6targetE0EEEvT1_,"axG",@progbits,_ZN7rocprim17ROCPRIM_400000_NS6detail17trampoline_kernelINS0_14default_configENS1_25partition_config_selectorILNS1_17partition_subalgoE8EiNS0_10empty_typeEbEEZZNS1_14partition_implILS5_8ELb0ES3_jPKiPS6_PKS6_NS0_5tupleIJPiS6_EEENSE_IJSB_SB_EEENS0_18inequality_wrapperIN6hipcub16HIPCUB_304000_NS8EqualityEEEPlJS6_EEE10hipError_tPvRmT3_T4_T5_T6_T7_T9_mT8_P12ihipStream_tbDpT10_ENKUlT_T0_E_clISt17integral_constantIbLb0EES16_IbLb1EEEEDaS12_S13_EUlS12_E_NS1_11comp_targetILNS1_3genE10ELNS1_11target_archE1200ELNS1_3gpuE4ELNS1_3repE0EEENS1_30default_config_static_selectorELNS0_4arch9wavefront6targetE0EEEvT1_,comdat
	.protected	_ZN7rocprim17ROCPRIM_400000_NS6detail17trampoline_kernelINS0_14default_configENS1_25partition_config_selectorILNS1_17partition_subalgoE8EiNS0_10empty_typeEbEEZZNS1_14partition_implILS5_8ELb0ES3_jPKiPS6_PKS6_NS0_5tupleIJPiS6_EEENSE_IJSB_SB_EEENS0_18inequality_wrapperIN6hipcub16HIPCUB_304000_NS8EqualityEEEPlJS6_EEE10hipError_tPvRmT3_T4_T5_T6_T7_T9_mT8_P12ihipStream_tbDpT10_ENKUlT_T0_E_clISt17integral_constantIbLb0EES16_IbLb1EEEEDaS12_S13_EUlS12_E_NS1_11comp_targetILNS1_3genE10ELNS1_11target_archE1200ELNS1_3gpuE4ELNS1_3repE0EEENS1_30default_config_static_selectorELNS0_4arch9wavefront6targetE0EEEvT1_ ; -- Begin function _ZN7rocprim17ROCPRIM_400000_NS6detail17trampoline_kernelINS0_14default_configENS1_25partition_config_selectorILNS1_17partition_subalgoE8EiNS0_10empty_typeEbEEZZNS1_14partition_implILS5_8ELb0ES3_jPKiPS6_PKS6_NS0_5tupleIJPiS6_EEENSE_IJSB_SB_EEENS0_18inequality_wrapperIN6hipcub16HIPCUB_304000_NS8EqualityEEEPlJS6_EEE10hipError_tPvRmT3_T4_T5_T6_T7_T9_mT8_P12ihipStream_tbDpT10_ENKUlT_T0_E_clISt17integral_constantIbLb0EES16_IbLb1EEEEDaS12_S13_EUlS12_E_NS1_11comp_targetILNS1_3genE10ELNS1_11target_archE1200ELNS1_3gpuE4ELNS1_3repE0EEENS1_30default_config_static_selectorELNS0_4arch9wavefront6targetE0EEEvT1_
	.globl	_ZN7rocprim17ROCPRIM_400000_NS6detail17trampoline_kernelINS0_14default_configENS1_25partition_config_selectorILNS1_17partition_subalgoE8EiNS0_10empty_typeEbEEZZNS1_14partition_implILS5_8ELb0ES3_jPKiPS6_PKS6_NS0_5tupleIJPiS6_EEENSE_IJSB_SB_EEENS0_18inequality_wrapperIN6hipcub16HIPCUB_304000_NS8EqualityEEEPlJS6_EEE10hipError_tPvRmT3_T4_T5_T6_T7_T9_mT8_P12ihipStream_tbDpT10_ENKUlT_T0_E_clISt17integral_constantIbLb0EES16_IbLb1EEEEDaS12_S13_EUlS12_E_NS1_11comp_targetILNS1_3genE10ELNS1_11target_archE1200ELNS1_3gpuE4ELNS1_3repE0EEENS1_30default_config_static_selectorELNS0_4arch9wavefront6targetE0EEEvT1_
	.p2align	8
	.type	_ZN7rocprim17ROCPRIM_400000_NS6detail17trampoline_kernelINS0_14default_configENS1_25partition_config_selectorILNS1_17partition_subalgoE8EiNS0_10empty_typeEbEEZZNS1_14partition_implILS5_8ELb0ES3_jPKiPS6_PKS6_NS0_5tupleIJPiS6_EEENSE_IJSB_SB_EEENS0_18inequality_wrapperIN6hipcub16HIPCUB_304000_NS8EqualityEEEPlJS6_EEE10hipError_tPvRmT3_T4_T5_T6_T7_T9_mT8_P12ihipStream_tbDpT10_ENKUlT_T0_E_clISt17integral_constantIbLb0EES16_IbLb1EEEEDaS12_S13_EUlS12_E_NS1_11comp_targetILNS1_3genE10ELNS1_11target_archE1200ELNS1_3gpuE4ELNS1_3repE0EEENS1_30default_config_static_selectorELNS0_4arch9wavefront6targetE0EEEvT1_,@function
_ZN7rocprim17ROCPRIM_400000_NS6detail17trampoline_kernelINS0_14default_configENS1_25partition_config_selectorILNS1_17partition_subalgoE8EiNS0_10empty_typeEbEEZZNS1_14partition_implILS5_8ELb0ES3_jPKiPS6_PKS6_NS0_5tupleIJPiS6_EEENSE_IJSB_SB_EEENS0_18inequality_wrapperIN6hipcub16HIPCUB_304000_NS8EqualityEEEPlJS6_EEE10hipError_tPvRmT3_T4_T5_T6_T7_T9_mT8_P12ihipStream_tbDpT10_ENKUlT_T0_E_clISt17integral_constantIbLb0EES16_IbLb1EEEEDaS12_S13_EUlS12_E_NS1_11comp_targetILNS1_3genE10ELNS1_11target_archE1200ELNS1_3gpuE4ELNS1_3repE0EEENS1_30default_config_static_selectorELNS0_4arch9wavefront6targetE0EEEvT1_: ; @_ZN7rocprim17ROCPRIM_400000_NS6detail17trampoline_kernelINS0_14default_configENS1_25partition_config_selectorILNS1_17partition_subalgoE8EiNS0_10empty_typeEbEEZZNS1_14partition_implILS5_8ELb0ES3_jPKiPS6_PKS6_NS0_5tupleIJPiS6_EEENSE_IJSB_SB_EEENS0_18inequality_wrapperIN6hipcub16HIPCUB_304000_NS8EqualityEEEPlJS6_EEE10hipError_tPvRmT3_T4_T5_T6_T7_T9_mT8_P12ihipStream_tbDpT10_ENKUlT_T0_E_clISt17integral_constantIbLb0EES16_IbLb1EEEEDaS12_S13_EUlS12_E_NS1_11comp_targetILNS1_3genE10ELNS1_11target_archE1200ELNS1_3gpuE4ELNS1_3repE0EEENS1_30default_config_static_selectorELNS0_4arch9wavefront6targetE0EEEvT1_
; %bb.0:
	.section	.rodata,"a",@progbits
	.p2align	6, 0x0
	.amdhsa_kernel _ZN7rocprim17ROCPRIM_400000_NS6detail17trampoline_kernelINS0_14default_configENS1_25partition_config_selectorILNS1_17partition_subalgoE8EiNS0_10empty_typeEbEEZZNS1_14partition_implILS5_8ELb0ES3_jPKiPS6_PKS6_NS0_5tupleIJPiS6_EEENSE_IJSB_SB_EEENS0_18inequality_wrapperIN6hipcub16HIPCUB_304000_NS8EqualityEEEPlJS6_EEE10hipError_tPvRmT3_T4_T5_T6_T7_T9_mT8_P12ihipStream_tbDpT10_ENKUlT_T0_E_clISt17integral_constantIbLb0EES16_IbLb1EEEEDaS12_S13_EUlS12_E_NS1_11comp_targetILNS1_3genE10ELNS1_11target_archE1200ELNS1_3gpuE4ELNS1_3repE0EEENS1_30default_config_static_selectorELNS0_4arch9wavefront6targetE0EEEvT1_
		.amdhsa_group_segment_fixed_size 0
		.amdhsa_private_segment_fixed_size 0
		.amdhsa_kernarg_size 128
		.amdhsa_user_sgpr_count 2
		.amdhsa_user_sgpr_dispatch_ptr 0
		.amdhsa_user_sgpr_queue_ptr 0
		.amdhsa_user_sgpr_kernarg_segment_ptr 1
		.amdhsa_user_sgpr_dispatch_id 0
		.amdhsa_user_sgpr_kernarg_preload_length 0
		.amdhsa_user_sgpr_kernarg_preload_offset 0
		.amdhsa_user_sgpr_private_segment_size 0
		.amdhsa_wavefront_size32 1
		.amdhsa_uses_dynamic_stack 0
		.amdhsa_enable_private_segment 0
		.amdhsa_system_sgpr_workgroup_id_x 1
		.amdhsa_system_sgpr_workgroup_id_y 0
		.amdhsa_system_sgpr_workgroup_id_z 0
		.amdhsa_system_sgpr_workgroup_info 0
		.amdhsa_system_vgpr_workitem_id 0
		.amdhsa_next_free_vgpr 1
		.amdhsa_next_free_sgpr 1
		.amdhsa_named_barrier_count 0
		.amdhsa_reserve_vcc 0
		.amdhsa_float_round_mode_32 0
		.amdhsa_float_round_mode_16_64 0
		.amdhsa_float_denorm_mode_32 3
		.amdhsa_float_denorm_mode_16_64 3
		.amdhsa_fp16_overflow 0
		.amdhsa_memory_ordered 1
		.amdhsa_forward_progress 1
		.amdhsa_inst_pref_size 0
		.amdhsa_round_robin_scheduling 0
		.amdhsa_exception_fp_ieee_invalid_op 0
		.amdhsa_exception_fp_denorm_src 0
		.amdhsa_exception_fp_ieee_div_zero 0
		.amdhsa_exception_fp_ieee_overflow 0
		.amdhsa_exception_fp_ieee_underflow 0
		.amdhsa_exception_fp_ieee_inexact 0
		.amdhsa_exception_int_div_zero 0
	.end_amdhsa_kernel
	.section	.text._ZN7rocprim17ROCPRIM_400000_NS6detail17trampoline_kernelINS0_14default_configENS1_25partition_config_selectorILNS1_17partition_subalgoE8EiNS0_10empty_typeEbEEZZNS1_14partition_implILS5_8ELb0ES3_jPKiPS6_PKS6_NS0_5tupleIJPiS6_EEENSE_IJSB_SB_EEENS0_18inequality_wrapperIN6hipcub16HIPCUB_304000_NS8EqualityEEEPlJS6_EEE10hipError_tPvRmT3_T4_T5_T6_T7_T9_mT8_P12ihipStream_tbDpT10_ENKUlT_T0_E_clISt17integral_constantIbLb0EES16_IbLb1EEEEDaS12_S13_EUlS12_E_NS1_11comp_targetILNS1_3genE10ELNS1_11target_archE1200ELNS1_3gpuE4ELNS1_3repE0EEENS1_30default_config_static_selectorELNS0_4arch9wavefront6targetE0EEEvT1_,"axG",@progbits,_ZN7rocprim17ROCPRIM_400000_NS6detail17trampoline_kernelINS0_14default_configENS1_25partition_config_selectorILNS1_17partition_subalgoE8EiNS0_10empty_typeEbEEZZNS1_14partition_implILS5_8ELb0ES3_jPKiPS6_PKS6_NS0_5tupleIJPiS6_EEENSE_IJSB_SB_EEENS0_18inequality_wrapperIN6hipcub16HIPCUB_304000_NS8EqualityEEEPlJS6_EEE10hipError_tPvRmT3_T4_T5_T6_T7_T9_mT8_P12ihipStream_tbDpT10_ENKUlT_T0_E_clISt17integral_constantIbLb0EES16_IbLb1EEEEDaS12_S13_EUlS12_E_NS1_11comp_targetILNS1_3genE10ELNS1_11target_archE1200ELNS1_3gpuE4ELNS1_3repE0EEENS1_30default_config_static_selectorELNS0_4arch9wavefront6targetE0EEEvT1_,comdat
.Lfunc_end218:
	.size	_ZN7rocprim17ROCPRIM_400000_NS6detail17trampoline_kernelINS0_14default_configENS1_25partition_config_selectorILNS1_17partition_subalgoE8EiNS0_10empty_typeEbEEZZNS1_14partition_implILS5_8ELb0ES3_jPKiPS6_PKS6_NS0_5tupleIJPiS6_EEENSE_IJSB_SB_EEENS0_18inequality_wrapperIN6hipcub16HIPCUB_304000_NS8EqualityEEEPlJS6_EEE10hipError_tPvRmT3_T4_T5_T6_T7_T9_mT8_P12ihipStream_tbDpT10_ENKUlT_T0_E_clISt17integral_constantIbLb0EES16_IbLb1EEEEDaS12_S13_EUlS12_E_NS1_11comp_targetILNS1_3genE10ELNS1_11target_archE1200ELNS1_3gpuE4ELNS1_3repE0EEENS1_30default_config_static_selectorELNS0_4arch9wavefront6targetE0EEEvT1_, .Lfunc_end218-_ZN7rocprim17ROCPRIM_400000_NS6detail17trampoline_kernelINS0_14default_configENS1_25partition_config_selectorILNS1_17partition_subalgoE8EiNS0_10empty_typeEbEEZZNS1_14partition_implILS5_8ELb0ES3_jPKiPS6_PKS6_NS0_5tupleIJPiS6_EEENSE_IJSB_SB_EEENS0_18inequality_wrapperIN6hipcub16HIPCUB_304000_NS8EqualityEEEPlJS6_EEE10hipError_tPvRmT3_T4_T5_T6_T7_T9_mT8_P12ihipStream_tbDpT10_ENKUlT_T0_E_clISt17integral_constantIbLb0EES16_IbLb1EEEEDaS12_S13_EUlS12_E_NS1_11comp_targetILNS1_3genE10ELNS1_11target_archE1200ELNS1_3gpuE4ELNS1_3repE0EEENS1_30default_config_static_selectorELNS0_4arch9wavefront6targetE0EEEvT1_
                                        ; -- End function
	.set _ZN7rocprim17ROCPRIM_400000_NS6detail17trampoline_kernelINS0_14default_configENS1_25partition_config_selectorILNS1_17partition_subalgoE8EiNS0_10empty_typeEbEEZZNS1_14partition_implILS5_8ELb0ES3_jPKiPS6_PKS6_NS0_5tupleIJPiS6_EEENSE_IJSB_SB_EEENS0_18inequality_wrapperIN6hipcub16HIPCUB_304000_NS8EqualityEEEPlJS6_EEE10hipError_tPvRmT3_T4_T5_T6_T7_T9_mT8_P12ihipStream_tbDpT10_ENKUlT_T0_E_clISt17integral_constantIbLb0EES16_IbLb1EEEEDaS12_S13_EUlS12_E_NS1_11comp_targetILNS1_3genE10ELNS1_11target_archE1200ELNS1_3gpuE4ELNS1_3repE0EEENS1_30default_config_static_selectorELNS0_4arch9wavefront6targetE0EEEvT1_.num_vgpr, 0
	.set _ZN7rocprim17ROCPRIM_400000_NS6detail17trampoline_kernelINS0_14default_configENS1_25partition_config_selectorILNS1_17partition_subalgoE8EiNS0_10empty_typeEbEEZZNS1_14partition_implILS5_8ELb0ES3_jPKiPS6_PKS6_NS0_5tupleIJPiS6_EEENSE_IJSB_SB_EEENS0_18inequality_wrapperIN6hipcub16HIPCUB_304000_NS8EqualityEEEPlJS6_EEE10hipError_tPvRmT3_T4_T5_T6_T7_T9_mT8_P12ihipStream_tbDpT10_ENKUlT_T0_E_clISt17integral_constantIbLb0EES16_IbLb1EEEEDaS12_S13_EUlS12_E_NS1_11comp_targetILNS1_3genE10ELNS1_11target_archE1200ELNS1_3gpuE4ELNS1_3repE0EEENS1_30default_config_static_selectorELNS0_4arch9wavefront6targetE0EEEvT1_.num_agpr, 0
	.set _ZN7rocprim17ROCPRIM_400000_NS6detail17trampoline_kernelINS0_14default_configENS1_25partition_config_selectorILNS1_17partition_subalgoE8EiNS0_10empty_typeEbEEZZNS1_14partition_implILS5_8ELb0ES3_jPKiPS6_PKS6_NS0_5tupleIJPiS6_EEENSE_IJSB_SB_EEENS0_18inequality_wrapperIN6hipcub16HIPCUB_304000_NS8EqualityEEEPlJS6_EEE10hipError_tPvRmT3_T4_T5_T6_T7_T9_mT8_P12ihipStream_tbDpT10_ENKUlT_T0_E_clISt17integral_constantIbLb0EES16_IbLb1EEEEDaS12_S13_EUlS12_E_NS1_11comp_targetILNS1_3genE10ELNS1_11target_archE1200ELNS1_3gpuE4ELNS1_3repE0EEENS1_30default_config_static_selectorELNS0_4arch9wavefront6targetE0EEEvT1_.numbered_sgpr, 0
	.set _ZN7rocprim17ROCPRIM_400000_NS6detail17trampoline_kernelINS0_14default_configENS1_25partition_config_selectorILNS1_17partition_subalgoE8EiNS0_10empty_typeEbEEZZNS1_14partition_implILS5_8ELb0ES3_jPKiPS6_PKS6_NS0_5tupleIJPiS6_EEENSE_IJSB_SB_EEENS0_18inequality_wrapperIN6hipcub16HIPCUB_304000_NS8EqualityEEEPlJS6_EEE10hipError_tPvRmT3_T4_T5_T6_T7_T9_mT8_P12ihipStream_tbDpT10_ENKUlT_T0_E_clISt17integral_constantIbLb0EES16_IbLb1EEEEDaS12_S13_EUlS12_E_NS1_11comp_targetILNS1_3genE10ELNS1_11target_archE1200ELNS1_3gpuE4ELNS1_3repE0EEENS1_30default_config_static_selectorELNS0_4arch9wavefront6targetE0EEEvT1_.num_named_barrier, 0
	.set _ZN7rocprim17ROCPRIM_400000_NS6detail17trampoline_kernelINS0_14default_configENS1_25partition_config_selectorILNS1_17partition_subalgoE8EiNS0_10empty_typeEbEEZZNS1_14partition_implILS5_8ELb0ES3_jPKiPS6_PKS6_NS0_5tupleIJPiS6_EEENSE_IJSB_SB_EEENS0_18inequality_wrapperIN6hipcub16HIPCUB_304000_NS8EqualityEEEPlJS6_EEE10hipError_tPvRmT3_T4_T5_T6_T7_T9_mT8_P12ihipStream_tbDpT10_ENKUlT_T0_E_clISt17integral_constantIbLb0EES16_IbLb1EEEEDaS12_S13_EUlS12_E_NS1_11comp_targetILNS1_3genE10ELNS1_11target_archE1200ELNS1_3gpuE4ELNS1_3repE0EEENS1_30default_config_static_selectorELNS0_4arch9wavefront6targetE0EEEvT1_.private_seg_size, 0
	.set _ZN7rocprim17ROCPRIM_400000_NS6detail17trampoline_kernelINS0_14default_configENS1_25partition_config_selectorILNS1_17partition_subalgoE8EiNS0_10empty_typeEbEEZZNS1_14partition_implILS5_8ELb0ES3_jPKiPS6_PKS6_NS0_5tupleIJPiS6_EEENSE_IJSB_SB_EEENS0_18inequality_wrapperIN6hipcub16HIPCUB_304000_NS8EqualityEEEPlJS6_EEE10hipError_tPvRmT3_T4_T5_T6_T7_T9_mT8_P12ihipStream_tbDpT10_ENKUlT_T0_E_clISt17integral_constantIbLb0EES16_IbLb1EEEEDaS12_S13_EUlS12_E_NS1_11comp_targetILNS1_3genE10ELNS1_11target_archE1200ELNS1_3gpuE4ELNS1_3repE0EEENS1_30default_config_static_selectorELNS0_4arch9wavefront6targetE0EEEvT1_.uses_vcc, 0
	.set _ZN7rocprim17ROCPRIM_400000_NS6detail17trampoline_kernelINS0_14default_configENS1_25partition_config_selectorILNS1_17partition_subalgoE8EiNS0_10empty_typeEbEEZZNS1_14partition_implILS5_8ELb0ES3_jPKiPS6_PKS6_NS0_5tupleIJPiS6_EEENSE_IJSB_SB_EEENS0_18inequality_wrapperIN6hipcub16HIPCUB_304000_NS8EqualityEEEPlJS6_EEE10hipError_tPvRmT3_T4_T5_T6_T7_T9_mT8_P12ihipStream_tbDpT10_ENKUlT_T0_E_clISt17integral_constantIbLb0EES16_IbLb1EEEEDaS12_S13_EUlS12_E_NS1_11comp_targetILNS1_3genE10ELNS1_11target_archE1200ELNS1_3gpuE4ELNS1_3repE0EEENS1_30default_config_static_selectorELNS0_4arch9wavefront6targetE0EEEvT1_.uses_flat_scratch, 0
	.set _ZN7rocprim17ROCPRIM_400000_NS6detail17trampoline_kernelINS0_14default_configENS1_25partition_config_selectorILNS1_17partition_subalgoE8EiNS0_10empty_typeEbEEZZNS1_14partition_implILS5_8ELb0ES3_jPKiPS6_PKS6_NS0_5tupleIJPiS6_EEENSE_IJSB_SB_EEENS0_18inequality_wrapperIN6hipcub16HIPCUB_304000_NS8EqualityEEEPlJS6_EEE10hipError_tPvRmT3_T4_T5_T6_T7_T9_mT8_P12ihipStream_tbDpT10_ENKUlT_T0_E_clISt17integral_constantIbLb0EES16_IbLb1EEEEDaS12_S13_EUlS12_E_NS1_11comp_targetILNS1_3genE10ELNS1_11target_archE1200ELNS1_3gpuE4ELNS1_3repE0EEENS1_30default_config_static_selectorELNS0_4arch9wavefront6targetE0EEEvT1_.has_dyn_sized_stack, 0
	.set _ZN7rocprim17ROCPRIM_400000_NS6detail17trampoline_kernelINS0_14default_configENS1_25partition_config_selectorILNS1_17partition_subalgoE8EiNS0_10empty_typeEbEEZZNS1_14partition_implILS5_8ELb0ES3_jPKiPS6_PKS6_NS0_5tupleIJPiS6_EEENSE_IJSB_SB_EEENS0_18inequality_wrapperIN6hipcub16HIPCUB_304000_NS8EqualityEEEPlJS6_EEE10hipError_tPvRmT3_T4_T5_T6_T7_T9_mT8_P12ihipStream_tbDpT10_ENKUlT_T0_E_clISt17integral_constantIbLb0EES16_IbLb1EEEEDaS12_S13_EUlS12_E_NS1_11comp_targetILNS1_3genE10ELNS1_11target_archE1200ELNS1_3gpuE4ELNS1_3repE0EEENS1_30default_config_static_selectorELNS0_4arch9wavefront6targetE0EEEvT1_.has_recursion, 0
	.set _ZN7rocprim17ROCPRIM_400000_NS6detail17trampoline_kernelINS0_14default_configENS1_25partition_config_selectorILNS1_17partition_subalgoE8EiNS0_10empty_typeEbEEZZNS1_14partition_implILS5_8ELb0ES3_jPKiPS6_PKS6_NS0_5tupleIJPiS6_EEENSE_IJSB_SB_EEENS0_18inequality_wrapperIN6hipcub16HIPCUB_304000_NS8EqualityEEEPlJS6_EEE10hipError_tPvRmT3_T4_T5_T6_T7_T9_mT8_P12ihipStream_tbDpT10_ENKUlT_T0_E_clISt17integral_constantIbLb0EES16_IbLb1EEEEDaS12_S13_EUlS12_E_NS1_11comp_targetILNS1_3genE10ELNS1_11target_archE1200ELNS1_3gpuE4ELNS1_3repE0EEENS1_30default_config_static_selectorELNS0_4arch9wavefront6targetE0EEEvT1_.has_indirect_call, 0
	.section	.AMDGPU.csdata,"",@progbits
; Kernel info:
; codeLenInByte = 0
; TotalNumSgprs: 0
; NumVgprs: 0
; ScratchSize: 0
; MemoryBound: 0
; FloatMode: 240
; IeeeMode: 1
; LDSByteSize: 0 bytes/workgroup (compile time only)
; SGPRBlocks: 0
; VGPRBlocks: 0
; NumSGPRsForWavesPerEU: 1
; NumVGPRsForWavesPerEU: 1
; NamedBarCnt: 0
; Occupancy: 16
; WaveLimiterHint : 0
; COMPUTE_PGM_RSRC2:SCRATCH_EN: 0
; COMPUTE_PGM_RSRC2:USER_SGPR: 2
; COMPUTE_PGM_RSRC2:TRAP_HANDLER: 0
; COMPUTE_PGM_RSRC2:TGID_X_EN: 1
; COMPUTE_PGM_RSRC2:TGID_Y_EN: 0
; COMPUTE_PGM_RSRC2:TGID_Z_EN: 0
; COMPUTE_PGM_RSRC2:TIDIG_COMP_CNT: 0
	.section	.text._ZN7rocprim17ROCPRIM_400000_NS6detail17trampoline_kernelINS0_14default_configENS1_25partition_config_selectorILNS1_17partition_subalgoE8EiNS0_10empty_typeEbEEZZNS1_14partition_implILS5_8ELb0ES3_jPKiPS6_PKS6_NS0_5tupleIJPiS6_EEENSE_IJSB_SB_EEENS0_18inequality_wrapperIN6hipcub16HIPCUB_304000_NS8EqualityEEEPlJS6_EEE10hipError_tPvRmT3_T4_T5_T6_T7_T9_mT8_P12ihipStream_tbDpT10_ENKUlT_T0_E_clISt17integral_constantIbLb0EES16_IbLb1EEEEDaS12_S13_EUlS12_E_NS1_11comp_targetILNS1_3genE9ELNS1_11target_archE1100ELNS1_3gpuE3ELNS1_3repE0EEENS1_30default_config_static_selectorELNS0_4arch9wavefront6targetE0EEEvT1_,"axG",@progbits,_ZN7rocprim17ROCPRIM_400000_NS6detail17trampoline_kernelINS0_14default_configENS1_25partition_config_selectorILNS1_17partition_subalgoE8EiNS0_10empty_typeEbEEZZNS1_14partition_implILS5_8ELb0ES3_jPKiPS6_PKS6_NS0_5tupleIJPiS6_EEENSE_IJSB_SB_EEENS0_18inequality_wrapperIN6hipcub16HIPCUB_304000_NS8EqualityEEEPlJS6_EEE10hipError_tPvRmT3_T4_T5_T6_T7_T9_mT8_P12ihipStream_tbDpT10_ENKUlT_T0_E_clISt17integral_constantIbLb0EES16_IbLb1EEEEDaS12_S13_EUlS12_E_NS1_11comp_targetILNS1_3genE9ELNS1_11target_archE1100ELNS1_3gpuE3ELNS1_3repE0EEENS1_30default_config_static_selectorELNS0_4arch9wavefront6targetE0EEEvT1_,comdat
	.protected	_ZN7rocprim17ROCPRIM_400000_NS6detail17trampoline_kernelINS0_14default_configENS1_25partition_config_selectorILNS1_17partition_subalgoE8EiNS0_10empty_typeEbEEZZNS1_14partition_implILS5_8ELb0ES3_jPKiPS6_PKS6_NS0_5tupleIJPiS6_EEENSE_IJSB_SB_EEENS0_18inequality_wrapperIN6hipcub16HIPCUB_304000_NS8EqualityEEEPlJS6_EEE10hipError_tPvRmT3_T4_T5_T6_T7_T9_mT8_P12ihipStream_tbDpT10_ENKUlT_T0_E_clISt17integral_constantIbLb0EES16_IbLb1EEEEDaS12_S13_EUlS12_E_NS1_11comp_targetILNS1_3genE9ELNS1_11target_archE1100ELNS1_3gpuE3ELNS1_3repE0EEENS1_30default_config_static_selectorELNS0_4arch9wavefront6targetE0EEEvT1_ ; -- Begin function _ZN7rocprim17ROCPRIM_400000_NS6detail17trampoline_kernelINS0_14default_configENS1_25partition_config_selectorILNS1_17partition_subalgoE8EiNS0_10empty_typeEbEEZZNS1_14partition_implILS5_8ELb0ES3_jPKiPS6_PKS6_NS0_5tupleIJPiS6_EEENSE_IJSB_SB_EEENS0_18inequality_wrapperIN6hipcub16HIPCUB_304000_NS8EqualityEEEPlJS6_EEE10hipError_tPvRmT3_T4_T5_T6_T7_T9_mT8_P12ihipStream_tbDpT10_ENKUlT_T0_E_clISt17integral_constantIbLb0EES16_IbLb1EEEEDaS12_S13_EUlS12_E_NS1_11comp_targetILNS1_3genE9ELNS1_11target_archE1100ELNS1_3gpuE3ELNS1_3repE0EEENS1_30default_config_static_selectorELNS0_4arch9wavefront6targetE0EEEvT1_
	.globl	_ZN7rocprim17ROCPRIM_400000_NS6detail17trampoline_kernelINS0_14default_configENS1_25partition_config_selectorILNS1_17partition_subalgoE8EiNS0_10empty_typeEbEEZZNS1_14partition_implILS5_8ELb0ES3_jPKiPS6_PKS6_NS0_5tupleIJPiS6_EEENSE_IJSB_SB_EEENS0_18inequality_wrapperIN6hipcub16HIPCUB_304000_NS8EqualityEEEPlJS6_EEE10hipError_tPvRmT3_T4_T5_T6_T7_T9_mT8_P12ihipStream_tbDpT10_ENKUlT_T0_E_clISt17integral_constantIbLb0EES16_IbLb1EEEEDaS12_S13_EUlS12_E_NS1_11comp_targetILNS1_3genE9ELNS1_11target_archE1100ELNS1_3gpuE3ELNS1_3repE0EEENS1_30default_config_static_selectorELNS0_4arch9wavefront6targetE0EEEvT1_
	.p2align	8
	.type	_ZN7rocprim17ROCPRIM_400000_NS6detail17trampoline_kernelINS0_14default_configENS1_25partition_config_selectorILNS1_17partition_subalgoE8EiNS0_10empty_typeEbEEZZNS1_14partition_implILS5_8ELb0ES3_jPKiPS6_PKS6_NS0_5tupleIJPiS6_EEENSE_IJSB_SB_EEENS0_18inequality_wrapperIN6hipcub16HIPCUB_304000_NS8EqualityEEEPlJS6_EEE10hipError_tPvRmT3_T4_T5_T6_T7_T9_mT8_P12ihipStream_tbDpT10_ENKUlT_T0_E_clISt17integral_constantIbLb0EES16_IbLb1EEEEDaS12_S13_EUlS12_E_NS1_11comp_targetILNS1_3genE9ELNS1_11target_archE1100ELNS1_3gpuE3ELNS1_3repE0EEENS1_30default_config_static_selectorELNS0_4arch9wavefront6targetE0EEEvT1_,@function
_ZN7rocprim17ROCPRIM_400000_NS6detail17trampoline_kernelINS0_14default_configENS1_25partition_config_selectorILNS1_17partition_subalgoE8EiNS0_10empty_typeEbEEZZNS1_14partition_implILS5_8ELb0ES3_jPKiPS6_PKS6_NS0_5tupleIJPiS6_EEENSE_IJSB_SB_EEENS0_18inequality_wrapperIN6hipcub16HIPCUB_304000_NS8EqualityEEEPlJS6_EEE10hipError_tPvRmT3_T4_T5_T6_T7_T9_mT8_P12ihipStream_tbDpT10_ENKUlT_T0_E_clISt17integral_constantIbLb0EES16_IbLb1EEEEDaS12_S13_EUlS12_E_NS1_11comp_targetILNS1_3genE9ELNS1_11target_archE1100ELNS1_3gpuE3ELNS1_3repE0EEENS1_30default_config_static_selectorELNS0_4arch9wavefront6targetE0EEEvT1_: ; @_ZN7rocprim17ROCPRIM_400000_NS6detail17trampoline_kernelINS0_14default_configENS1_25partition_config_selectorILNS1_17partition_subalgoE8EiNS0_10empty_typeEbEEZZNS1_14partition_implILS5_8ELb0ES3_jPKiPS6_PKS6_NS0_5tupleIJPiS6_EEENSE_IJSB_SB_EEENS0_18inequality_wrapperIN6hipcub16HIPCUB_304000_NS8EqualityEEEPlJS6_EEE10hipError_tPvRmT3_T4_T5_T6_T7_T9_mT8_P12ihipStream_tbDpT10_ENKUlT_T0_E_clISt17integral_constantIbLb0EES16_IbLb1EEEEDaS12_S13_EUlS12_E_NS1_11comp_targetILNS1_3genE9ELNS1_11target_archE1100ELNS1_3gpuE3ELNS1_3repE0EEENS1_30default_config_static_selectorELNS0_4arch9wavefront6targetE0EEEvT1_
; %bb.0:
	.section	.rodata,"a",@progbits
	.p2align	6, 0x0
	.amdhsa_kernel _ZN7rocprim17ROCPRIM_400000_NS6detail17trampoline_kernelINS0_14default_configENS1_25partition_config_selectorILNS1_17partition_subalgoE8EiNS0_10empty_typeEbEEZZNS1_14partition_implILS5_8ELb0ES3_jPKiPS6_PKS6_NS0_5tupleIJPiS6_EEENSE_IJSB_SB_EEENS0_18inequality_wrapperIN6hipcub16HIPCUB_304000_NS8EqualityEEEPlJS6_EEE10hipError_tPvRmT3_T4_T5_T6_T7_T9_mT8_P12ihipStream_tbDpT10_ENKUlT_T0_E_clISt17integral_constantIbLb0EES16_IbLb1EEEEDaS12_S13_EUlS12_E_NS1_11comp_targetILNS1_3genE9ELNS1_11target_archE1100ELNS1_3gpuE3ELNS1_3repE0EEENS1_30default_config_static_selectorELNS0_4arch9wavefront6targetE0EEEvT1_
		.amdhsa_group_segment_fixed_size 0
		.amdhsa_private_segment_fixed_size 0
		.amdhsa_kernarg_size 128
		.amdhsa_user_sgpr_count 2
		.amdhsa_user_sgpr_dispatch_ptr 0
		.amdhsa_user_sgpr_queue_ptr 0
		.amdhsa_user_sgpr_kernarg_segment_ptr 1
		.amdhsa_user_sgpr_dispatch_id 0
		.amdhsa_user_sgpr_kernarg_preload_length 0
		.amdhsa_user_sgpr_kernarg_preload_offset 0
		.amdhsa_user_sgpr_private_segment_size 0
		.amdhsa_wavefront_size32 1
		.amdhsa_uses_dynamic_stack 0
		.amdhsa_enable_private_segment 0
		.amdhsa_system_sgpr_workgroup_id_x 1
		.amdhsa_system_sgpr_workgroup_id_y 0
		.amdhsa_system_sgpr_workgroup_id_z 0
		.amdhsa_system_sgpr_workgroup_info 0
		.amdhsa_system_vgpr_workitem_id 0
		.amdhsa_next_free_vgpr 1
		.amdhsa_next_free_sgpr 1
		.amdhsa_named_barrier_count 0
		.amdhsa_reserve_vcc 0
		.amdhsa_float_round_mode_32 0
		.amdhsa_float_round_mode_16_64 0
		.amdhsa_float_denorm_mode_32 3
		.amdhsa_float_denorm_mode_16_64 3
		.amdhsa_fp16_overflow 0
		.amdhsa_memory_ordered 1
		.amdhsa_forward_progress 1
		.amdhsa_inst_pref_size 0
		.amdhsa_round_robin_scheduling 0
		.amdhsa_exception_fp_ieee_invalid_op 0
		.amdhsa_exception_fp_denorm_src 0
		.amdhsa_exception_fp_ieee_div_zero 0
		.amdhsa_exception_fp_ieee_overflow 0
		.amdhsa_exception_fp_ieee_underflow 0
		.amdhsa_exception_fp_ieee_inexact 0
		.amdhsa_exception_int_div_zero 0
	.end_amdhsa_kernel
	.section	.text._ZN7rocprim17ROCPRIM_400000_NS6detail17trampoline_kernelINS0_14default_configENS1_25partition_config_selectorILNS1_17partition_subalgoE8EiNS0_10empty_typeEbEEZZNS1_14partition_implILS5_8ELb0ES3_jPKiPS6_PKS6_NS0_5tupleIJPiS6_EEENSE_IJSB_SB_EEENS0_18inequality_wrapperIN6hipcub16HIPCUB_304000_NS8EqualityEEEPlJS6_EEE10hipError_tPvRmT3_T4_T5_T6_T7_T9_mT8_P12ihipStream_tbDpT10_ENKUlT_T0_E_clISt17integral_constantIbLb0EES16_IbLb1EEEEDaS12_S13_EUlS12_E_NS1_11comp_targetILNS1_3genE9ELNS1_11target_archE1100ELNS1_3gpuE3ELNS1_3repE0EEENS1_30default_config_static_selectorELNS0_4arch9wavefront6targetE0EEEvT1_,"axG",@progbits,_ZN7rocprim17ROCPRIM_400000_NS6detail17trampoline_kernelINS0_14default_configENS1_25partition_config_selectorILNS1_17partition_subalgoE8EiNS0_10empty_typeEbEEZZNS1_14partition_implILS5_8ELb0ES3_jPKiPS6_PKS6_NS0_5tupleIJPiS6_EEENSE_IJSB_SB_EEENS0_18inequality_wrapperIN6hipcub16HIPCUB_304000_NS8EqualityEEEPlJS6_EEE10hipError_tPvRmT3_T4_T5_T6_T7_T9_mT8_P12ihipStream_tbDpT10_ENKUlT_T0_E_clISt17integral_constantIbLb0EES16_IbLb1EEEEDaS12_S13_EUlS12_E_NS1_11comp_targetILNS1_3genE9ELNS1_11target_archE1100ELNS1_3gpuE3ELNS1_3repE0EEENS1_30default_config_static_selectorELNS0_4arch9wavefront6targetE0EEEvT1_,comdat
.Lfunc_end219:
	.size	_ZN7rocprim17ROCPRIM_400000_NS6detail17trampoline_kernelINS0_14default_configENS1_25partition_config_selectorILNS1_17partition_subalgoE8EiNS0_10empty_typeEbEEZZNS1_14partition_implILS5_8ELb0ES3_jPKiPS6_PKS6_NS0_5tupleIJPiS6_EEENSE_IJSB_SB_EEENS0_18inequality_wrapperIN6hipcub16HIPCUB_304000_NS8EqualityEEEPlJS6_EEE10hipError_tPvRmT3_T4_T5_T6_T7_T9_mT8_P12ihipStream_tbDpT10_ENKUlT_T0_E_clISt17integral_constantIbLb0EES16_IbLb1EEEEDaS12_S13_EUlS12_E_NS1_11comp_targetILNS1_3genE9ELNS1_11target_archE1100ELNS1_3gpuE3ELNS1_3repE0EEENS1_30default_config_static_selectorELNS0_4arch9wavefront6targetE0EEEvT1_, .Lfunc_end219-_ZN7rocprim17ROCPRIM_400000_NS6detail17trampoline_kernelINS0_14default_configENS1_25partition_config_selectorILNS1_17partition_subalgoE8EiNS0_10empty_typeEbEEZZNS1_14partition_implILS5_8ELb0ES3_jPKiPS6_PKS6_NS0_5tupleIJPiS6_EEENSE_IJSB_SB_EEENS0_18inequality_wrapperIN6hipcub16HIPCUB_304000_NS8EqualityEEEPlJS6_EEE10hipError_tPvRmT3_T4_T5_T6_T7_T9_mT8_P12ihipStream_tbDpT10_ENKUlT_T0_E_clISt17integral_constantIbLb0EES16_IbLb1EEEEDaS12_S13_EUlS12_E_NS1_11comp_targetILNS1_3genE9ELNS1_11target_archE1100ELNS1_3gpuE3ELNS1_3repE0EEENS1_30default_config_static_selectorELNS0_4arch9wavefront6targetE0EEEvT1_
                                        ; -- End function
	.set _ZN7rocprim17ROCPRIM_400000_NS6detail17trampoline_kernelINS0_14default_configENS1_25partition_config_selectorILNS1_17partition_subalgoE8EiNS0_10empty_typeEbEEZZNS1_14partition_implILS5_8ELb0ES3_jPKiPS6_PKS6_NS0_5tupleIJPiS6_EEENSE_IJSB_SB_EEENS0_18inequality_wrapperIN6hipcub16HIPCUB_304000_NS8EqualityEEEPlJS6_EEE10hipError_tPvRmT3_T4_T5_T6_T7_T9_mT8_P12ihipStream_tbDpT10_ENKUlT_T0_E_clISt17integral_constantIbLb0EES16_IbLb1EEEEDaS12_S13_EUlS12_E_NS1_11comp_targetILNS1_3genE9ELNS1_11target_archE1100ELNS1_3gpuE3ELNS1_3repE0EEENS1_30default_config_static_selectorELNS0_4arch9wavefront6targetE0EEEvT1_.num_vgpr, 0
	.set _ZN7rocprim17ROCPRIM_400000_NS6detail17trampoline_kernelINS0_14default_configENS1_25partition_config_selectorILNS1_17partition_subalgoE8EiNS0_10empty_typeEbEEZZNS1_14partition_implILS5_8ELb0ES3_jPKiPS6_PKS6_NS0_5tupleIJPiS6_EEENSE_IJSB_SB_EEENS0_18inequality_wrapperIN6hipcub16HIPCUB_304000_NS8EqualityEEEPlJS6_EEE10hipError_tPvRmT3_T4_T5_T6_T7_T9_mT8_P12ihipStream_tbDpT10_ENKUlT_T0_E_clISt17integral_constantIbLb0EES16_IbLb1EEEEDaS12_S13_EUlS12_E_NS1_11comp_targetILNS1_3genE9ELNS1_11target_archE1100ELNS1_3gpuE3ELNS1_3repE0EEENS1_30default_config_static_selectorELNS0_4arch9wavefront6targetE0EEEvT1_.num_agpr, 0
	.set _ZN7rocprim17ROCPRIM_400000_NS6detail17trampoline_kernelINS0_14default_configENS1_25partition_config_selectorILNS1_17partition_subalgoE8EiNS0_10empty_typeEbEEZZNS1_14partition_implILS5_8ELb0ES3_jPKiPS6_PKS6_NS0_5tupleIJPiS6_EEENSE_IJSB_SB_EEENS0_18inequality_wrapperIN6hipcub16HIPCUB_304000_NS8EqualityEEEPlJS6_EEE10hipError_tPvRmT3_T4_T5_T6_T7_T9_mT8_P12ihipStream_tbDpT10_ENKUlT_T0_E_clISt17integral_constantIbLb0EES16_IbLb1EEEEDaS12_S13_EUlS12_E_NS1_11comp_targetILNS1_3genE9ELNS1_11target_archE1100ELNS1_3gpuE3ELNS1_3repE0EEENS1_30default_config_static_selectorELNS0_4arch9wavefront6targetE0EEEvT1_.numbered_sgpr, 0
	.set _ZN7rocprim17ROCPRIM_400000_NS6detail17trampoline_kernelINS0_14default_configENS1_25partition_config_selectorILNS1_17partition_subalgoE8EiNS0_10empty_typeEbEEZZNS1_14partition_implILS5_8ELb0ES3_jPKiPS6_PKS6_NS0_5tupleIJPiS6_EEENSE_IJSB_SB_EEENS0_18inequality_wrapperIN6hipcub16HIPCUB_304000_NS8EqualityEEEPlJS6_EEE10hipError_tPvRmT3_T4_T5_T6_T7_T9_mT8_P12ihipStream_tbDpT10_ENKUlT_T0_E_clISt17integral_constantIbLb0EES16_IbLb1EEEEDaS12_S13_EUlS12_E_NS1_11comp_targetILNS1_3genE9ELNS1_11target_archE1100ELNS1_3gpuE3ELNS1_3repE0EEENS1_30default_config_static_selectorELNS0_4arch9wavefront6targetE0EEEvT1_.num_named_barrier, 0
	.set _ZN7rocprim17ROCPRIM_400000_NS6detail17trampoline_kernelINS0_14default_configENS1_25partition_config_selectorILNS1_17partition_subalgoE8EiNS0_10empty_typeEbEEZZNS1_14partition_implILS5_8ELb0ES3_jPKiPS6_PKS6_NS0_5tupleIJPiS6_EEENSE_IJSB_SB_EEENS0_18inequality_wrapperIN6hipcub16HIPCUB_304000_NS8EqualityEEEPlJS6_EEE10hipError_tPvRmT3_T4_T5_T6_T7_T9_mT8_P12ihipStream_tbDpT10_ENKUlT_T0_E_clISt17integral_constantIbLb0EES16_IbLb1EEEEDaS12_S13_EUlS12_E_NS1_11comp_targetILNS1_3genE9ELNS1_11target_archE1100ELNS1_3gpuE3ELNS1_3repE0EEENS1_30default_config_static_selectorELNS0_4arch9wavefront6targetE0EEEvT1_.private_seg_size, 0
	.set _ZN7rocprim17ROCPRIM_400000_NS6detail17trampoline_kernelINS0_14default_configENS1_25partition_config_selectorILNS1_17partition_subalgoE8EiNS0_10empty_typeEbEEZZNS1_14partition_implILS5_8ELb0ES3_jPKiPS6_PKS6_NS0_5tupleIJPiS6_EEENSE_IJSB_SB_EEENS0_18inequality_wrapperIN6hipcub16HIPCUB_304000_NS8EqualityEEEPlJS6_EEE10hipError_tPvRmT3_T4_T5_T6_T7_T9_mT8_P12ihipStream_tbDpT10_ENKUlT_T0_E_clISt17integral_constantIbLb0EES16_IbLb1EEEEDaS12_S13_EUlS12_E_NS1_11comp_targetILNS1_3genE9ELNS1_11target_archE1100ELNS1_3gpuE3ELNS1_3repE0EEENS1_30default_config_static_selectorELNS0_4arch9wavefront6targetE0EEEvT1_.uses_vcc, 0
	.set _ZN7rocprim17ROCPRIM_400000_NS6detail17trampoline_kernelINS0_14default_configENS1_25partition_config_selectorILNS1_17partition_subalgoE8EiNS0_10empty_typeEbEEZZNS1_14partition_implILS5_8ELb0ES3_jPKiPS6_PKS6_NS0_5tupleIJPiS6_EEENSE_IJSB_SB_EEENS0_18inequality_wrapperIN6hipcub16HIPCUB_304000_NS8EqualityEEEPlJS6_EEE10hipError_tPvRmT3_T4_T5_T6_T7_T9_mT8_P12ihipStream_tbDpT10_ENKUlT_T0_E_clISt17integral_constantIbLb0EES16_IbLb1EEEEDaS12_S13_EUlS12_E_NS1_11comp_targetILNS1_3genE9ELNS1_11target_archE1100ELNS1_3gpuE3ELNS1_3repE0EEENS1_30default_config_static_selectorELNS0_4arch9wavefront6targetE0EEEvT1_.uses_flat_scratch, 0
	.set _ZN7rocprim17ROCPRIM_400000_NS6detail17trampoline_kernelINS0_14default_configENS1_25partition_config_selectorILNS1_17partition_subalgoE8EiNS0_10empty_typeEbEEZZNS1_14partition_implILS5_8ELb0ES3_jPKiPS6_PKS6_NS0_5tupleIJPiS6_EEENSE_IJSB_SB_EEENS0_18inequality_wrapperIN6hipcub16HIPCUB_304000_NS8EqualityEEEPlJS6_EEE10hipError_tPvRmT3_T4_T5_T6_T7_T9_mT8_P12ihipStream_tbDpT10_ENKUlT_T0_E_clISt17integral_constantIbLb0EES16_IbLb1EEEEDaS12_S13_EUlS12_E_NS1_11comp_targetILNS1_3genE9ELNS1_11target_archE1100ELNS1_3gpuE3ELNS1_3repE0EEENS1_30default_config_static_selectorELNS0_4arch9wavefront6targetE0EEEvT1_.has_dyn_sized_stack, 0
	.set _ZN7rocprim17ROCPRIM_400000_NS6detail17trampoline_kernelINS0_14default_configENS1_25partition_config_selectorILNS1_17partition_subalgoE8EiNS0_10empty_typeEbEEZZNS1_14partition_implILS5_8ELb0ES3_jPKiPS6_PKS6_NS0_5tupleIJPiS6_EEENSE_IJSB_SB_EEENS0_18inequality_wrapperIN6hipcub16HIPCUB_304000_NS8EqualityEEEPlJS6_EEE10hipError_tPvRmT3_T4_T5_T6_T7_T9_mT8_P12ihipStream_tbDpT10_ENKUlT_T0_E_clISt17integral_constantIbLb0EES16_IbLb1EEEEDaS12_S13_EUlS12_E_NS1_11comp_targetILNS1_3genE9ELNS1_11target_archE1100ELNS1_3gpuE3ELNS1_3repE0EEENS1_30default_config_static_selectorELNS0_4arch9wavefront6targetE0EEEvT1_.has_recursion, 0
	.set _ZN7rocprim17ROCPRIM_400000_NS6detail17trampoline_kernelINS0_14default_configENS1_25partition_config_selectorILNS1_17partition_subalgoE8EiNS0_10empty_typeEbEEZZNS1_14partition_implILS5_8ELb0ES3_jPKiPS6_PKS6_NS0_5tupleIJPiS6_EEENSE_IJSB_SB_EEENS0_18inequality_wrapperIN6hipcub16HIPCUB_304000_NS8EqualityEEEPlJS6_EEE10hipError_tPvRmT3_T4_T5_T6_T7_T9_mT8_P12ihipStream_tbDpT10_ENKUlT_T0_E_clISt17integral_constantIbLb0EES16_IbLb1EEEEDaS12_S13_EUlS12_E_NS1_11comp_targetILNS1_3genE9ELNS1_11target_archE1100ELNS1_3gpuE3ELNS1_3repE0EEENS1_30default_config_static_selectorELNS0_4arch9wavefront6targetE0EEEvT1_.has_indirect_call, 0
	.section	.AMDGPU.csdata,"",@progbits
; Kernel info:
; codeLenInByte = 0
; TotalNumSgprs: 0
; NumVgprs: 0
; ScratchSize: 0
; MemoryBound: 0
; FloatMode: 240
; IeeeMode: 1
; LDSByteSize: 0 bytes/workgroup (compile time only)
; SGPRBlocks: 0
; VGPRBlocks: 0
; NumSGPRsForWavesPerEU: 1
; NumVGPRsForWavesPerEU: 1
; NamedBarCnt: 0
; Occupancy: 16
; WaveLimiterHint : 0
; COMPUTE_PGM_RSRC2:SCRATCH_EN: 0
; COMPUTE_PGM_RSRC2:USER_SGPR: 2
; COMPUTE_PGM_RSRC2:TRAP_HANDLER: 0
; COMPUTE_PGM_RSRC2:TGID_X_EN: 1
; COMPUTE_PGM_RSRC2:TGID_Y_EN: 0
; COMPUTE_PGM_RSRC2:TGID_Z_EN: 0
; COMPUTE_PGM_RSRC2:TIDIG_COMP_CNT: 0
	.section	.text._ZN7rocprim17ROCPRIM_400000_NS6detail17trampoline_kernelINS0_14default_configENS1_25partition_config_selectorILNS1_17partition_subalgoE8EiNS0_10empty_typeEbEEZZNS1_14partition_implILS5_8ELb0ES3_jPKiPS6_PKS6_NS0_5tupleIJPiS6_EEENSE_IJSB_SB_EEENS0_18inequality_wrapperIN6hipcub16HIPCUB_304000_NS8EqualityEEEPlJS6_EEE10hipError_tPvRmT3_T4_T5_T6_T7_T9_mT8_P12ihipStream_tbDpT10_ENKUlT_T0_E_clISt17integral_constantIbLb0EES16_IbLb1EEEEDaS12_S13_EUlS12_E_NS1_11comp_targetILNS1_3genE8ELNS1_11target_archE1030ELNS1_3gpuE2ELNS1_3repE0EEENS1_30default_config_static_selectorELNS0_4arch9wavefront6targetE0EEEvT1_,"axG",@progbits,_ZN7rocprim17ROCPRIM_400000_NS6detail17trampoline_kernelINS0_14default_configENS1_25partition_config_selectorILNS1_17partition_subalgoE8EiNS0_10empty_typeEbEEZZNS1_14partition_implILS5_8ELb0ES3_jPKiPS6_PKS6_NS0_5tupleIJPiS6_EEENSE_IJSB_SB_EEENS0_18inequality_wrapperIN6hipcub16HIPCUB_304000_NS8EqualityEEEPlJS6_EEE10hipError_tPvRmT3_T4_T5_T6_T7_T9_mT8_P12ihipStream_tbDpT10_ENKUlT_T0_E_clISt17integral_constantIbLb0EES16_IbLb1EEEEDaS12_S13_EUlS12_E_NS1_11comp_targetILNS1_3genE8ELNS1_11target_archE1030ELNS1_3gpuE2ELNS1_3repE0EEENS1_30default_config_static_selectorELNS0_4arch9wavefront6targetE0EEEvT1_,comdat
	.protected	_ZN7rocprim17ROCPRIM_400000_NS6detail17trampoline_kernelINS0_14default_configENS1_25partition_config_selectorILNS1_17partition_subalgoE8EiNS0_10empty_typeEbEEZZNS1_14partition_implILS5_8ELb0ES3_jPKiPS6_PKS6_NS0_5tupleIJPiS6_EEENSE_IJSB_SB_EEENS0_18inequality_wrapperIN6hipcub16HIPCUB_304000_NS8EqualityEEEPlJS6_EEE10hipError_tPvRmT3_T4_T5_T6_T7_T9_mT8_P12ihipStream_tbDpT10_ENKUlT_T0_E_clISt17integral_constantIbLb0EES16_IbLb1EEEEDaS12_S13_EUlS12_E_NS1_11comp_targetILNS1_3genE8ELNS1_11target_archE1030ELNS1_3gpuE2ELNS1_3repE0EEENS1_30default_config_static_selectorELNS0_4arch9wavefront6targetE0EEEvT1_ ; -- Begin function _ZN7rocprim17ROCPRIM_400000_NS6detail17trampoline_kernelINS0_14default_configENS1_25partition_config_selectorILNS1_17partition_subalgoE8EiNS0_10empty_typeEbEEZZNS1_14partition_implILS5_8ELb0ES3_jPKiPS6_PKS6_NS0_5tupleIJPiS6_EEENSE_IJSB_SB_EEENS0_18inequality_wrapperIN6hipcub16HIPCUB_304000_NS8EqualityEEEPlJS6_EEE10hipError_tPvRmT3_T4_T5_T6_T7_T9_mT8_P12ihipStream_tbDpT10_ENKUlT_T0_E_clISt17integral_constantIbLb0EES16_IbLb1EEEEDaS12_S13_EUlS12_E_NS1_11comp_targetILNS1_3genE8ELNS1_11target_archE1030ELNS1_3gpuE2ELNS1_3repE0EEENS1_30default_config_static_selectorELNS0_4arch9wavefront6targetE0EEEvT1_
	.globl	_ZN7rocprim17ROCPRIM_400000_NS6detail17trampoline_kernelINS0_14default_configENS1_25partition_config_selectorILNS1_17partition_subalgoE8EiNS0_10empty_typeEbEEZZNS1_14partition_implILS5_8ELb0ES3_jPKiPS6_PKS6_NS0_5tupleIJPiS6_EEENSE_IJSB_SB_EEENS0_18inequality_wrapperIN6hipcub16HIPCUB_304000_NS8EqualityEEEPlJS6_EEE10hipError_tPvRmT3_T4_T5_T6_T7_T9_mT8_P12ihipStream_tbDpT10_ENKUlT_T0_E_clISt17integral_constantIbLb0EES16_IbLb1EEEEDaS12_S13_EUlS12_E_NS1_11comp_targetILNS1_3genE8ELNS1_11target_archE1030ELNS1_3gpuE2ELNS1_3repE0EEENS1_30default_config_static_selectorELNS0_4arch9wavefront6targetE0EEEvT1_
	.p2align	8
	.type	_ZN7rocprim17ROCPRIM_400000_NS6detail17trampoline_kernelINS0_14default_configENS1_25partition_config_selectorILNS1_17partition_subalgoE8EiNS0_10empty_typeEbEEZZNS1_14partition_implILS5_8ELb0ES3_jPKiPS6_PKS6_NS0_5tupleIJPiS6_EEENSE_IJSB_SB_EEENS0_18inequality_wrapperIN6hipcub16HIPCUB_304000_NS8EqualityEEEPlJS6_EEE10hipError_tPvRmT3_T4_T5_T6_T7_T9_mT8_P12ihipStream_tbDpT10_ENKUlT_T0_E_clISt17integral_constantIbLb0EES16_IbLb1EEEEDaS12_S13_EUlS12_E_NS1_11comp_targetILNS1_3genE8ELNS1_11target_archE1030ELNS1_3gpuE2ELNS1_3repE0EEENS1_30default_config_static_selectorELNS0_4arch9wavefront6targetE0EEEvT1_,@function
_ZN7rocprim17ROCPRIM_400000_NS6detail17trampoline_kernelINS0_14default_configENS1_25partition_config_selectorILNS1_17partition_subalgoE8EiNS0_10empty_typeEbEEZZNS1_14partition_implILS5_8ELb0ES3_jPKiPS6_PKS6_NS0_5tupleIJPiS6_EEENSE_IJSB_SB_EEENS0_18inequality_wrapperIN6hipcub16HIPCUB_304000_NS8EqualityEEEPlJS6_EEE10hipError_tPvRmT3_T4_T5_T6_T7_T9_mT8_P12ihipStream_tbDpT10_ENKUlT_T0_E_clISt17integral_constantIbLb0EES16_IbLb1EEEEDaS12_S13_EUlS12_E_NS1_11comp_targetILNS1_3genE8ELNS1_11target_archE1030ELNS1_3gpuE2ELNS1_3repE0EEENS1_30default_config_static_selectorELNS0_4arch9wavefront6targetE0EEEvT1_: ; @_ZN7rocprim17ROCPRIM_400000_NS6detail17trampoline_kernelINS0_14default_configENS1_25partition_config_selectorILNS1_17partition_subalgoE8EiNS0_10empty_typeEbEEZZNS1_14partition_implILS5_8ELb0ES3_jPKiPS6_PKS6_NS0_5tupleIJPiS6_EEENSE_IJSB_SB_EEENS0_18inequality_wrapperIN6hipcub16HIPCUB_304000_NS8EqualityEEEPlJS6_EEE10hipError_tPvRmT3_T4_T5_T6_T7_T9_mT8_P12ihipStream_tbDpT10_ENKUlT_T0_E_clISt17integral_constantIbLb0EES16_IbLb1EEEEDaS12_S13_EUlS12_E_NS1_11comp_targetILNS1_3genE8ELNS1_11target_archE1030ELNS1_3gpuE2ELNS1_3repE0EEENS1_30default_config_static_selectorELNS0_4arch9wavefront6targetE0EEEvT1_
; %bb.0:
	.section	.rodata,"a",@progbits
	.p2align	6, 0x0
	.amdhsa_kernel _ZN7rocprim17ROCPRIM_400000_NS6detail17trampoline_kernelINS0_14default_configENS1_25partition_config_selectorILNS1_17partition_subalgoE8EiNS0_10empty_typeEbEEZZNS1_14partition_implILS5_8ELb0ES3_jPKiPS6_PKS6_NS0_5tupleIJPiS6_EEENSE_IJSB_SB_EEENS0_18inequality_wrapperIN6hipcub16HIPCUB_304000_NS8EqualityEEEPlJS6_EEE10hipError_tPvRmT3_T4_T5_T6_T7_T9_mT8_P12ihipStream_tbDpT10_ENKUlT_T0_E_clISt17integral_constantIbLb0EES16_IbLb1EEEEDaS12_S13_EUlS12_E_NS1_11comp_targetILNS1_3genE8ELNS1_11target_archE1030ELNS1_3gpuE2ELNS1_3repE0EEENS1_30default_config_static_selectorELNS0_4arch9wavefront6targetE0EEEvT1_
		.amdhsa_group_segment_fixed_size 0
		.amdhsa_private_segment_fixed_size 0
		.amdhsa_kernarg_size 128
		.amdhsa_user_sgpr_count 2
		.amdhsa_user_sgpr_dispatch_ptr 0
		.amdhsa_user_sgpr_queue_ptr 0
		.amdhsa_user_sgpr_kernarg_segment_ptr 1
		.amdhsa_user_sgpr_dispatch_id 0
		.amdhsa_user_sgpr_kernarg_preload_length 0
		.amdhsa_user_sgpr_kernarg_preload_offset 0
		.amdhsa_user_sgpr_private_segment_size 0
		.amdhsa_wavefront_size32 1
		.amdhsa_uses_dynamic_stack 0
		.amdhsa_enable_private_segment 0
		.amdhsa_system_sgpr_workgroup_id_x 1
		.amdhsa_system_sgpr_workgroup_id_y 0
		.amdhsa_system_sgpr_workgroup_id_z 0
		.amdhsa_system_sgpr_workgroup_info 0
		.amdhsa_system_vgpr_workitem_id 0
		.amdhsa_next_free_vgpr 1
		.amdhsa_next_free_sgpr 1
		.amdhsa_named_barrier_count 0
		.amdhsa_reserve_vcc 0
		.amdhsa_float_round_mode_32 0
		.amdhsa_float_round_mode_16_64 0
		.amdhsa_float_denorm_mode_32 3
		.amdhsa_float_denorm_mode_16_64 3
		.amdhsa_fp16_overflow 0
		.amdhsa_memory_ordered 1
		.amdhsa_forward_progress 1
		.amdhsa_inst_pref_size 0
		.amdhsa_round_robin_scheduling 0
		.amdhsa_exception_fp_ieee_invalid_op 0
		.amdhsa_exception_fp_denorm_src 0
		.amdhsa_exception_fp_ieee_div_zero 0
		.amdhsa_exception_fp_ieee_overflow 0
		.amdhsa_exception_fp_ieee_underflow 0
		.amdhsa_exception_fp_ieee_inexact 0
		.amdhsa_exception_int_div_zero 0
	.end_amdhsa_kernel
	.section	.text._ZN7rocprim17ROCPRIM_400000_NS6detail17trampoline_kernelINS0_14default_configENS1_25partition_config_selectorILNS1_17partition_subalgoE8EiNS0_10empty_typeEbEEZZNS1_14partition_implILS5_8ELb0ES3_jPKiPS6_PKS6_NS0_5tupleIJPiS6_EEENSE_IJSB_SB_EEENS0_18inequality_wrapperIN6hipcub16HIPCUB_304000_NS8EqualityEEEPlJS6_EEE10hipError_tPvRmT3_T4_T5_T6_T7_T9_mT8_P12ihipStream_tbDpT10_ENKUlT_T0_E_clISt17integral_constantIbLb0EES16_IbLb1EEEEDaS12_S13_EUlS12_E_NS1_11comp_targetILNS1_3genE8ELNS1_11target_archE1030ELNS1_3gpuE2ELNS1_3repE0EEENS1_30default_config_static_selectorELNS0_4arch9wavefront6targetE0EEEvT1_,"axG",@progbits,_ZN7rocprim17ROCPRIM_400000_NS6detail17trampoline_kernelINS0_14default_configENS1_25partition_config_selectorILNS1_17partition_subalgoE8EiNS0_10empty_typeEbEEZZNS1_14partition_implILS5_8ELb0ES3_jPKiPS6_PKS6_NS0_5tupleIJPiS6_EEENSE_IJSB_SB_EEENS0_18inequality_wrapperIN6hipcub16HIPCUB_304000_NS8EqualityEEEPlJS6_EEE10hipError_tPvRmT3_T4_T5_T6_T7_T9_mT8_P12ihipStream_tbDpT10_ENKUlT_T0_E_clISt17integral_constantIbLb0EES16_IbLb1EEEEDaS12_S13_EUlS12_E_NS1_11comp_targetILNS1_3genE8ELNS1_11target_archE1030ELNS1_3gpuE2ELNS1_3repE0EEENS1_30default_config_static_selectorELNS0_4arch9wavefront6targetE0EEEvT1_,comdat
.Lfunc_end220:
	.size	_ZN7rocprim17ROCPRIM_400000_NS6detail17trampoline_kernelINS0_14default_configENS1_25partition_config_selectorILNS1_17partition_subalgoE8EiNS0_10empty_typeEbEEZZNS1_14partition_implILS5_8ELb0ES3_jPKiPS6_PKS6_NS0_5tupleIJPiS6_EEENSE_IJSB_SB_EEENS0_18inequality_wrapperIN6hipcub16HIPCUB_304000_NS8EqualityEEEPlJS6_EEE10hipError_tPvRmT3_T4_T5_T6_T7_T9_mT8_P12ihipStream_tbDpT10_ENKUlT_T0_E_clISt17integral_constantIbLb0EES16_IbLb1EEEEDaS12_S13_EUlS12_E_NS1_11comp_targetILNS1_3genE8ELNS1_11target_archE1030ELNS1_3gpuE2ELNS1_3repE0EEENS1_30default_config_static_selectorELNS0_4arch9wavefront6targetE0EEEvT1_, .Lfunc_end220-_ZN7rocprim17ROCPRIM_400000_NS6detail17trampoline_kernelINS0_14default_configENS1_25partition_config_selectorILNS1_17partition_subalgoE8EiNS0_10empty_typeEbEEZZNS1_14partition_implILS5_8ELb0ES3_jPKiPS6_PKS6_NS0_5tupleIJPiS6_EEENSE_IJSB_SB_EEENS0_18inequality_wrapperIN6hipcub16HIPCUB_304000_NS8EqualityEEEPlJS6_EEE10hipError_tPvRmT3_T4_T5_T6_T7_T9_mT8_P12ihipStream_tbDpT10_ENKUlT_T0_E_clISt17integral_constantIbLb0EES16_IbLb1EEEEDaS12_S13_EUlS12_E_NS1_11comp_targetILNS1_3genE8ELNS1_11target_archE1030ELNS1_3gpuE2ELNS1_3repE0EEENS1_30default_config_static_selectorELNS0_4arch9wavefront6targetE0EEEvT1_
                                        ; -- End function
	.set _ZN7rocprim17ROCPRIM_400000_NS6detail17trampoline_kernelINS0_14default_configENS1_25partition_config_selectorILNS1_17partition_subalgoE8EiNS0_10empty_typeEbEEZZNS1_14partition_implILS5_8ELb0ES3_jPKiPS6_PKS6_NS0_5tupleIJPiS6_EEENSE_IJSB_SB_EEENS0_18inequality_wrapperIN6hipcub16HIPCUB_304000_NS8EqualityEEEPlJS6_EEE10hipError_tPvRmT3_T4_T5_T6_T7_T9_mT8_P12ihipStream_tbDpT10_ENKUlT_T0_E_clISt17integral_constantIbLb0EES16_IbLb1EEEEDaS12_S13_EUlS12_E_NS1_11comp_targetILNS1_3genE8ELNS1_11target_archE1030ELNS1_3gpuE2ELNS1_3repE0EEENS1_30default_config_static_selectorELNS0_4arch9wavefront6targetE0EEEvT1_.num_vgpr, 0
	.set _ZN7rocprim17ROCPRIM_400000_NS6detail17trampoline_kernelINS0_14default_configENS1_25partition_config_selectorILNS1_17partition_subalgoE8EiNS0_10empty_typeEbEEZZNS1_14partition_implILS5_8ELb0ES3_jPKiPS6_PKS6_NS0_5tupleIJPiS6_EEENSE_IJSB_SB_EEENS0_18inequality_wrapperIN6hipcub16HIPCUB_304000_NS8EqualityEEEPlJS6_EEE10hipError_tPvRmT3_T4_T5_T6_T7_T9_mT8_P12ihipStream_tbDpT10_ENKUlT_T0_E_clISt17integral_constantIbLb0EES16_IbLb1EEEEDaS12_S13_EUlS12_E_NS1_11comp_targetILNS1_3genE8ELNS1_11target_archE1030ELNS1_3gpuE2ELNS1_3repE0EEENS1_30default_config_static_selectorELNS0_4arch9wavefront6targetE0EEEvT1_.num_agpr, 0
	.set _ZN7rocprim17ROCPRIM_400000_NS6detail17trampoline_kernelINS0_14default_configENS1_25partition_config_selectorILNS1_17partition_subalgoE8EiNS0_10empty_typeEbEEZZNS1_14partition_implILS5_8ELb0ES3_jPKiPS6_PKS6_NS0_5tupleIJPiS6_EEENSE_IJSB_SB_EEENS0_18inequality_wrapperIN6hipcub16HIPCUB_304000_NS8EqualityEEEPlJS6_EEE10hipError_tPvRmT3_T4_T5_T6_T7_T9_mT8_P12ihipStream_tbDpT10_ENKUlT_T0_E_clISt17integral_constantIbLb0EES16_IbLb1EEEEDaS12_S13_EUlS12_E_NS1_11comp_targetILNS1_3genE8ELNS1_11target_archE1030ELNS1_3gpuE2ELNS1_3repE0EEENS1_30default_config_static_selectorELNS0_4arch9wavefront6targetE0EEEvT1_.numbered_sgpr, 0
	.set _ZN7rocprim17ROCPRIM_400000_NS6detail17trampoline_kernelINS0_14default_configENS1_25partition_config_selectorILNS1_17partition_subalgoE8EiNS0_10empty_typeEbEEZZNS1_14partition_implILS5_8ELb0ES3_jPKiPS6_PKS6_NS0_5tupleIJPiS6_EEENSE_IJSB_SB_EEENS0_18inequality_wrapperIN6hipcub16HIPCUB_304000_NS8EqualityEEEPlJS6_EEE10hipError_tPvRmT3_T4_T5_T6_T7_T9_mT8_P12ihipStream_tbDpT10_ENKUlT_T0_E_clISt17integral_constantIbLb0EES16_IbLb1EEEEDaS12_S13_EUlS12_E_NS1_11comp_targetILNS1_3genE8ELNS1_11target_archE1030ELNS1_3gpuE2ELNS1_3repE0EEENS1_30default_config_static_selectorELNS0_4arch9wavefront6targetE0EEEvT1_.num_named_barrier, 0
	.set _ZN7rocprim17ROCPRIM_400000_NS6detail17trampoline_kernelINS0_14default_configENS1_25partition_config_selectorILNS1_17partition_subalgoE8EiNS0_10empty_typeEbEEZZNS1_14partition_implILS5_8ELb0ES3_jPKiPS6_PKS6_NS0_5tupleIJPiS6_EEENSE_IJSB_SB_EEENS0_18inequality_wrapperIN6hipcub16HIPCUB_304000_NS8EqualityEEEPlJS6_EEE10hipError_tPvRmT3_T4_T5_T6_T7_T9_mT8_P12ihipStream_tbDpT10_ENKUlT_T0_E_clISt17integral_constantIbLb0EES16_IbLb1EEEEDaS12_S13_EUlS12_E_NS1_11comp_targetILNS1_3genE8ELNS1_11target_archE1030ELNS1_3gpuE2ELNS1_3repE0EEENS1_30default_config_static_selectorELNS0_4arch9wavefront6targetE0EEEvT1_.private_seg_size, 0
	.set _ZN7rocprim17ROCPRIM_400000_NS6detail17trampoline_kernelINS0_14default_configENS1_25partition_config_selectorILNS1_17partition_subalgoE8EiNS0_10empty_typeEbEEZZNS1_14partition_implILS5_8ELb0ES3_jPKiPS6_PKS6_NS0_5tupleIJPiS6_EEENSE_IJSB_SB_EEENS0_18inequality_wrapperIN6hipcub16HIPCUB_304000_NS8EqualityEEEPlJS6_EEE10hipError_tPvRmT3_T4_T5_T6_T7_T9_mT8_P12ihipStream_tbDpT10_ENKUlT_T0_E_clISt17integral_constantIbLb0EES16_IbLb1EEEEDaS12_S13_EUlS12_E_NS1_11comp_targetILNS1_3genE8ELNS1_11target_archE1030ELNS1_3gpuE2ELNS1_3repE0EEENS1_30default_config_static_selectorELNS0_4arch9wavefront6targetE0EEEvT1_.uses_vcc, 0
	.set _ZN7rocprim17ROCPRIM_400000_NS6detail17trampoline_kernelINS0_14default_configENS1_25partition_config_selectorILNS1_17partition_subalgoE8EiNS0_10empty_typeEbEEZZNS1_14partition_implILS5_8ELb0ES3_jPKiPS6_PKS6_NS0_5tupleIJPiS6_EEENSE_IJSB_SB_EEENS0_18inequality_wrapperIN6hipcub16HIPCUB_304000_NS8EqualityEEEPlJS6_EEE10hipError_tPvRmT3_T4_T5_T6_T7_T9_mT8_P12ihipStream_tbDpT10_ENKUlT_T0_E_clISt17integral_constantIbLb0EES16_IbLb1EEEEDaS12_S13_EUlS12_E_NS1_11comp_targetILNS1_3genE8ELNS1_11target_archE1030ELNS1_3gpuE2ELNS1_3repE0EEENS1_30default_config_static_selectorELNS0_4arch9wavefront6targetE0EEEvT1_.uses_flat_scratch, 0
	.set _ZN7rocprim17ROCPRIM_400000_NS6detail17trampoline_kernelINS0_14default_configENS1_25partition_config_selectorILNS1_17partition_subalgoE8EiNS0_10empty_typeEbEEZZNS1_14partition_implILS5_8ELb0ES3_jPKiPS6_PKS6_NS0_5tupleIJPiS6_EEENSE_IJSB_SB_EEENS0_18inequality_wrapperIN6hipcub16HIPCUB_304000_NS8EqualityEEEPlJS6_EEE10hipError_tPvRmT3_T4_T5_T6_T7_T9_mT8_P12ihipStream_tbDpT10_ENKUlT_T0_E_clISt17integral_constantIbLb0EES16_IbLb1EEEEDaS12_S13_EUlS12_E_NS1_11comp_targetILNS1_3genE8ELNS1_11target_archE1030ELNS1_3gpuE2ELNS1_3repE0EEENS1_30default_config_static_selectorELNS0_4arch9wavefront6targetE0EEEvT1_.has_dyn_sized_stack, 0
	.set _ZN7rocprim17ROCPRIM_400000_NS6detail17trampoline_kernelINS0_14default_configENS1_25partition_config_selectorILNS1_17partition_subalgoE8EiNS0_10empty_typeEbEEZZNS1_14partition_implILS5_8ELb0ES3_jPKiPS6_PKS6_NS0_5tupleIJPiS6_EEENSE_IJSB_SB_EEENS0_18inequality_wrapperIN6hipcub16HIPCUB_304000_NS8EqualityEEEPlJS6_EEE10hipError_tPvRmT3_T4_T5_T6_T7_T9_mT8_P12ihipStream_tbDpT10_ENKUlT_T0_E_clISt17integral_constantIbLb0EES16_IbLb1EEEEDaS12_S13_EUlS12_E_NS1_11comp_targetILNS1_3genE8ELNS1_11target_archE1030ELNS1_3gpuE2ELNS1_3repE0EEENS1_30default_config_static_selectorELNS0_4arch9wavefront6targetE0EEEvT1_.has_recursion, 0
	.set _ZN7rocprim17ROCPRIM_400000_NS6detail17trampoline_kernelINS0_14default_configENS1_25partition_config_selectorILNS1_17partition_subalgoE8EiNS0_10empty_typeEbEEZZNS1_14partition_implILS5_8ELb0ES3_jPKiPS6_PKS6_NS0_5tupleIJPiS6_EEENSE_IJSB_SB_EEENS0_18inequality_wrapperIN6hipcub16HIPCUB_304000_NS8EqualityEEEPlJS6_EEE10hipError_tPvRmT3_T4_T5_T6_T7_T9_mT8_P12ihipStream_tbDpT10_ENKUlT_T0_E_clISt17integral_constantIbLb0EES16_IbLb1EEEEDaS12_S13_EUlS12_E_NS1_11comp_targetILNS1_3genE8ELNS1_11target_archE1030ELNS1_3gpuE2ELNS1_3repE0EEENS1_30default_config_static_selectorELNS0_4arch9wavefront6targetE0EEEvT1_.has_indirect_call, 0
	.section	.AMDGPU.csdata,"",@progbits
; Kernel info:
; codeLenInByte = 0
; TotalNumSgprs: 0
; NumVgprs: 0
; ScratchSize: 0
; MemoryBound: 0
; FloatMode: 240
; IeeeMode: 1
; LDSByteSize: 0 bytes/workgroup (compile time only)
; SGPRBlocks: 0
; VGPRBlocks: 0
; NumSGPRsForWavesPerEU: 1
; NumVGPRsForWavesPerEU: 1
; NamedBarCnt: 0
; Occupancy: 16
; WaveLimiterHint : 0
; COMPUTE_PGM_RSRC2:SCRATCH_EN: 0
; COMPUTE_PGM_RSRC2:USER_SGPR: 2
; COMPUTE_PGM_RSRC2:TRAP_HANDLER: 0
; COMPUTE_PGM_RSRC2:TGID_X_EN: 1
; COMPUTE_PGM_RSRC2:TGID_Y_EN: 0
; COMPUTE_PGM_RSRC2:TGID_Z_EN: 0
; COMPUTE_PGM_RSRC2:TIDIG_COMP_CNT: 0
	.section	.text._ZN2at6native12_GLOBAL__N_113renorm_kernelIddKiEEvPT_PT1_T0_S8_llllPKl,"axG",@progbits,_ZN2at6native12_GLOBAL__N_113renorm_kernelIddKiEEvPT_PT1_T0_S8_llllPKl,comdat
	.globl	_ZN2at6native12_GLOBAL__N_113renorm_kernelIddKiEEvPT_PT1_T0_S8_llllPKl ; -- Begin function _ZN2at6native12_GLOBAL__N_113renorm_kernelIddKiEEvPT_PT1_T0_S8_llllPKl
	.p2align	8
	.type	_ZN2at6native12_GLOBAL__N_113renorm_kernelIddKiEEvPT_PT1_T0_S8_llllPKl,@function
_ZN2at6native12_GLOBAL__N_113renorm_kernelIddKiEEvPT_PT1_T0_S8_llllPKl: ; @_ZN2at6native12_GLOBAL__N_113renorm_kernelIddKiEEvPT_PT1_T0_S8_llllPKl
; %bb.0:
	s_load_b64 s[2:3], s[0:1], 0x40
	s_getreg_b32 s6, hwreg(HW_REG_IB_STS2, 6, 4)
	s_wait_kmcnt 0x0
	s_load_b64 s[4:5], s[2:3], 0x0
	s_wait_xcnt 0x0
	s_bfe_u32 s2, ttmp6, 0x4000c
	s_and_b32 s3, ttmp6, 15
	s_add_co_i32 s2, s2, 1
	s_delay_alu instid0(SALU_CYCLE_1) | instskip(NEXT) | instid1(SALU_CYCLE_1)
	s_mul_i32 s2, ttmp9, s2
	s_add_co_i32 s2, s3, s2
	s_cmp_eq_u32 s6, 0
	s_mov_b32 s3, 0
	s_cselect_b32 s2, ttmp9, s2
	s_wait_kmcnt 0x0
	v_cmp_le_i64_e64 s4, s[4:5], s[2:3]
	s_and_b32 vcc_lo, exec_lo, s4
	s_cbranch_vccnz .LBB221_28
; %bb.1:
	s_load_b512 s[8:23], s[0:1], 0x0
	s_lshl_b64 s[2:3], s[2:3], 2
	s_wait_kmcnt 0x0
	s_add_nc_u64 s[2:3], s[10:11], s[2:3]
	s_load_b32 s4, s[2:3], 0x0
	s_wait_kmcnt 0x0
	s_cmp_lt_i32 s4, 0
	s_cbranch_scc1 .LBB221_29
; %bb.2:
	s_ashr_i32 s5, s4, 31
	s_get_pc_i64 s[2:3]
	s_add_nc_u64 s[2:3], s[2:3], .str.5@rel64+4
	v_cmp_le_i64_e64 s6, s[18:19], s[4:5]
	s_cmp_eq_u64 s[2:3], 0
	s_cselect_b32 s2, -1, 0
	s_delay_alu instid0(SALU_CYCLE_1) | instskip(NEXT) | instid1(SALU_CYCLE_1)
	s_or_b32 s7, s6, s2
	s_and_not1_b32 vcc_lo, exec_lo, s7
	s_cbranch_vccz .LBB221_27
; %bb.3:
	v_mov_b32_e32 v1, 0
	v_mov_b64_e32 v[2:3], 0
	s_mul_u64 s[10:11], s[20:21], s[4:5]
	s_delay_alu instid0(VALU_DEP_2)
	v_cmp_gt_i64_e64 s2, s[16:17], v[0:1]
	s_and_saveexec_b32 s26, s2
	s_cbranch_execz .LBB221_13
; %bb.4:
	v_cmp_neq_f64_e64 s27, s[14:15], 1.0
	v_cmp_neq_f64_e64 s28, s[14:15], 2.0
	s_load_b32 s3, s[0:1], 0x54
	v_mov_b64_e32 v[2:3], 0
	v_mov_b64_e32 v[4:5], 0x3fba6564968915a9
	;; [unrolled: 1-line block ×4, first 2 shown]
	s_lshl_b64 s[4:5], s[10:11], 3
	s_mov_b64 s[18:19], 0x3fe5555555555555
	s_mov_b64 s[20:21], 0x3fe62e42fefa39ef
	s_add_nc_u64 s[24:25], s[8:9], s[4:5]
	s_mov_b32 s30, 0
                                        ; implicit-def: $vgpr12_vgpr13
                                        ; implicit-def: $vgpr12_vgpr13
	;; [unrolled: 1-line block ×15, first 2 shown]
	s_wait_kmcnt 0x0
	s_and_b32 s29, s3, 0xffff
	s_delay_alu instid0(SALU_CYCLE_1)
	v_add_nc_u32_e32 v8, s29, v0
	s_branch .LBB221_7
.LBB221_5:                              ;   in Loop: Header=BB221_7 Depth=1
	s_wait_loadcnt 0x0
	v_and_b32_e32 v11, 0x7fffffff, v11
	s_delay_alu instid0(VALU_DEP_1)
	v_mov_b64_e32 v[12:13], v[10:11]
.LBB221_6:                              ;   in Loop: Header=BB221_7 Depth=1
	s_delay_alu instid0(VALU_DEP_1) | instskip(SKIP_1) | instid1(VALU_DEP_1)
	v_add_f64_e32 v[2:3], v[2:3], v[12:13]
	v_ashrrev_i32_e32 v9, 31, v8
	v_cmp_le_i64_e32 vcc_lo, s[16:17], v[8:9]
	s_wait_loadcnt 0x0
	v_mov_b64_e32 v[10:11], v[8:9]
	v_add_nc_u32_e32 v8, s29, v8
	s_or_b32 s30, vcc_lo, s30
	s_delay_alu instid0(SALU_CYCLE_1)
	s_and_not1_b32 exec_lo, exec_lo, s30
	s_cbranch_execz .LBB221_12
.LBB221_7:                              ; =>This Inner Loop Header: Depth=1
	s_delay_alu instid0(VALU_DEP_2) | instskip(SKIP_1) | instid1(VALU_DEP_1)
	v_mul_u64_e32 v[10:11], s[22:23], v[10:11]
	s_and_b32 vcc_lo, exec_lo, s27
	v_lshl_add_u64 v[10:11], v[10:11], 3, s[24:25]
	global_load_b64 v[10:11], v[10:11], off
	s_cbranch_vccz .LBB221_5
; %bb.8:                                ;   in Loop: Header=BB221_7 Depth=1
	s_and_b32 vcc_lo, exec_lo, s28
	s_cbranch_vccz .LBB221_10
; %bb.9:                                ;   in Loop: Header=BB221_7 Depth=1
	s_wait_loadcnt 0x0
	v_cmp_neq_f64_e32 vcc_lo, 1.0, v[10:11]
	v_mov_b32_e32 v9, s15
	s_delay_alu instid0(VALU_DEP_1) | instskip(SKIP_1) | instid1(VALU_DEP_1)
	v_cndmask_b32_e32 v13, 0x3ff00000, v9, vcc_lo
	v_cndmask_b32_e64 v12, 0, s14, vcc_lo
	v_cmp_neq_f64_e32 vcc_lo, 0, v[12:13]
	v_cmp_neq_f64_e64 s6, v[12:13], |v[12:13]|
	v_cndmask_b32_e32 v15, 0x3ff00000, v11, vcc_lo
	v_cndmask_b32_e32 v14, 0, v10, vcc_lo
	s_delay_alu instid0(VALU_DEP_1) | instskip(SKIP_2) | instid1(VALU_DEP_3)
	v_frexp_mant_f64_e64 v[16:17], |v[14:15]|
	v_cmp_lt_f64_e64 s31, |v[14:15]|, 1.0
	v_cmp_eq_f64_e64 s5, 0, v[14:15]
	v_cmp_gt_f64_e32 vcc_lo, s[18:19], v[16:17]
	s_xor_b32 s6, s6, s31
	v_cmp_class_f64_e64 s31, v[14:15], 0x204
	v_cndmask_b32_e64 v9, 0, 1, vcc_lo
	s_delay_alu instid0(VALU_DEP_1) | instskip(SKIP_1) | instid1(VALU_DEP_2)
	v_ldexp_f64 v[16:17], v[16:17], v9
	v_frexp_exp_i32_f64_e32 v9, v[14:15]
	v_add_f64_e32 v[18:19], 1.0, v[16:17]
	v_add_f64_e32 v[24:25], -1.0, v[16:17]
	s_delay_alu instid0(VALU_DEP_3) | instskip(NEXT) | instid1(VALU_DEP_3)
	v_subrev_co_ci_u32_e64 v9, null, 0, v9, vcc_lo
	v_rcp_f64_e32 v[20:21], v[18:19]
	v_add_f64_e32 v[26:27], -1.0, v[18:19]
	s_delay_alu instid0(VALU_DEP_1) | instskip(NEXT) | instid1(TRANS32_DEP_1)
	v_add_f64_e64 v[16:17], v[16:17], -v[26:27]
	v_fma_f64 v[22:23], -v[18:19], v[20:21], 1.0
	s_delay_alu instid0(VALU_DEP_1) | instskip(NEXT) | instid1(VALU_DEP_1)
	v_fmac_f64_e32 v[20:21], v[22:23], v[20:21]
	v_fma_f64 v[22:23], -v[18:19], v[20:21], 1.0
	s_delay_alu instid0(VALU_DEP_1) | instskip(NEXT) | instid1(VALU_DEP_1)
	v_fmac_f64_e32 v[20:21], v[22:23], v[20:21]
	v_mul_f64_e32 v[22:23], v[24:25], v[20:21]
	s_delay_alu instid0(VALU_DEP_1) | instskip(NEXT) | instid1(VALU_DEP_1)
	v_mul_f64_e32 v[28:29], v[18:19], v[22:23]
	v_fma_f64 v[18:19], v[22:23], v[18:19], -v[28:29]
	s_delay_alu instid0(VALU_DEP_1) | instskip(NEXT) | instid1(VALU_DEP_1)
	v_fmac_f64_e32 v[18:19], v[22:23], v[16:17]
	v_add_f64_e32 v[16:17], v[28:29], v[18:19]
	s_delay_alu instid0(VALU_DEP_1) | instskip(SKIP_1) | instid1(VALU_DEP_2)
	v_add_f64_e64 v[26:27], v[24:25], -v[16:17]
	v_add_f64_e64 v[28:29], v[16:17], -v[28:29]
	;; [unrolled: 1-line block ×3, first 2 shown]
	s_delay_alu instid0(VALU_DEP_2) | instskip(NEXT) | instid1(VALU_DEP_2)
	v_add_f64_e64 v[18:19], v[28:29], -v[18:19]
	v_add_f64_e64 v[16:17], v[24:25], -v[16:17]
	s_delay_alu instid0(VALU_DEP_1) | instskip(NEXT) | instid1(VALU_DEP_1)
	v_add_f64_e32 v[16:17], v[18:19], v[16:17]
	v_add_f64_e32 v[16:17], v[26:27], v[16:17]
	s_delay_alu instid0(VALU_DEP_1) | instskip(NEXT) | instid1(VALU_DEP_1)
	v_mul_f64_e32 v[16:17], v[20:21], v[16:17]
	v_add_f64_e32 v[18:19], v[22:23], v[16:17]
	s_delay_alu instid0(VALU_DEP_1) | instskip(SKIP_1) | instid1(VALU_DEP_2)
	v_add_f64_e64 v[20:21], v[18:19], -v[22:23]
	v_mul_f64_e32 v[22:23], v[18:19], v[18:19]
	v_add_f64_e64 v[16:17], v[16:17], -v[20:21]
	s_delay_alu instid0(VALU_DEP_2) | instskip(NEXT) | instid1(VALU_DEP_2)
	v_fma_f64 v[20:21], v[18:19], v[18:19], -v[22:23]
	v_add_f64_e32 v[24:25], v[16:17], v[16:17]
	s_delay_alu instid0(VALU_DEP_1) | instskip(NEXT) | instid1(VALU_DEP_1)
	v_fmac_f64_e32 v[20:21], v[18:19], v[24:25]
	v_add_f64_e32 v[24:25], v[22:23], v[20:21]
	s_delay_alu instid0(VALU_DEP_1) | instskip(SKIP_2) | instid1(VALU_DEP_3)
	v_fmamk_f64 v[26:27], v[24:25], 0x3fbdee674222de17, v[4:5]
	v_add_f64_e64 v[22:23], v[24:25], -v[22:23]
	v_mul_f64_e32 v[32:33], v[18:19], v[24:25]
	v_fmaak_f64 v[26:27], v[24:25], v[26:27], 0x3fbe25e43abe935a
	s_delay_alu instid0(VALU_DEP_1) | instskip(NEXT) | instid1(VALU_DEP_1)
	v_fmaak_f64 v[26:27], v[24:25], v[26:27], 0x3fc110ef47e6c9c2
	v_fmaak_f64 v[26:27], v[24:25], v[26:27], 0x3fc3b13bcfa74449
	s_delay_alu instid0(VALU_DEP_1) | instskip(SKIP_1) | instid1(VALU_DEP_2)
	v_fmaak_f64 v[26:27], v[24:25], v[26:27], 0x3fc745d171bf3c30
	v_add_f64_e64 v[20:21], v[20:21], -v[22:23]
	v_fmaak_f64 v[26:27], v[24:25], v[26:27], 0x3fcc71c71c7792ce
	s_delay_alu instid0(VALU_DEP_1) | instskip(NEXT) | instid1(VALU_DEP_1)
	v_fmaak_f64 v[26:27], v[24:25], v[26:27], 0x3fd24924924920da
	v_fmaak_f64 v[26:27], v[24:25], v[26:27], 0x3fd999999999999c
	s_delay_alu instid0(VALU_DEP_1) | instskip(NEXT) | instid1(VALU_DEP_1)
	v_mul_f64_e32 v[28:29], v[24:25], v[26:27]
	v_fma_f64 v[22:23], v[24:25], v[26:27], -v[28:29]
	s_delay_alu instid0(VALU_DEP_1) | instskip(NEXT) | instid1(VALU_DEP_1)
	v_fmac_f64_e32 v[22:23], v[20:21], v[26:27]
	v_add_f64_e32 v[26:27], v[28:29], v[22:23]
	s_delay_alu instid0(VALU_DEP_1) | instskip(SKIP_1) | instid1(VALU_DEP_2)
	v_add_f64_e32 v[30:31], 0x3fe5555555555555, v[26:27]
	v_add_f64_e64 v[28:29], v[26:27], -v[28:29]
	v_add_f64_e32 v[34:35], 0xbfe5555555555555, v[30:31]
	s_delay_alu instid0(VALU_DEP_2) | instskip(SKIP_1) | instid1(VALU_DEP_3)
	v_add_f64_e64 v[22:23], v[22:23], -v[28:29]
	v_fma_f64 v[28:29], v[24:25], v[18:19], -v[32:33]
	v_add_f64_e64 v[26:27], v[26:27], -v[34:35]
	s_delay_alu instid0(VALU_DEP_3) | instskip(NEXT) | instid1(VALU_DEP_3)
	v_add_f64_e32 v[22:23], 0x3c8543b0d5df274d, v[22:23]
	v_fmac_f64_e32 v[28:29], v[24:25], v[16:17]
	v_ldexp_f64 v[16:17], v[16:17], 1
	s_delay_alu instid0(VALU_DEP_3) | instskip(NEXT) | instid1(VALU_DEP_3)
	v_add_f64_e32 v[22:23], v[22:23], v[26:27]
	v_fmac_f64_e32 v[28:29], v[20:21], v[18:19]
	v_ldexp_f64 v[18:19], v[18:19], 1
	s_delay_alu instid0(VALU_DEP_3) | instskip(NEXT) | instid1(VALU_DEP_3)
	v_add_f64_e32 v[20:21], v[30:31], v[22:23]
	v_add_f64_e32 v[24:25], v[32:33], v[28:29]
	s_delay_alu instid0(VALU_DEP_2) | instskip(NEXT) | instid1(VALU_DEP_2)
	v_add_f64_e64 v[26:27], v[30:31], -v[20:21]
	v_mul_f64_e32 v[30:31], v[24:25], v[20:21]
	v_add_f64_e64 v[32:33], v[24:25], -v[32:33]
	s_delay_alu instid0(VALU_DEP_3) | instskip(NEXT) | instid1(VALU_DEP_3)
	v_add_f64_e32 v[22:23], v[22:23], v[26:27]
	v_fma_f64 v[26:27], v[24:25], v[20:21], -v[30:31]
	s_delay_alu instid0(VALU_DEP_3) | instskip(NEXT) | instid1(VALU_DEP_2)
	v_add_f64_e64 v[28:29], v[28:29], -v[32:33]
	v_fmac_f64_e32 v[26:27], v[24:25], v[22:23]
	v_cvt_f64_i32_e32 v[22:23], v9
	s_delay_alu instid0(VALU_DEP_2) | instskip(NEXT) | instid1(VALU_DEP_1)
	v_fmac_f64_e32 v[26:27], v[28:29], v[20:21]
	v_add_f64_e32 v[20:21], v[30:31], v[26:27]
	s_delay_alu instid0(VALU_DEP_1) | instskip(SKIP_2) | instid1(VALU_DEP_3)
	v_add_f64_e32 v[24:25], v[18:19], v[20:21]
	v_add_f64_e64 v[28:29], v[20:21], -v[30:31]
	v_mul_f64_e32 v[30:31], 0x3fe62e42fefa39ef, v[22:23]
	v_add_f64_e64 v[18:19], v[24:25], -v[18:19]
	s_delay_alu instid0(VALU_DEP_3) | instskip(NEXT) | instid1(VALU_DEP_3)
	v_add_f64_e64 v[26:27], v[26:27], -v[28:29]
	v_fma_f64 v[28:29], v[22:23], s[20:21], -v[30:31]
	s_delay_alu instid0(VALU_DEP_3) | instskip(NEXT) | instid1(VALU_DEP_3)
	v_add_f64_e64 v[18:19], v[20:21], -v[18:19]
	v_add_f64_e32 v[16:17], v[16:17], v[26:27]
	s_delay_alu instid0(VALU_DEP_3) | instskip(NEXT) | instid1(VALU_DEP_2)
	v_fmac_f64_e32 v[28:29], 0x3c7abc9e3b39803f, v[22:23]
	v_add_f64_e32 v[16:17], v[16:17], v[18:19]
	s_delay_alu instid0(VALU_DEP_2) | instskip(NEXT) | instid1(VALU_DEP_2)
	v_add_f64_e32 v[18:19], v[30:31], v[28:29]
	v_add_f64_e32 v[20:21], v[24:25], v[16:17]
	s_delay_alu instid0(VALU_DEP_2) | instskip(NEXT) | instid1(VALU_DEP_2)
	v_add_f64_e64 v[30:31], v[18:19], -v[30:31]
	v_add_f64_e32 v[22:23], v[18:19], v[20:21]
	v_add_f64_e64 v[24:25], v[20:21], -v[24:25]
	s_delay_alu instid0(VALU_DEP_3) | instskip(NEXT) | instid1(VALU_DEP_3)
	v_add_f64_e64 v[28:29], v[28:29], -v[30:31]
	v_add_f64_e64 v[26:27], v[22:23], -v[18:19]
	s_delay_alu instid0(VALU_DEP_3) | instskip(NEXT) | instid1(VALU_DEP_2)
	v_add_f64_e64 v[16:17], v[16:17], -v[24:25]
	v_add_f64_e64 v[32:33], v[22:23], -v[26:27]
	;; [unrolled: 1-line block ×3, first 2 shown]
	s_delay_alu instid0(VALU_DEP_3) | instskip(NEXT) | instid1(VALU_DEP_3)
	v_add_f64_e32 v[24:25], v[28:29], v[16:17]
	v_add_f64_e64 v[18:19], v[18:19], -v[32:33]
	s_delay_alu instid0(VALU_DEP_1) | instskip(NEXT) | instid1(VALU_DEP_3)
	v_add_f64_e32 v[18:19], v[20:21], v[18:19]
	v_add_f64_e64 v[20:21], v[24:25], -v[28:29]
	s_delay_alu instid0(VALU_DEP_2) | instskip(NEXT) | instid1(VALU_DEP_2)
	v_add_f64_e32 v[18:19], v[24:25], v[18:19]
	v_add_f64_e64 v[24:25], v[24:25], -v[20:21]
	v_add_f64_e64 v[16:17], v[16:17], -v[20:21]
	s_delay_alu instid0(VALU_DEP_3) | instskip(NEXT) | instid1(VALU_DEP_3)
	v_add_f64_e32 v[26:27], v[22:23], v[18:19]
	v_add_f64_e64 v[20:21], v[28:29], -v[24:25]
	s_delay_alu instid0(VALU_DEP_2) | instskip(NEXT) | instid1(VALU_DEP_2)
	v_add_f64_e64 v[22:23], v[26:27], -v[22:23]
	v_add_f64_e32 v[16:17], v[16:17], v[20:21]
	s_delay_alu instid0(VALU_DEP_2) | instskip(NEXT) | instid1(VALU_DEP_1)
	v_add_f64_e64 v[18:19], v[18:19], -v[22:23]
	v_add_f64_e32 v[16:17], v[16:17], v[18:19]
	s_delay_alu instid0(VALU_DEP_1) | instskip(NEXT) | instid1(VALU_DEP_1)
	v_add_f64_e32 v[18:19], v[26:27], v[16:17]
	v_add_f64_e64 v[20:21], v[18:19], -v[26:27]
	v_mul_f64_e32 v[22:23], v[12:13], v[18:19]
	s_delay_alu instid0(VALU_DEP_2) | instskip(NEXT) | instid1(VALU_DEP_2)
	v_add_f64_e64 v[16:17], v[16:17], -v[20:21]
	v_fma_f64 v[18:19], v[12:13], v[18:19], -v[22:23]
	v_cmp_class_f64_e64 vcc_lo, v[22:23], 0x204
	s_delay_alu instid0(VALU_DEP_2) | instskip(NEXT) | instid1(VALU_DEP_1)
	v_fmac_f64_e32 v[18:19], v[12:13], v[16:17]
	v_add_f64_e32 v[16:17], v[22:23], v[18:19]
	s_delay_alu instid0(VALU_DEP_1) | instskip(SKIP_1) | instid1(VALU_DEP_2)
	v_dual_cndmask_b32 v21, v17, v23 :: v_dual_cndmask_b32 v20, v16, v22
	v_add_f64_e64 v[16:17], v[16:17], -v[22:23]
	v_mul_f64_e32 v[24:25], 0x3ff71547652b82fe, v[20:21]
	v_cmp_nlt_f64_e64 s3, 0x40900000, v[20:21]
	v_cmp_neq_f64_e64 vcc_lo, 0x7ff00000, |v[20:21]|
	v_cmp_ngt_f64_e64 s4, 0xc090cc00, v[20:21]
	v_add_f64_e64 v[16:17], v[18:19], -v[16:17]
	v_trunc_f64_e32 v[18:19], v[12:13]
	v_rndne_f64_e32 v[24:25], v[24:25]
	s_delay_alu instid0(VALU_DEP_3) | instskip(SKIP_1) | instid1(VALU_DEP_2)
	v_dual_cndmask_b32 v17, 0, v17 :: v_dual_cndmask_b32 v16, 0, v16
	s_and_b32 vcc_lo, s4, s3
	v_fmamk_f64 v[26:27], v[24:25], 0xbfe62e42fefa39ef, v[20:21]
	v_cvt_i32_f64_e32 v9, v[24:25]
	s_delay_alu instid0(VALU_DEP_2) | instskip(NEXT) | instid1(VALU_DEP_1)
	v_fmac_f64_e32 v[26:27], 0xbc7abc9e3b39803f, v[24:25]
	v_fmamk_f64 v[28:29], v[26:27], 0x3e5ade156a5dcb37, v[6:7]
	s_delay_alu instid0(VALU_DEP_1) | instskip(NEXT) | instid1(VALU_DEP_1)
	v_fmaak_f64 v[28:29], v[26:27], v[28:29], 0x3ec71dee623fde64
	v_fmaak_f64 v[28:29], v[26:27], v[28:29], 0x3efa01997c89e6b0
	s_delay_alu instid0(VALU_DEP_1) | instskip(NEXT) | instid1(VALU_DEP_1)
	v_fmaak_f64 v[28:29], v[26:27], v[28:29], 0x3f2a01a014761f6e
	v_fmaak_f64 v[28:29], v[26:27], v[28:29], 0x3f56c16c1852b7b0
	;; [unrolled: 3-line block ×4, first 2 shown]
	s_delay_alu instid0(VALU_DEP_1) | instskip(NEXT) | instid1(VALU_DEP_1)
	v_fma_f64 v[28:29], v[26:27], v[28:29], 1.0
	v_fma_f64 v[24:25], v[26:27], v[28:29], 1.0
	s_delay_alu instid0(VALU_DEP_1) | instskip(SKIP_1) | instid1(VALU_DEP_2)
	v_ldexp_f64 v[22:23], v[24:25], v9
	v_mul_f64_e32 v[24:25], 0.5, v[12:13]
	v_cndmask_b32_e64 v9, 0x7ff00000, v23, s3
	s_delay_alu instid0(VALU_DEP_2) | instskip(NEXT) | instid1(VALU_DEP_4)
	v_trunc_f64_e32 v[20:21], v[24:25]
	v_cndmask_b32_e32 v22, 0, v22, vcc_lo
	v_cmp_eq_f64_e32 vcc_lo, v[18:19], v[12:13]
	v_cndmask_b32_e64 v19, 0x7ff00000, 0, s6
	v_cndmask_b32_e64 v23, 0, v9, s4
	v_cmp_neq_f64_e64 s6, |v[14:15]|, 1.0
	s_delay_alu instid0(VALU_DEP_2) | instskip(SKIP_2) | instid1(VALU_DEP_4)
	v_fma_f64 v[16:17], v[22:23], v[16:17], v[22:23]
	v_cmp_class_f64_e64 s4, v[22:23], 0x204
	v_cmp_neq_f64_e64 s3, v[20:21], v[24:25]
	v_cndmask_b32_e64 v19, 0x3ff00000, v19, s6
	s_delay_alu instid0(VALU_DEP_3) | instskip(SKIP_1) | instid1(VALU_DEP_2)
	v_dual_cndmask_b32 v17, v17, v23, s4 :: v_dual_cndmask_b32 v16, v16, v22, s4
	v_cmp_gt_f64_e64 s4, 0, v[12:13]
	v_cndmask_b32_e32 v18, 0, v16, vcc_lo
	s_and_b32 s3, vcc_lo, s3
	s_delay_alu instid0(SALU_CYCLE_1) | instskip(NEXT) | instid1(VALU_DEP_1)
	v_cndmask_b32_e64 v9, 0x3ff00000, v15, s3
	v_bfi_b32 v9, 0x7fffffff, v17, v9
	s_delay_alu instid0(VALU_DEP_1) | instskip(SKIP_2) | instid1(VALU_DEP_2)
	v_cndmask_b32_e32 v17, 0x7ff80000, v9, vcc_lo
	v_cmp_gt_f64_e32 vcc_lo, 0, v[14:15]
	s_xor_b32 s4, s4, s5
	v_dual_cndmask_b32 v16, v16, v18 :: v_dual_cndmask_b32 v9, v9, v17
	v_cmp_class_f64_e64 vcc_lo, v[12:13], 0x204
	v_cndmask_b32_e64 v17, 0x7ff00000, 0, s4
	v_cndmask_b32_e64 v18, 0, v15, s3
	s_or_b32 s3, s5, s31
	s_delay_alu instid0(VALU_DEP_1) | instskip(SKIP_1) | instid1(VALU_DEP_1)
	v_bfi_b32 v17, 0x7fffffff, v17, v18
	v_cndmask_b32_e32 v9, v9, v19, vcc_lo
	v_cndmask_b32_e64 v9, v9, v17, s3
	s_or_b32 s3, s3, vcc_lo
	v_cmp_o_f64_e32 vcc_lo, v[14:15], v[12:13]
	v_cndmask_b32_e64 v16, v16, 0, s3
	s_delay_alu instid0(VALU_DEP_1)
	v_cndmask_b32_e32 v12, 0, v16, vcc_lo
	v_cndmask_b32_e32 v13, 0x7ff80000, v9, vcc_lo
	s_cbranch_execnz .LBB221_6
	s_branch .LBB221_11
.LBB221_10:                             ;   in Loop: Header=BB221_7 Depth=1
                                        ; implicit-def: $vgpr12_vgpr13
.LBB221_11:                             ;   in Loop: Header=BB221_7 Depth=1
	s_wait_loadcnt 0x0
	v_mul_f64_e32 v[12:13], v[10:11], v[10:11]
	s_branch .LBB221_6
.LBB221_12:
	s_or_b32 exec_lo, exec_lo, s30
.LBB221_13:
	s_delay_alu instid0(SALU_CYCLE_1)
	s_or_b32 exec_lo, exec_lo, s26
; %bb.14:
	v_mbcnt_lo_u32_b32 v10, -1, 0
	v_and_b32_e32 v11, 31, v0
	s_mov_b32 s3, exec_lo
	s_barrier_signal -1
	s_delay_alu instid0(VALU_DEP_2)
	v_lshl_or_b32 v6, v10, 2, 64
	v_cmp_gt_u32_e32 vcc_lo, 24, v10
	s_barrier_wait -1
	ds_bpermute_b32 v4, v6, v2
	ds_bpermute_b32 v5, v6, v3
	s_wait_dscnt 0x0
	v_add_f64_e32 v[2:3], v[2:3], v[4:5]
	v_cndmask_b32_e64 v4, 0, 8, vcc_lo
	v_cmp_gt_u32_e32 vcc_lo, 28, v10
	s_delay_alu instid0(VALU_DEP_2)
	v_add_lshl_u32 v7, v4, v10, 2
	ds_bpermute_b32 v4, v7, v2
	ds_bpermute_b32 v5, v7, v3
	s_wait_dscnt 0x0
	v_add_f64_e32 v[2:3], v[2:3], v[4:5]
	v_cndmask_b32_e64 v4, 0, 4, vcc_lo
	v_cmp_gt_u32_e32 vcc_lo, 30, v10
	s_delay_alu instid0(VALU_DEP_2)
	v_add_lshl_u32 v8, v4, v10, 2
	ds_bpermute_b32 v4, v8, v2
	ds_bpermute_b32 v5, v8, v3
	s_wait_dscnt 0x0
	v_add_f64_e32 v[2:3], v[2:3], v[4:5]
	v_cndmask_b32_e64 v4, 0, 2, vcc_lo
	v_cmp_ne_u32_e32 vcc_lo, 31, v10
	s_delay_alu instid0(VALU_DEP_2)
	v_add_lshl_u32 v9, v4, v10, 2
	ds_bpermute_b32 v4, v9, v2
	ds_bpermute_b32 v5, v9, v3
	s_wait_dscnt 0x0
	v_add_f64_e32 v[2:3], v[2:3], v[4:5]
	v_add_co_ci_u32_e64 v4, null, 0, v10, vcc_lo
	s_delay_alu instid0(VALU_DEP_1)
	v_lshlrev_b32_e32 v10, 2, v4
	ds_bpermute_b32 v4, v10, v2
	ds_bpermute_b32 v5, v10, v3
	v_cmpx_eq_u32_e32 0, v11
	s_cbranch_execz .LBB221_16
; %bb.15:
	s_wait_dscnt 0x0
	v_add_f64_e32 v[2:3], v[2:3], v[4:5]
	v_lshrrev_b32_e32 v4, 2, v0
	s_delay_alu instid0(VALU_DEP_1)
	v_add_nc_u32_e32 v4, 0, v4
	ds_store_b64 v4, v[2:3]
.LBB221_16:
	s_or_b32 exec_lo, exec_lo, s3
	s_wait_dscnt 0x0
	s_barrier_signal -1
	s_barrier_wait -1
	s_load_b32 s5, s[0:1], 0x54
	v_mov_b64_e32 v[4:5], 0
	s_wait_kmcnt 0x0
	s_bfe_u32 s0, s5, 0xb0005
	s_delay_alu instid0(SALU_CYCLE_1)
	v_cmp_gt_u32_e32 vcc_lo, s0, v0
	s_and_saveexec_b32 s0, vcc_lo
; %bb.17:
	v_lshl_add_u32 v2, v11, 3, 0
	ds_load_b64 v[4:5], v2
; %bb.18:
	s_or_b32 exec_lo, exec_lo, s0
	s_delay_alu instid0(SALU_CYCLE_1)
	s_mov_b32 s0, exec_lo
	v_cmpx_gt_u32_e32 32, v0
	s_cbranch_execz .LBB221_20
; %bb.19:
	s_wait_dscnt 0x0
	ds_bpermute_b32 v2, v6, v4
	ds_bpermute_b32 v3, v6, v5
	s_wait_dscnt 0x0
	v_add_f64_e32 v[2:3], v[4:5], v[2:3]
	ds_bpermute_b32 v4, v7, v2
	ds_bpermute_b32 v5, v7, v3
	s_wait_dscnt 0x0
	v_add_f64_e32 v[2:3], v[2:3], v[4:5]
	;; [unrolled: 4-line block ×5, first 2 shown]
.LBB221_20:
	s_or_b32 exec_lo, exec_lo, s0
	s_delay_alu instid0(SALU_CYCLE_1)
	s_mov_b32 s6, exec_lo
	v_cmpx_eq_u32_e32 0, v0
	s_cbranch_execz .LBB221_22
; %bb.21:
	v_div_scale_f64 v[2:3], null, s[14:15], s[14:15], 1.0
	v_div_scale_f64 v[10:11], vcc_lo, 1.0, s[14:15], 1.0
	s_mov_b64 s[0:1], 0x3fe5555555555555
	v_rcp_f64_e32 v[6:7], v[2:3]
	v_nop
	s_delay_alu instid0(TRANS32_DEP_1) | instskip(NEXT) | instid1(VALU_DEP_1)
	v_fma_f64 v[8:9], -v[2:3], v[6:7], 1.0
	v_fmac_f64_e32 v[6:7], v[6:7], v[8:9]
	s_delay_alu instid0(VALU_DEP_1) | instskip(NEXT) | instid1(VALU_DEP_1)
	v_fma_f64 v[8:9], -v[2:3], v[6:7], 1.0
	v_fmac_f64_e32 v[6:7], v[6:7], v[8:9]
	s_delay_alu instid0(VALU_DEP_1) | instskip(NEXT) | instid1(VALU_DEP_1)
	v_mul_f64_e32 v[8:9], v[10:11], v[6:7]
	v_fma_f64 v[2:3], -v[2:3], v[8:9], v[10:11]
	s_delay_alu instid0(VALU_DEP_1) | instskip(SKIP_2) | instid1(VALU_DEP_2)
	v_div_fmas_f64 v[2:3], v[2:3], v[6:7], v[8:9]
	s_wait_dscnt 0x0
	v_cmp_neq_f64_e32 vcc_lo, 1.0, v[4:5]
	v_div_fixup_f64 v[2:3], v[2:3], s[14:15], 1.0
	s_delay_alu instid0(VALU_DEP_1) | instskip(NEXT) | instid1(VALU_DEP_2)
	v_cndmask_b32_e32 v3, 0x3ff00000, v3, vcc_lo
	v_cndmask_b32_e32 v2, 0, v2, vcc_lo
	s_delay_alu instid0(VALU_DEP_1) | instskip(SKIP_2) | instid1(VALU_DEP_1)
	v_cmp_neq_f64_e32 vcc_lo, 0, v[2:3]
	v_cndmask_b32_e32 v5, 0x3ff00000, v5, vcc_lo
	v_cndmask_b32_e32 v4, 0, v4, vcc_lo
	v_frexp_mant_f64_e64 v[6:7], |v[4:5]|
	v_cmp_lt_f64_e64 s14, |v[4:5]|, 1.0
	v_cmp_eq_f64_e64 s3, 0, v[4:5]
	s_delay_alu instid0(VALU_DEP_3) | instskip(SKIP_2) | instid1(VALU_DEP_1)
	v_cmp_gt_f64_e32 vcc_lo, s[0:1], v[6:7]
	s_mov_b64 s[0:1], 0x3fbdee674222de17
	v_cndmask_b32_e64 v8, 0, 1, vcc_lo
	v_ldexp_f64 v[6:7], v[6:7], v8
	s_delay_alu instid0(VALU_DEP_1) | instskip(SKIP_1) | instid1(VALU_DEP_2)
	v_add_f64_e32 v[8:9], 1.0, v[6:7]
	v_add_f64_e32 v[14:15], -1.0, v[6:7]
	v_rcp_f64_e32 v[10:11], v[8:9]
	v_add_f64_e32 v[16:17], -1.0, v[8:9]
	v_cmp_neq_f64_e64 s4, v[2:3], |v[2:3]|
	s_delay_alu instid0(VALU_DEP_2) | instskip(SKIP_2) | instid1(TRANS32_DEP_1)
	v_add_f64_e64 v[6:7], v[6:7], -v[16:17]
	s_xor_b32 s4, s4, s14
	v_cmp_class_f64_e64 s14, v[4:5], 0x204
	v_fma_f64 v[12:13], -v[8:9], v[10:11], 1.0
	s_delay_alu instid0(VALU_DEP_1) | instskip(NEXT) | instid1(VALU_DEP_1)
	v_fmac_f64_e32 v[10:11], v[12:13], v[10:11]
	v_fma_f64 v[12:13], -v[8:9], v[10:11], 1.0
	s_delay_alu instid0(VALU_DEP_1) | instskip(NEXT) | instid1(VALU_DEP_1)
	v_fmac_f64_e32 v[10:11], v[12:13], v[10:11]
	v_mul_f64_e32 v[12:13], v[14:15], v[10:11]
	s_delay_alu instid0(VALU_DEP_1) | instskip(NEXT) | instid1(VALU_DEP_1)
	v_mul_f64_e32 v[18:19], v[8:9], v[12:13]
	v_fma_f64 v[8:9], v[12:13], v[8:9], -v[18:19]
	s_delay_alu instid0(VALU_DEP_1) | instskip(NEXT) | instid1(VALU_DEP_1)
	v_fmac_f64_e32 v[8:9], v[12:13], v[6:7]
	v_add_f64_e32 v[6:7], v[18:19], v[8:9]
	s_delay_alu instid0(VALU_DEP_1) | instskip(SKIP_1) | instid1(VALU_DEP_2)
	v_add_f64_e64 v[16:17], v[14:15], -v[6:7]
	v_add_f64_e64 v[18:19], v[6:7], -v[18:19]
	;; [unrolled: 1-line block ×3, first 2 shown]
	s_delay_alu instid0(VALU_DEP_2) | instskip(NEXT) | instid1(VALU_DEP_2)
	v_add_f64_e64 v[8:9], v[18:19], -v[8:9]
	v_add_f64_e64 v[6:7], v[14:15], -v[6:7]
	s_delay_alu instid0(VALU_DEP_1) | instskip(NEXT) | instid1(VALU_DEP_1)
	v_add_f64_e32 v[6:7], v[8:9], v[6:7]
	v_add_f64_e32 v[6:7], v[16:17], v[6:7]
	s_delay_alu instid0(VALU_DEP_1) | instskip(NEXT) | instid1(VALU_DEP_1)
	v_mul_f64_e32 v[6:7], v[10:11], v[6:7]
	v_add_f64_e32 v[8:9], v[12:13], v[6:7]
	s_delay_alu instid0(VALU_DEP_1) | instskip(SKIP_1) | instid1(VALU_DEP_2)
	v_add_f64_e64 v[10:11], v[8:9], -v[12:13]
	v_mul_f64_e32 v[12:13], v[8:9], v[8:9]
	v_add_f64_e64 v[6:7], v[6:7], -v[10:11]
	s_delay_alu instid0(VALU_DEP_2) | instskip(NEXT) | instid1(VALU_DEP_2)
	v_fma_f64 v[10:11], v[8:9], v[8:9], -v[12:13]
	v_add_f64_e32 v[14:15], v[6:7], v[6:7]
	s_delay_alu instid0(VALU_DEP_1) | instskip(NEXT) | instid1(VALU_DEP_1)
	v_fmac_f64_e32 v[10:11], v[8:9], v[14:15]
	v_add_f64_e32 v[14:15], v[12:13], v[10:11]
	s_delay_alu instid0(VALU_DEP_1) | instskip(SKIP_3) | instid1(VALU_DEP_3)
	v_fmaak_f64 v[16:17], s[0:1], v[14:15], 0x3fba6564968915a9
	v_add_f64_e64 v[12:13], v[14:15], -v[12:13]
	v_mul_f64_e32 v[22:23], v[8:9], v[14:15]
	s_mov_b64 s[0:1], 0x3fe62e42fefa39ef
	v_fmaak_f64 v[16:17], v[14:15], v[16:17], 0x3fbe25e43abe935a
	s_delay_alu instid0(VALU_DEP_1) | instskip(NEXT) | instid1(VALU_DEP_1)
	v_fmaak_f64 v[16:17], v[14:15], v[16:17], 0x3fc110ef47e6c9c2
	v_fmaak_f64 v[16:17], v[14:15], v[16:17], 0x3fc3b13bcfa74449
	s_delay_alu instid0(VALU_DEP_1) | instskip(SKIP_1) | instid1(VALU_DEP_2)
	v_fmaak_f64 v[16:17], v[14:15], v[16:17], 0x3fc745d171bf3c30
	v_add_f64_e64 v[10:11], v[10:11], -v[12:13]
	v_fmaak_f64 v[16:17], v[14:15], v[16:17], 0x3fcc71c71c7792ce
	s_delay_alu instid0(VALU_DEP_1) | instskip(NEXT) | instid1(VALU_DEP_1)
	v_fmaak_f64 v[16:17], v[14:15], v[16:17], 0x3fd24924924920da
	v_fmaak_f64 v[16:17], v[14:15], v[16:17], 0x3fd999999999999c
	s_delay_alu instid0(VALU_DEP_1) | instskip(NEXT) | instid1(VALU_DEP_1)
	v_mul_f64_e32 v[18:19], v[14:15], v[16:17]
	v_fma_f64 v[12:13], v[14:15], v[16:17], -v[18:19]
	s_delay_alu instid0(VALU_DEP_1) | instskip(NEXT) | instid1(VALU_DEP_1)
	v_fmac_f64_e32 v[12:13], v[10:11], v[16:17]
	v_add_f64_e32 v[16:17], v[18:19], v[12:13]
	s_delay_alu instid0(VALU_DEP_1) | instskip(SKIP_1) | instid1(VALU_DEP_2)
	v_add_f64_e32 v[20:21], 0x3fe5555555555555, v[16:17]
	v_add_f64_e64 v[18:19], v[16:17], -v[18:19]
	v_add_f64_e32 v[24:25], 0xbfe5555555555555, v[20:21]
	s_delay_alu instid0(VALU_DEP_2) | instskip(SKIP_1) | instid1(VALU_DEP_3)
	v_add_f64_e64 v[12:13], v[12:13], -v[18:19]
	v_fma_f64 v[18:19], v[14:15], v[8:9], -v[22:23]
	v_add_f64_e64 v[16:17], v[16:17], -v[24:25]
	s_delay_alu instid0(VALU_DEP_3) | instskip(NEXT) | instid1(VALU_DEP_3)
	v_add_f64_e32 v[12:13], 0x3c8543b0d5df274d, v[12:13]
	v_fmac_f64_e32 v[18:19], v[14:15], v[6:7]
	v_ldexp_f64 v[6:7], v[6:7], 1
	s_delay_alu instid0(VALU_DEP_3) | instskip(NEXT) | instid1(VALU_DEP_3)
	v_add_f64_e32 v[12:13], v[12:13], v[16:17]
	v_fmac_f64_e32 v[18:19], v[10:11], v[8:9]
	v_ldexp_f64 v[8:9], v[8:9], 1
	s_delay_alu instid0(VALU_DEP_3) | instskip(NEXT) | instid1(VALU_DEP_3)
	v_add_f64_e32 v[10:11], v[20:21], v[12:13]
	v_add_f64_e32 v[14:15], v[22:23], v[18:19]
	s_delay_alu instid0(VALU_DEP_2) | instskip(NEXT) | instid1(VALU_DEP_2)
	v_add_f64_e64 v[16:17], v[20:21], -v[10:11]
	v_mul_f64_e32 v[20:21], v[14:15], v[10:11]
	v_add_f64_e64 v[22:23], v[14:15], -v[22:23]
	s_delay_alu instid0(VALU_DEP_3) | instskip(NEXT) | instid1(VALU_DEP_3)
	v_add_f64_e32 v[12:13], v[12:13], v[16:17]
	v_fma_f64 v[16:17], v[14:15], v[10:11], -v[20:21]
	s_delay_alu instid0(VALU_DEP_3) | instskip(NEXT) | instid1(VALU_DEP_2)
	v_add_f64_e64 v[18:19], v[18:19], -v[22:23]
	v_fmac_f64_e32 v[16:17], v[14:15], v[12:13]
	s_delay_alu instid0(VALU_DEP_1) | instskip(SKIP_1) | instid1(VALU_DEP_2)
	v_fmac_f64_e32 v[16:17], v[18:19], v[10:11]
	v_frexp_exp_i32_f64_e32 v18, v[4:5]
	v_add_f64_e32 v[10:11], v[20:21], v[16:17]
	s_delay_alu instid0(VALU_DEP_2) | instskip(NEXT) | instid1(VALU_DEP_1)
	v_subrev_co_ci_u32_e64 v18, null, 0, v18, vcc_lo
	v_cvt_f64_i32_e32 v[18:19], v18
	s_delay_alu instid0(VALU_DEP_3) | instskip(SKIP_1) | instid1(VALU_DEP_2)
	v_add_f64_e32 v[12:13], v[8:9], v[10:11]
	v_add_f64_e64 v[14:15], v[10:11], -v[20:21]
	v_add_f64_e64 v[8:9], v[12:13], -v[8:9]
	s_delay_alu instid0(VALU_DEP_2) | instskip(SKIP_1) | instid1(VALU_DEP_3)
	v_add_f64_e64 v[14:15], v[16:17], -v[14:15]
	v_mul_f64_e32 v[16:17], 0x3fe62e42fefa39ef, v[18:19]
	v_add_f64_e64 v[8:9], v[10:11], -v[8:9]
	s_delay_alu instid0(VALU_DEP_3) | instskip(NEXT) | instid1(VALU_DEP_3)
	v_add_f64_e32 v[6:7], v[6:7], v[14:15]
	v_fma_f64 v[10:11], v[18:19], s[0:1], -v[16:17]
	s_mov_b64 s[0:1], 0x3e5ade156a5dcb37
	s_delay_alu instid0(VALU_DEP_2) | instskip(NEXT) | instid1(VALU_DEP_2)
	v_add_f64_e32 v[6:7], v[6:7], v[8:9]
	v_fmamk_f64 v[8:9], v[18:19], 0x3c7abc9e3b39803f, v[10:11]
	s_delay_alu instid0(VALU_DEP_1) | instskip(NEXT) | instid1(VALU_DEP_3)
	v_add_f64_e32 v[10:11], v[16:17], v[8:9]
	v_add_f64_e32 v[14:15], v[12:13], v[6:7]
	s_delay_alu instid0(VALU_DEP_2) | instskip(NEXT) | instid1(VALU_DEP_2)
	v_add_f64_e64 v[16:17], v[10:11], -v[16:17]
	v_add_f64_e32 v[18:19], v[10:11], v[14:15]
	v_add_f64_e64 v[12:13], v[14:15], -v[12:13]
	s_delay_alu instid0(VALU_DEP_3) | instskip(NEXT) | instid1(VALU_DEP_3)
	v_add_f64_e64 v[8:9], v[8:9], -v[16:17]
	v_add_f64_e64 v[20:21], v[18:19], -v[10:11]
	s_delay_alu instid0(VALU_DEP_3) | instskip(NEXT) | instid1(VALU_DEP_2)
	v_add_f64_e64 v[6:7], v[6:7], -v[12:13]
	v_add_f64_e64 v[22:23], v[18:19], -v[20:21]
	;; [unrolled: 1-line block ×3, first 2 shown]
	s_delay_alu instid0(VALU_DEP_3) | instskip(NEXT) | instid1(VALU_DEP_3)
	v_add_f64_e32 v[14:15], v[8:9], v[6:7]
	v_add_f64_e64 v[10:11], v[10:11], -v[22:23]
	s_delay_alu instid0(VALU_DEP_1) | instskip(NEXT) | instid1(VALU_DEP_3)
	v_add_f64_e32 v[10:11], v[12:13], v[10:11]
	v_add_f64_e64 v[12:13], v[14:15], -v[8:9]
	s_delay_alu instid0(VALU_DEP_2) | instskip(NEXT) | instid1(VALU_DEP_2)
	v_add_f64_e32 v[10:11], v[14:15], v[10:11]
	v_add_f64_e64 v[14:15], v[14:15], -v[12:13]
	v_add_f64_e64 v[6:7], v[6:7], -v[12:13]
	s_delay_alu instid0(VALU_DEP_3) | instskip(NEXT) | instid1(VALU_DEP_3)
	v_add_f64_e32 v[16:17], v[18:19], v[10:11]
	v_add_f64_e64 v[8:9], v[8:9], -v[14:15]
	s_delay_alu instid0(VALU_DEP_2) | instskip(NEXT) | instid1(VALU_DEP_2)
	v_add_f64_e64 v[12:13], v[16:17], -v[18:19]
	v_add_f64_e32 v[6:7], v[6:7], v[8:9]
	s_delay_alu instid0(VALU_DEP_2) | instskip(NEXT) | instid1(VALU_DEP_1)
	v_add_f64_e64 v[8:9], v[10:11], -v[12:13]
	v_add_f64_e32 v[6:7], v[6:7], v[8:9]
	s_delay_alu instid0(VALU_DEP_1) | instskip(NEXT) | instid1(VALU_DEP_1)
	v_add_f64_e32 v[8:9], v[16:17], v[6:7]
	v_add_f64_e64 v[10:11], v[8:9], -v[16:17]
	v_mul_f64_e32 v[12:13], v[2:3], v[8:9]
	s_delay_alu instid0(VALU_DEP_2) | instskip(NEXT) | instid1(VALU_DEP_2)
	v_add_f64_e64 v[6:7], v[6:7], -v[10:11]
	v_fma_f64 v[8:9], v[2:3], v[8:9], -v[12:13]
	v_cmp_class_f64_e64 vcc_lo, v[12:13], 0x204
	s_delay_alu instid0(VALU_DEP_2) | instskip(NEXT) | instid1(VALU_DEP_1)
	v_fmac_f64_e32 v[8:9], v[2:3], v[6:7]
	v_add_f64_e32 v[6:7], v[12:13], v[8:9]
	s_delay_alu instid0(VALU_DEP_1) | instskip(SKIP_1) | instid1(VALU_DEP_2)
	v_dual_cndmask_b32 v11, v7, v13 :: v_dual_cndmask_b32 v10, v6, v12
	v_add_f64_e64 v[6:7], v[6:7], -v[12:13]
	v_mul_f64_e32 v[14:15], 0x3ff71547652b82fe, v[10:11]
	v_cmp_neq_f64_e64 vcc_lo, 0x7ff00000, |v[10:11]|
	s_delay_alu instid0(VALU_DEP_3) | instskip(SKIP_1) | instid1(VALU_DEP_4)
	v_add_f64_e64 v[6:7], v[8:9], -v[6:7]
	v_trunc_f64_e32 v[8:9], v[2:3]
	v_rndne_f64_e32 v[14:15], v[14:15]
	s_delay_alu instid0(VALU_DEP_3) | instskip(NEXT) | instid1(VALU_DEP_2)
	v_dual_cndmask_b32 v7, 0, v7 :: v_dual_cndmask_b32 v6, 0, v6
	v_fmamk_f64 v[16:17], v[14:15], 0xbfe62e42fefa39ef, v[10:11]
	v_cvt_i32_f64_e32 v20, v[14:15]
	s_delay_alu instid0(VALU_DEP_2) | instskip(NEXT) | instid1(VALU_DEP_1)
	v_fmamk_f64 v[16:17], v[14:15], 0xbc7abc9e3b39803f, v[16:17]
	v_fmaak_f64 v[18:19], s[0:1], v[16:17], 0x3e928af3fca7ab0c
	v_cmp_nlt_f64_e64 s0, 0x40900000, v[10:11]
	v_cmp_ngt_f64_e64 s1, 0xc090cc00, v[10:11]
	s_delay_alu instid0(VALU_DEP_3) | instskip(NEXT) | instid1(VALU_DEP_1)
	v_fmaak_f64 v[18:19], v[16:17], v[18:19], 0x3ec71dee623fde64
	v_fmaak_f64 v[18:19], v[16:17], v[18:19], 0x3efa01997c89e6b0
	s_delay_alu instid0(VALU_DEP_1) | instskip(NEXT) | instid1(VALU_DEP_1)
	v_fmaak_f64 v[18:19], v[16:17], v[18:19], 0x3f2a01a014761f6e
	v_fmaak_f64 v[18:19], v[16:17], v[18:19], 0x3f56c16c1852b7b0
	s_and_b32 vcc_lo, s1, s0
	s_delay_alu instid0(VALU_DEP_1) | instskip(NEXT) | instid1(VALU_DEP_1)
	v_fmaak_f64 v[18:19], v[16:17], v[18:19], 0x3f81111111122322
	v_fmaak_f64 v[18:19], v[16:17], v[18:19], 0x3fa55555555502a1
	s_delay_alu instid0(VALU_DEP_1) | instskip(NEXT) | instid1(VALU_DEP_1)
	v_fmaak_f64 v[18:19], v[16:17], v[18:19], 0x3fc5555555555511
	v_fmaak_f64 v[18:19], v[16:17], v[18:19], 0x3fe000000000000b
	s_delay_alu instid0(VALU_DEP_1) | instskip(NEXT) | instid1(VALU_DEP_1)
	v_fma_f64 v[18:19], v[16:17], v[18:19], 1.0
	v_fma_f64 v[14:15], v[16:17], v[18:19], 1.0
	s_delay_alu instid0(VALU_DEP_1) | instskip(SKIP_1) | instid1(VALU_DEP_2)
	v_ldexp_f64 v[12:13], v[14:15], v20
	v_mul_f64_e32 v[14:15], 0.5, v[2:3]
	v_cndmask_b32_e64 v13, 0x7ff00000, v13, s0
	s_delay_alu instid0(VALU_DEP_2) | instskip(NEXT) | instid1(VALU_DEP_4)
	v_trunc_f64_e32 v[10:11], v[14:15]
	v_cndmask_b32_e32 v12, 0, v12, vcc_lo
	v_cmp_eq_f64_e32 vcc_lo, v[8:9], v[2:3]
	s_delay_alu instid0(VALU_DEP_4) | instskip(NEXT) | instid1(VALU_DEP_1)
	v_cndmask_b32_e64 v13, 0, v13, s1
	v_fma_f64 v[6:7], v[12:13], v[6:7], v[12:13]
	v_cmp_class_f64_e64 s1, v[12:13], 0x204
	v_cmp_neq_f64_e64 s0, v[10:11], v[14:15]
	v_cndmask_b32_e64 v10, 0x7ff00000, 0, s4
	v_cmp_neq_f64_e64 s4, |v[4:5]|, 1.0
	s_delay_alu instid0(VALU_DEP_4) | instskip(SKIP_1) | instid1(VALU_DEP_2)
	v_dual_cndmask_b32 v7, v7, v13, s1 :: v_dual_cndmask_b32 v6, v6, v12, s1
	v_cmp_gt_f64_e64 s1, 0, v[2:3]
	v_cndmask_b32_e32 v9, 0, v6, vcc_lo
	s_and_b32 s0, vcc_lo, s0
	s_delay_alu instid0(SALU_CYCLE_1) | instskip(SKIP_1) | instid1(VALU_DEP_2)
	v_cndmask_b32_e64 v8, 0x3ff00000, v5, s0
	v_cndmask_b32_e64 v10, 0x3ff00000, v10, s4
	v_bfi_b32 v7, 0x7fffffff, v7, v8
	s_delay_alu instid0(VALU_DEP_1) | instskip(SKIP_2) | instid1(VALU_DEP_2)
	v_cndmask_b32_e32 v8, 0x7ff80000, v7, vcc_lo
	v_cmp_gt_f64_e32 vcc_lo, 0, v[4:5]
	s_xor_b32 s1, s1, s3
	v_dual_cndmask_b32 v6, v6, v9 :: v_dual_cndmask_b32 v7, v7, v8
	v_cmp_class_f64_e64 vcc_lo, v[2:3], 0x204
	v_cndmask_b32_e64 v8, 0x7ff00000, 0, s1
	v_cndmask_b32_e64 v9, 0, v5, s0
	s_or_b32 s0, s3, s14
	s_delay_alu instid0(VALU_DEP_1) | instskip(SKIP_1) | instid1(VALU_DEP_1)
	v_bfi_b32 v8, 0x7fffffff, v8, v9
	v_cndmask_b32_e32 v7, v7, v10, vcc_lo
	v_cndmask_b32_e64 v7, v7, v8, s0
	s_or_b32 s0, s0, vcc_lo
	v_cmp_o_f64_e32 vcc_lo, v[4:5], v[2:3]
	v_cndmask_b32_e64 v6, v6, 0, s0
	s_delay_alu instid0(VALU_DEP_1)
	v_dual_mov_b32 v4, 0 :: v_dual_cndmask_b32 v2, 0, v6, vcc_lo
	v_cndmask_b32_e32 v3, 0x7ff80000, v7, vcc_lo
	ds_store_b64 v4, v[2:3]
.LBB221_22:
	s_or_b32 exec_lo, exec_lo, s6
	v_mov_b32_e32 v2, 0
	s_wait_dscnt 0x0
	s_barrier_signal -1
	s_barrier_wait -1
	ds_load_b64 v[2:3], v2
	s_wait_dscnt 0x0
	v_cmp_nlt_f64_e32 vcc_lo, s[12:13], v[2:3]
	s_cbranch_vccnz .LBB221_27
; %bb.23:
	s_and_saveexec_b32 s3, s2
	s_cbranch_execz .LBB221_26
; %bb.24:
	v_add_f64_e32 v[2:3], 0x3e7ad7f29abcaf48, v[2:3]
	s_and_b32 s2, 0xffff, s5
	s_lshl_b64 s[0:1], s[10:11], 3
	s_mov_b32 s4, 0
	s_add_nc_u64 s[0:1], s[8:9], s[0:1]
	s_delay_alu instid0(VALU_DEP_1) | instskip(NEXT) | instid1(VALU_DEP_1)
	v_div_scale_f64 v[4:5], null, v[2:3], v[2:3], s[12:13]
	v_rcp_f64_e32 v[6:7], v[4:5]
	v_nop
	s_delay_alu instid0(TRANS32_DEP_1) | instskip(NEXT) | instid1(VALU_DEP_1)
	v_fma_f64 v[8:9], -v[4:5], v[6:7], 1.0
	v_fmac_f64_e32 v[6:7], v[6:7], v[8:9]
	s_delay_alu instid0(VALU_DEP_1) | instskip(NEXT) | instid1(VALU_DEP_1)
	v_fma_f64 v[8:9], -v[4:5], v[6:7], 1.0
	v_fmac_f64_e32 v[6:7], v[6:7], v[8:9]
	v_div_scale_f64 v[8:9], vcc_lo, s[12:13], v[2:3], s[12:13]
	s_delay_alu instid0(VALU_DEP_1) | instskip(NEXT) | instid1(VALU_DEP_1)
	v_mul_f64_e32 v[10:11], v[8:9], v[6:7]
	v_fma_f64 v[4:5], -v[4:5], v[10:11], v[8:9]
	s_delay_alu instid0(VALU_DEP_1) | instskip(NEXT) | instid1(VALU_DEP_1)
	v_div_fmas_f64 v[4:5], v[4:5], v[6:7], v[10:11]
	v_div_fixup_f64 v[2:3], v[4:5], v[2:3], s[12:13]
	v_add_nc_u32_e32 v4, s2, v0
.LBB221_25:                             ; =>This Inner Loop Header: Depth=1
	v_mul_u64_e32 v[0:1], s[22:23], v[0:1]
	s_delay_alu instid0(VALU_DEP_2) | instskip(NEXT) | instid1(VALU_DEP_1)
	v_ashrrev_i32_e32 v5, 31, v4
	v_cmp_le_i64_e32 vcc_lo, s[16:17], v[4:5]
	s_or_b32 s4, vcc_lo, s4
	s_delay_alu instid0(VALU_DEP_3)
	v_lshl_add_u64 v[6:7], v[0:1], 3, s[0:1]
	global_load_b64 v[0:1], v[6:7], off
	s_wait_loadcnt 0x0
	v_mul_f64_e32 v[8:9], v[2:3], v[0:1]
	v_mov_b64_e32 v[0:1], v[4:5]
	v_add_nc_u32_e32 v4, s2, v4
	global_store_b64 v[6:7], v[8:9], off
	s_wait_xcnt 0x0
	s_and_not1_b32 exec_lo, exec_lo, s4
	s_cbranch_execnz .LBB221_25
.LBB221_26:
	s_or_b32 exec_lo, exec_lo, s3
.LBB221_27:
	s_delay_alu instid0(SALU_CYCLE_1)
	s_and_b32 vcc_lo, exec_lo, s7
	s_cbranch_vccnz .LBB221_30
.LBB221_28:
	s_endpgm
.LBB221_29:
	s_cbranch_execz .LBB221_28
.LBB221_30:
	s_trap 2
	; divergent unreachable
	s_endpgm
	.section	.rodata,"a",@progbits
	.p2align	6, 0x0
	.amdhsa_kernel _ZN2at6native12_GLOBAL__N_113renorm_kernelIddKiEEvPT_PT1_T0_S8_llllPKl
		.amdhsa_group_segment_fixed_size 0
		.amdhsa_private_segment_fixed_size 0
		.amdhsa_kernarg_size 328
		.amdhsa_user_sgpr_count 2
		.amdhsa_user_sgpr_dispatch_ptr 0
		.amdhsa_user_sgpr_queue_ptr 0
		.amdhsa_user_sgpr_kernarg_segment_ptr 1
		.amdhsa_user_sgpr_dispatch_id 0
		.amdhsa_user_sgpr_kernarg_preload_length 0
		.amdhsa_user_sgpr_kernarg_preload_offset 0
		.amdhsa_user_sgpr_private_segment_size 0
		.amdhsa_wavefront_size32 1
		.amdhsa_uses_dynamic_stack 0
		.amdhsa_enable_private_segment 0
		.amdhsa_system_sgpr_workgroup_id_x 1
		.amdhsa_system_sgpr_workgroup_id_y 0
		.amdhsa_system_sgpr_workgroup_id_z 0
		.amdhsa_system_sgpr_workgroup_info 0
		.amdhsa_system_vgpr_workitem_id 0
		.amdhsa_next_free_vgpr 36
		.amdhsa_next_free_sgpr 32
		.amdhsa_named_barrier_count 0
		.amdhsa_reserve_vcc 1
		.amdhsa_float_round_mode_32 0
		.amdhsa_float_round_mode_16_64 0
		.amdhsa_float_denorm_mode_32 3
		.amdhsa_float_denorm_mode_16_64 3
		.amdhsa_fp16_overflow 0
		.amdhsa_memory_ordered 1
		.amdhsa_forward_progress 1
		.amdhsa_inst_pref_size 37
		.amdhsa_round_robin_scheduling 0
		.amdhsa_exception_fp_ieee_invalid_op 0
		.amdhsa_exception_fp_denorm_src 0
		.amdhsa_exception_fp_ieee_div_zero 0
		.amdhsa_exception_fp_ieee_overflow 0
		.amdhsa_exception_fp_ieee_underflow 0
		.amdhsa_exception_fp_ieee_inexact 0
		.amdhsa_exception_int_div_zero 0
	.end_amdhsa_kernel
	.section	.text._ZN2at6native12_GLOBAL__N_113renorm_kernelIddKiEEvPT_PT1_T0_S8_llllPKl,"axG",@progbits,_ZN2at6native12_GLOBAL__N_113renorm_kernelIddKiEEvPT_PT1_T0_S8_llllPKl,comdat
.Lfunc_end221:
	.size	_ZN2at6native12_GLOBAL__N_113renorm_kernelIddKiEEvPT_PT1_T0_S8_llllPKl, .Lfunc_end221-_ZN2at6native12_GLOBAL__N_113renorm_kernelIddKiEEvPT_PT1_T0_S8_llllPKl
                                        ; -- End function
	.set _ZN2at6native12_GLOBAL__N_113renorm_kernelIddKiEEvPT_PT1_T0_S8_llllPKl.num_vgpr, 36
	.set _ZN2at6native12_GLOBAL__N_113renorm_kernelIddKiEEvPT_PT1_T0_S8_llllPKl.num_agpr, 0
	.set _ZN2at6native12_GLOBAL__N_113renorm_kernelIddKiEEvPT_PT1_T0_S8_llllPKl.numbered_sgpr, 32
	.set _ZN2at6native12_GLOBAL__N_113renorm_kernelIddKiEEvPT_PT1_T0_S8_llllPKl.num_named_barrier, 0
	.set _ZN2at6native12_GLOBAL__N_113renorm_kernelIddKiEEvPT_PT1_T0_S8_llllPKl.private_seg_size, 0
	.set _ZN2at6native12_GLOBAL__N_113renorm_kernelIddKiEEvPT_PT1_T0_S8_llllPKl.uses_vcc, 1
	.set _ZN2at6native12_GLOBAL__N_113renorm_kernelIddKiEEvPT_PT1_T0_S8_llllPKl.uses_flat_scratch, 0
	.set _ZN2at6native12_GLOBAL__N_113renorm_kernelIddKiEEvPT_PT1_T0_S8_llllPKl.has_dyn_sized_stack, 0
	.set _ZN2at6native12_GLOBAL__N_113renorm_kernelIddKiEEvPT_PT1_T0_S8_llllPKl.has_recursion, 0
	.set _ZN2at6native12_GLOBAL__N_113renorm_kernelIddKiEEvPT_PT1_T0_S8_llllPKl.has_indirect_call, 0
	.section	.AMDGPU.csdata,"",@progbits
; Kernel info:
; codeLenInByte = 4692
; TotalNumSgprs: 34
; NumVgprs: 36
; ScratchSize: 0
; MemoryBound: 0
; FloatMode: 240
; IeeeMode: 1
; LDSByteSize: 0 bytes/workgroup (compile time only)
; SGPRBlocks: 0
; VGPRBlocks: 2
; NumSGPRsForWavesPerEU: 34
; NumVGPRsForWavesPerEU: 36
; NamedBarCnt: 0
; Occupancy: 16
; WaveLimiterHint : 1
; COMPUTE_PGM_RSRC2:SCRATCH_EN: 0
; COMPUTE_PGM_RSRC2:USER_SGPR: 2
; COMPUTE_PGM_RSRC2:TRAP_HANDLER: 0
; COMPUTE_PGM_RSRC2:TGID_X_EN: 1
; COMPUTE_PGM_RSRC2:TGID_Y_EN: 0
; COMPUTE_PGM_RSRC2:TGID_Z_EN: 0
; COMPUTE_PGM_RSRC2:TIDIG_COMP_CNT: 0
	.section	.text._ZN2at6native12_GLOBAL__N_113renorm_kernelIffKiEEvPT_PT1_T0_S8_llllPKl,"axG",@progbits,_ZN2at6native12_GLOBAL__N_113renorm_kernelIffKiEEvPT_PT1_T0_S8_llllPKl,comdat
	.globl	_ZN2at6native12_GLOBAL__N_113renorm_kernelIffKiEEvPT_PT1_T0_S8_llllPKl ; -- Begin function _ZN2at6native12_GLOBAL__N_113renorm_kernelIffKiEEvPT_PT1_T0_S8_llllPKl
	.p2align	8
	.type	_ZN2at6native12_GLOBAL__N_113renorm_kernelIffKiEEvPT_PT1_T0_S8_llllPKl,@function
_ZN2at6native12_GLOBAL__N_113renorm_kernelIffKiEEvPT_PT1_T0_S8_llllPKl: ; @_ZN2at6native12_GLOBAL__N_113renorm_kernelIffKiEEvPT_PT1_T0_S8_llllPKl
; %bb.0:
	s_load_b64 s[2:3], s[0:1], 0x38
	s_getreg_b32 s6, hwreg(HW_REG_IB_STS2, 6, 4)
	s_wait_kmcnt 0x0
	s_load_b64 s[4:5], s[2:3], 0x0
	s_wait_xcnt 0x0
	s_bfe_u32 s2, ttmp6, 0x4000c
	s_and_b32 s3, ttmp6, 15
	s_add_co_i32 s2, s2, 1
	s_delay_alu instid0(SALU_CYCLE_1) | instskip(NEXT) | instid1(SALU_CYCLE_1)
	s_mul_i32 s2, ttmp9, s2
	s_add_co_i32 s2, s3, s2
	s_cmp_eq_u32 s6, 0
	s_mov_b32 s3, 0
	s_cselect_b32 s2, ttmp9, s2
	s_wait_kmcnt 0x0
	v_cmp_le_i64_e64 s4, s[4:5], s[2:3]
	s_and_b32 vcc_lo, exec_lo, s4
	s_cbranch_vccnz .LBB222_28
; %bb.1:
	s_load_b128 s[16:19], s[0:1], 0x0
	s_lshl_b64 s[2:3], s[2:3], 2
	s_wait_kmcnt 0x0
	s_add_nc_u64 s[2:3], s[18:19], s[2:3]
	s_load_b32 s4, s[2:3], 0x0
	s_wait_kmcnt 0x0
	s_cmp_lt_i32 s4, 0
	s_cbranch_scc1 .LBB222_29
; %bb.2:
	s_load_b256 s[8:15], s[0:1], 0x18
	s_ashr_i32 s5, s4, 31
	s_get_pc_i64 s[2:3]
	s_add_nc_u64 s[2:3], s[2:3], .str.5@rel64+4
	s_delay_alu instid0(SALU_CYCLE_1) | instskip(SKIP_4) | instid1(SALU_CYCLE_1)
	s_cmp_eq_u64 s[2:3], 0
	s_cselect_b32 s2, -1, 0
	s_wait_kmcnt 0x0
	v_cmp_le_i64_e64 s6, s[10:11], s[4:5]
	s_or_b32 s18, s6, s2
	s_and_not1_b32 vcc_lo, exec_lo, s18
	s_cbranch_vccz .LBB222_27
; %bb.3:
	s_load_b64 s[10:11], s[0:1], 0x10
	v_mov_b32_e32 v1, 0
	s_mul_u64 s[6:7], s[12:13], s[4:5]
	s_delay_alu instid0(VALU_DEP_1)
	v_cmp_gt_i64_e64 s2, s[8:9], v[0:1]
	v_mov_b32_e32 v6, v1
	s_and_saveexec_b32 s19, s2
	s_cbranch_execz .LBB222_13
; %bb.4:
	s_load_b32 s3, s[0:1], 0x4c
	s_lshl_b64 s[4:5], s[6:7], 2
	s_wait_kmcnt 0x0
	s_cmp_neq_f32 s11, 1.0
	v_mov_b64_e32 v[4:5], v[0:1]
	s_add_nc_u64 s[12:13], s[16:17], s[4:5]
	s_mov_b32 s23, 0
	s_cselect_b32 s20, -1, 0
	s_cmp_neq_f32 s11, 2.0
	s_mov_b32 s24, 0x3e76c4e1
	s_cselect_b32 s21, -1, 0
	s_and_b32 s22, s3, 0xffff
	s_delay_alu instid0(SALU_CYCLE_1)
	v_dual_mov_b32 v6, 0 :: v_dual_add_nc_u32 v2, s22, v0
	s_branch .LBB222_7
.LBB222_5:                              ;   in Loop: Header=BB222_7 Depth=1
	s_wait_loadcnt 0x0
	v_and_b32_e32 v4, 0x7fffffff, v3
.LBB222_6:                              ;   in Loop: Header=BB222_7 Depth=1
	s_wait_loadcnt 0x0
	s_delay_alu instid0(VALU_DEP_1) | instskip(NEXT) | instid1(VALU_DEP_1)
	v_dual_add_f32 v6, v6, v4 :: v_dual_ashrrev_i32 v3, 31, v2
	v_cmp_le_i64_e32 vcc_lo, s[8:9], v[2:3]
	v_mov_b64_e32 v[4:5], v[2:3]
	v_add_nc_u32_e32 v2, s22, v2
	s_or_b32 s23, vcc_lo, s23
	s_delay_alu instid0(SALU_CYCLE_1)
	s_and_not1_b32 exec_lo, exec_lo, s23
	s_cbranch_execz .LBB222_12
.LBB222_7:                              ; =>This Inner Loop Header: Depth=1
	s_delay_alu instid0(VALU_DEP_2) | instskip(SKIP_1) | instid1(VALU_DEP_1)
	v_mul_u64_e32 v[4:5], s[14:15], v[4:5]
	s_and_b32 vcc_lo, exec_lo, s20
	v_lshl_add_u64 v[4:5], v[4:5], 2, s[12:13]
	global_load_b32 v3, v[4:5], off
	s_cbranch_vccz .LBB222_5
; %bb.8:                                ;   in Loop: Header=BB222_7 Depth=1
	s_and_b32 vcc_lo, exec_lo, s21
	s_cbranch_vccz .LBB222_10
; %bb.9:                                ;   in Loop: Header=BB222_7 Depth=1
	s_wait_loadcnt 0x0
	v_cmp_neq_f32_e32 vcc_lo, 1.0, v3
	v_cndmask_b32_e64 v4, 1.0, s11, vcc_lo
	s_delay_alu instid0(VALU_DEP_1) | instskip(SKIP_2) | instid1(VALU_DEP_1)
	v_cmp_neq_f32_e32 vcc_lo, 0, v4
	v_cmp_neq_f32_e64 s25, v4, |v4|
	v_cndmask_b32_e32 v5, 1.0, v3, vcc_lo
	v_frexp_mant_f32_e64 v7, |v5|
	s_delay_alu instid0(VALU_DEP_1) | instskip(SKIP_1) | instid1(VALU_DEP_1)
	v_cmp_gt_f32_e32 vcc_lo, 0x3f2aaaab, v7
	v_cndmask_b32_e64 v8, 1.0, 2.0, vcc_lo
	v_mul_f32_e32 v7, v7, v8
	v_cmp_lt_f32_e64 s26, |v5|, 1.0
	v_cmp_eq_f32_e64 s5, 0, v5
	s_delay_alu instid0(VALU_DEP_3) | instskip(SKIP_1) | instid1(VALU_DEP_1)
	v_dual_add_f32 v8, 1.0, v7 :: v_dual_add_f32 v9, -1.0, v7
	s_xor_b32 s25, s25, s26
	v_rcp_f32_e32 v14, v8
	v_nop
	s_delay_alu instid0(TRANS32_DEP_1) | instskip(NEXT) | instid1(VALU_DEP_1)
	v_dual_add_f32 v11, -1.0, v8 :: v_dual_mul_f32 v15, v9, v14
	v_mul_f32_e32 v10, v8, v15
	s_delay_alu instid0(VALU_DEP_2) | instskip(NEXT) | instid1(VALU_DEP_2)
	v_sub_f32_e32 v7, v7, v11
	v_fma_f32 v12, v15, v8, -v10
	s_delay_alu instid0(VALU_DEP_1) | instskip(NEXT) | instid1(VALU_DEP_1)
	v_fmac_f32_e32 v12, v15, v7
	v_add_f32_e32 v8, v10, v12
	s_delay_alu instid0(VALU_DEP_1) | instskip(NEXT) | instid1(VALU_DEP_1)
	v_dual_sub_f32 v11, v9, v8 :: v_dual_mov_b32 v13, v8
	v_pk_add_f32 v[8:9], v[8:9], v[10:11] neg_lo:[0,1] neg_hi:[0,1]
	s_delay_alu instid0(VALU_DEP_1) | instskip(NEXT) | instid1(VALU_DEP_1)
	v_pk_add_f32 v[8:9], v[8:9], v[12:13] neg_lo:[0,1] neg_hi:[0,1]
	v_add_f32_e32 v7, v8, v9
	s_delay_alu instid0(VALU_DEP_1) | instskip(NEXT) | instid1(VALU_DEP_1)
	v_add_f32_e32 v7, v11, v7
	v_mul_f32_e32 v7, v14, v7
	s_delay_alu instid0(VALU_DEP_1) | instskip(NEXT) | instid1(VALU_DEP_1)
	v_add_f32_e32 v8, v15, v7
	v_dual_sub_f32 v9, v8, v15 :: v_dual_mul_f32 v11, v8, v8
	s_delay_alu instid0(VALU_DEP_1) | instskip(NEXT) | instid1(VALU_DEP_1)
	v_dual_sub_f32 v7, v7, v9 :: v_dual_fma_f32 v9, v8, v8, -v11
	v_add_f32_e32 v10, v7, v7
	s_delay_alu instid0(VALU_DEP_1) | instskip(NEXT) | instid1(VALU_DEP_1)
	v_fmac_f32_e32 v9, v8, v10
	v_add_f32_e32 v10, v11, v9
	s_delay_alu instid0(VALU_DEP_1) | instskip(NEXT) | instid1(VALU_DEP_1)
	v_sub_f32_e32 v11, v10, v11
	v_sub_f32_e32 v18, v9, v11
	v_fmaak_f32 v12, s24, v10, 0x3e91f4c4
	s_delay_alu instid0(VALU_DEP_1) | instskip(SKIP_1) | instid1(VALU_DEP_2)
	v_fmaak_f32 v14, v10, v12, 0x3ecccdef
	v_cvt_f64_f32_e64 v[12:13], |v5|
	v_mul_f32_e32 v15, v10, v14
	s_delay_alu instid0(VALU_DEP_1) | instskip(NEXT) | instid1(VALU_DEP_1)
	v_fma_f32 v9, v10, v14, -v15
	v_fmac_f32_e32 v9, v18, v14
	s_delay_alu instid0(VALU_DEP_1) | instskip(NEXT) | instid1(VALU_DEP_1)
	v_add_f32_e32 v11, v15, v9
	v_sub_f32_e32 v14, v11, v15
	v_add_f32_e32 v15, 0x3f2aaaaa, v11
	s_delay_alu instid0(VALU_DEP_1) | instskip(SKIP_1) | instid1(VALU_DEP_2)
	v_dual_sub_f32 v9, v9, v14 :: v_dual_add_f32 v14, 0xbf2aaaaa, v15
	v_frexp_exp_i32_f64_e32 v19, v[12:13]
	v_add_f32_e32 v9, 0x31739010, v9
	s_delay_alu instid0(VALU_DEP_3) | instskip(NEXT) | instid1(VALU_DEP_1)
	v_sub_f32_e32 v11, v11, v14
	v_pk_mul_f32 v[12:13], v[8:9], v[10:11]
	s_delay_alu instid0(VALU_DEP_1) | instskip(SKIP_1) | instid1(VALU_DEP_1)
	v_fma_f32 v14, v10, v8, -v12
	v_pk_add_f32 v[16:17], v[8:9], v[10:11]
	v_dual_fmac_f32 v14, v10, v7 :: v_dual_mov_b32 v13, v17
	v_ldexp_f32 v7, v7, 1
	s_delay_alu instid0(VALU_DEP_2) | instskip(NEXT) | instid1(VALU_DEP_1)
	v_fmac_f32_e32 v14, v18, v8
	v_pk_add_f32 v[10:11], v[12:13], v[14:15]
	v_subrev_co_ci_u32_e64 v9, null, 0, v19, vcc_lo
	s_delay_alu instid0(VALU_DEP_2) | instskip(NEXT) | instid1(VALU_DEP_3)
	v_mov_b32_e32 v16, v11
	v_dual_sub_f32 v13, v15, v11 :: v_dual_sub_f32 v15, v10, v12
	s_delay_alu instid0(VALU_DEP_3) | instskip(NEXT) | instid1(VALU_DEP_3)
	v_cvt_f32_i32_e32 v9, v9
	v_pk_mul_f32 v[18:19], v[10:11], v[16:17]
	s_delay_alu instid0(VALU_DEP_3) | instskip(NEXT) | instid1(VALU_DEP_2)
	v_sub_f32_e32 v14, v14, v15
	v_dual_fma_f32 v12, v10, v11, -v18 :: v_dual_add_f32 v13, v17, v13
	s_delay_alu instid0(VALU_DEP_1) | instskip(NEXT) | instid1(VALU_DEP_1)
	v_fmac_f32_e32 v12, v10, v13
	v_fmac_f32_e32 v12, v14, v11
	v_mul_f32_e32 v16, 0x3f317218, v9
	v_ldexp_f32 v11, v8, 1
	s_delay_alu instid0(VALU_DEP_3) | instskip(NEXT) | instid1(VALU_DEP_3)
	v_add_f32_e32 v17, v18, v12
	v_fma_f32 v10, 0x3f317218, v9, -v16
	s_delay_alu instid0(VALU_DEP_2) | instskip(NEXT) | instid1(VALU_DEP_2)
	v_dual_mov_b32 v19, v11 :: v_dual_mov_b32 v14, v17
	v_dual_fmac_f32 v10, 0xb102e308, v9 :: v_dual_mov_b32 v13, v17
	s_delay_alu instid0(VALU_DEP_1) | instskip(NEXT) | instid1(VALU_DEP_1)
	v_pk_add_f32 v[8:9], v[16:17], v[10:11]
	v_dual_mov_b32 v15, v9 :: v_dual_mov_b32 v11, v8
	s_delay_alu instid0(VALU_DEP_1) | instskip(NEXT) | instid1(VALU_DEP_1)
	v_pk_add_f32 v[14:15], v[14:15], v[18:19] neg_lo:[0,1] neg_hi:[0,1]
	v_pk_add_f32 v[12:13], v[12:13], v[14:15] neg_lo:[0,1] neg_hi:[0,1]
	s_delay_alu instid0(VALU_DEP_1) | instskip(NEXT) | instid1(VALU_DEP_1)
	v_add_f32_e32 v7, v7, v12
	v_add_f32_e32 v17, v7, v13
	s_delay_alu instid0(VALU_DEP_1) | instskip(SKIP_1) | instid1(VALU_DEP_2)
	v_pk_add_f32 v[12:13], v[8:9], v[16:17]
	v_pk_add_f32 v[14:15], v[8:9], v[16:17] neg_lo:[0,1] neg_hi:[0,1]
	v_dual_mov_b32 v22, v9 :: v_dual_mov_b32 v15, v13
	s_delay_alu instid0(VALU_DEP_1) | instskip(NEXT) | instid1(VALU_DEP_1)
	v_pk_add_f32 v[18:19], v[10:11], v[14:15]
	v_dual_mov_b32 v18, v13 :: v_dual_mov_b32 v16, v19
	v_pk_add_f32 v[10:11], v[10:11], v[14:15] neg_lo:[0,1] neg_hi:[0,1]
	s_delay_alu instid0(VALU_DEP_2) | instskip(SKIP_1) | instid1(VALU_DEP_2)
	v_pk_add_f32 v[20:21], v[16:17], v[8:9] neg_lo:[0,1] neg_hi:[0,1]
	v_dual_mov_b32 v9, v8 :: v_dual_mov_b32 v8, v17
	v_dual_mov_b32 v7, v20 :: v_dual_mov_b32 v23, v20
	s_delay_alu instid0(VALU_DEP_1) | instskip(NEXT) | instid1(VALU_DEP_2)
	v_pk_add_f32 v[12:13], v[12:13], v[6:7] neg_lo:[0,1] neg_hi:[0,1]
	v_pk_add_f32 v[14:15], v[18:19], v[22:23] neg_lo:[0,1] neg_hi:[0,1]
	v_mov_b32_e32 v12, v10
	s_delay_alu instid0(VALU_DEP_2) | instskip(NEXT) | instid1(VALU_DEP_1)
	v_pk_add_f32 v[8:9], v[8:9], v[14:15] neg_lo:[0,1] neg_hi:[0,1]
	v_pk_add_f32 v[12:13], v[12:13], v[8:9]
	s_delay_alu instid0(VALU_DEP_1) | instskip(NEXT) | instid1(VALU_DEP_1)
	v_mov_b32_e32 v14, v13
	v_pk_add_f32 v[14:15], v[12:13], v[14:15]
	s_delay_alu instid0(VALU_DEP_1) | instskip(NEXT) | instid1(VALU_DEP_1)
	v_pk_add_f32 v[16:17], v[16:17], v[14:15]
	v_dual_mov_b32 v11, v19 :: v_dual_mov_b32 v13, v16
	s_delay_alu instid0(VALU_DEP_1) | instskip(NEXT) | instid1(VALU_DEP_1)
	v_pk_add_f32 v[18:19], v[12:13], v[10:11] neg_lo:[0,1] neg_hi:[0,1]
	v_dual_mov_b32 v9, v14 :: v_dual_sub_f32 v7, v12, v18
	s_delay_alu instid0(VALU_DEP_1) | instskip(NEXT) | instid1(VALU_DEP_2)
	v_pk_add_f32 v[8:9], v[8:9], v[18:19] neg_lo:[0,1] neg_hi:[0,1]
	v_sub_f32_e32 v7, v10, v7
	s_delay_alu instid0(VALU_DEP_1) | instskip(NEXT) | instid1(VALU_DEP_1)
	v_add_f32_e32 v7, v8, v7
	v_add_f32_e32 v7, v7, v9
	s_delay_alu instid0(VALU_DEP_1) | instskip(NEXT) | instid1(VALU_DEP_1)
	v_add_f32_e32 v8, v16, v7
	v_sub_f32_e32 v9, v8, v16
	s_delay_alu instid0(VALU_DEP_1) | instskip(NEXT) | instid1(VALU_DEP_1)
	v_dual_mul_f32 v10, v4, v8 :: v_dual_sub_f32 v7, v7, v9
	v_cmp_class_f32_e64 vcc_lo, v10, 0x204
	v_fma_f32 v8, v4, v8, -v10
	s_delay_alu instid0(VALU_DEP_1) | instskip(NEXT) | instid1(VALU_DEP_1)
	v_fmac_f32_e32 v8, v4, v7
	v_add_f32_e32 v7, v10, v8
	s_delay_alu instid0(VALU_DEP_1) | instskip(NEXT) | instid1(VALU_DEP_1)
	v_cndmask_b32_e32 v9, v7, v10, vcc_lo
	v_cmp_eq_f32_e32 vcc_lo, 0x42b17218, v9
	v_cndmask_b32_e64 v11, 0, 0x37000000, vcc_lo
	v_cmp_neq_f32_e64 vcc_lo, 0x7f800000, |v9|
	s_delay_alu instid0(VALU_DEP_2) | instskip(SKIP_2) | instid1(VALU_DEP_3)
	v_sub_f32_e32 v12, v9, v11
	v_trunc_f32_e32 v9, v4
	v_sub_f32_e32 v7, v7, v10
	v_mul_f32_e32 v13, 0x3fb8aa3b, v12
	s_delay_alu instid0(VALU_DEP_2) | instskip(NEXT) | instid1(VALU_DEP_2)
	v_sub_f32_e32 v7, v8, v7
	v_fma_f32 v14, 0x3fb8aa3b, v12, -v13
	v_rndne_f32_e32 v15, v13
	s_delay_alu instid0(VALU_DEP_3) | instskip(SKIP_1) | instid1(VALU_DEP_3)
	v_cndmask_b32_e32 v7, 0, v7, vcc_lo
	v_cmp_ngt_f32_e32 vcc_lo, 0xc2ce8ed0, v12
	v_dual_fmac_f32 v14, 0x32a5705f, v12 :: v_dual_sub_f32 v13, v13, v15
	s_delay_alu instid0(VALU_DEP_1) | instskip(NEXT) | instid1(VALU_DEP_1)
	v_dual_add_f32 v7, v11, v7 :: v_dual_add_f32 v13, v13, v14
	v_exp_f32_e32 v10, v13
	v_nop
	v_cvt_i32_f32_e32 v13, v15
	s_delay_alu instid0(TRANS32_DEP_1) | instid1(VALU_DEP_1)
	v_ldexp_f32 v8, v10, v13
	v_mul_f32_e32 v10, 0.5, v4
	s_delay_alu instid0(VALU_DEP_2) | instskip(NEXT) | instid1(VALU_DEP_2)
	v_cndmask_b32_e32 v8, 0, v8, vcc_lo
	v_trunc_f32_e32 v13, v10
	v_cmp_nlt_f32_e32 vcc_lo, 0x42b17218, v12
	s_delay_alu instid0(VALU_DEP_2) | instskip(NEXT) | instid1(VALU_DEP_4)
	v_cmp_neq_f32_e64 s3, v13, v10
	v_cndmask_b32_e32 v8, 0x7f800000, v8, vcc_lo
	v_cmp_eq_f32_e32 vcc_lo, v9, v4
	s_delay_alu instid0(VALU_DEP_2) | instskip(SKIP_1) | instid1(SALU_CYCLE_1)
	v_cmp_class_f32_e64 s4, v8, 0x204
	s_and_b32 s3, vcc_lo, s3
	v_dual_fma_f32 v7, v8, v7, v8 :: v_dual_cndmask_b32 v9, 1.0, v5, s3
	s_delay_alu instid0(VALU_DEP_1) | instskip(SKIP_2) | instid1(VALU_DEP_3)
	v_cndmask_b32_e64 v7, v7, v8, s4
	v_cndmask_b32_e64 v8, 0x7f800000, 0, s25
	v_cmp_gt_f32_e64 s4, 0, v4
	v_bfi_b32 v7, 0x7fffffff, v7, v9
	s_xor_b32 s4, s4, s5
	s_delay_alu instid0(SALU_CYCLE_1) | instskip(NEXT) | instid1(VALU_DEP_2)
	v_cndmask_b32_e64 v10, 0x7f800000, 0, s4
	v_cndmask_b32_e32 v9, 0x7fc00000, v7, vcc_lo
	v_cmp_neq_f32_e64 vcc_lo, |v5|, 1.0
	v_cndmask_b32_e32 v8, 1.0, v8, vcc_lo
	v_cmp_gt_f32_e32 vcc_lo, 0, v5
	s_delay_alu instid0(VALU_DEP_4) | instskip(SKIP_3) | instid1(VALU_DEP_4)
	v_cndmask_b32_e32 v7, v7, v9, vcc_lo
	v_cmp_class_f32_e64 vcc_lo, v4, 0x204
	v_cndmask_b32_e64 v9, 0, v5, s3
	v_cmp_class_f32_e64 s3, v5, 0x204
	v_cndmask_b32_e32 v7, v7, v8, vcc_lo
	s_delay_alu instid0(VALU_DEP_3) | instskip(SKIP_1) | instid1(VALU_DEP_1)
	v_bfi_b32 v8, 0x7fffffff, v10, v9
	s_or_b32 vcc_lo, s5, s3
	v_cndmask_b32_e32 v7, v7, v8, vcc_lo
	v_cmp_o_f32_e32 vcc_lo, v5, v4
	s_delay_alu instid0(VALU_DEP_2)
	v_cndmask_b32_e32 v4, 0x7fc00000, v7, vcc_lo
	s_cbranch_execnz .LBB222_6
	s_branch .LBB222_11
.LBB222_10:                             ;   in Loop: Header=BB222_7 Depth=1
                                        ; implicit-def: $vgpr4
.LBB222_11:                             ;   in Loop: Header=BB222_7 Depth=1
	s_wait_loadcnt 0x0
	v_mul_f32_e32 v4, v3, v3
	s_branch .LBB222_6
.LBB222_12:
	s_or_b32 exec_lo, exec_lo, s23
.LBB222_13:
	s_delay_alu instid0(SALU_CYCLE_1)
	s_or_b32 exec_lo, exec_lo, s19
; %bb.14:
	v_mbcnt_lo_u32_b32 v7, -1, 0
	s_mov_b32 s3, exec_lo
	s_barrier_signal -1
	s_barrier_wait -1
	s_delay_alu instid0(VALU_DEP_1) | instskip(SKIP_4) | instid1(VALU_DEP_2)
	v_lshl_or_b32 v2, v7, 2, 64
	v_cmp_gt_u32_e32 vcc_lo, 24, v7
	ds_bpermute_b32 v4, v2, v6
	v_cndmask_b32_e64 v3, 0, 8, vcc_lo
	v_cmp_gt_u32_e32 vcc_lo, 28, v7
	v_add_lshl_u32 v3, v3, v7, 2
	s_wait_dscnt 0x0
	v_add_f32_e32 v5, v6, v4
	v_cndmask_b32_e64 v4, 0, 4, vcc_lo
	v_cmp_gt_u32_e32 vcc_lo, 30, v7
	ds_bpermute_b32 v6, v3, v5
	v_add_lshl_u32 v4, v4, v7, 2
	s_wait_dscnt 0x0
	v_add_f32_e32 v6, v5, v6
	v_cndmask_b32_e64 v5, 0, 2, vcc_lo
	v_cmp_ne_u32_e32 vcc_lo, 31, v7
	ds_bpermute_b32 v8, v4, v6
	v_add_lshl_u32 v5, v5, v7, 2
	v_add_co_ci_u32_e64 v9, null, 0, v7, vcc_lo
	s_wait_dscnt 0x0
	v_add_f32_e32 v6, v6, v8
	ds_bpermute_b32 v8, v5, v6
	s_wait_dscnt 0x0
	v_dual_add_f32 v7, v6, v8 :: v_dual_lshlrev_b32 v6, 2, v9
	v_and_b32_e32 v8, 31, v0
	ds_bpermute_b32 v9, v6, v7
	v_cmpx_eq_u32_e32 0, v8
	s_cbranch_execz .LBB222_16
; %bb.15:
	s_wait_dscnt 0x0
	v_dual_add_f32 v7, v7, v9 :: v_dual_lshrrev_b32 v10, 3, v0
	s_delay_alu instid0(VALU_DEP_1)
	v_add_nc_u32_e32 v9, 0, v10
	ds_store_b32 v9, v7
.LBB222_16:
	s_or_b32 exec_lo, exec_lo, s3
	s_wait_dscnt 0x0
	s_barrier_signal -1
	s_barrier_wait -1
	s_load_b32 s4, s[0:1], 0x4c
	v_mov_b32_e32 v7, 0
	s_wait_kmcnt 0x0
	s_bfe_u32 s0, s4, 0xb0005
	s_delay_alu instid0(SALU_CYCLE_1)
	v_cmp_gt_u32_e32 vcc_lo, s0, v0
	s_and_saveexec_b32 s0, vcc_lo
; %bb.17:
	v_lshl_add_u32 v7, v8, 2, 0
	ds_load_b32 v7, v7
; %bb.18:
	s_or_b32 exec_lo, exec_lo, s0
	s_delay_alu instid0(SALU_CYCLE_1)
	s_mov_b32 s0, exec_lo
	v_cmpx_gt_u32_e32 32, v0
	s_cbranch_execz .LBB222_20
; %bb.19:
	s_wait_dscnt 0x0
	ds_bpermute_b32 v2, v2, v7
	s_wait_dscnt 0x0
	v_add_f32_e32 v2, v7, v2
	ds_bpermute_b32 v3, v3, v2
	s_wait_dscnt 0x0
	v_add_f32_e32 v2, v2, v3
	;; [unrolled: 3-line block ×5, first 2 shown]
.LBB222_20:
	s_or_b32 exec_lo, exec_lo, s0
	s_delay_alu instid0(SALU_CYCLE_1)
	s_mov_b32 s5, exec_lo
	v_cmpx_eq_u32_e32 0, v0
	s_cbranch_execz .LBB222_22
; %bb.21:
	v_div_scale_f32 v2, null, s11, s11, 1.0
	v_div_scale_f32 v5, vcc_lo, 1.0, s11, 1.0
	s_mov_b32 s0, 0x3e76c4e1
	v_rcp_f32_e32 v3, v2
	v_nop
	v_xor_b32_e32 v2, 0x80000000, v2
	s_delay_alu instid0(TRANS32_DEP_1) | instid1(VALU_DEP_1)
	v_fma_f32 v4, v2, v3, 1.0
	s_delay_alu instid0(VALU_DEP_1) | instskip(NEXT) | instid1(VALU_DEP_1)
	v_fmac_f32_e32 v3, v4, v3
	v_mul_f32_e32 v4, v5, v3
	s_delay_alu instid0(VALU_DEP_1) | instskip(NEXT) | instid1(VALU_DEP_1)
	v_fma_f32 v6, v2, v4, v5
	v_fmac_f32_e32 v4, v6, v3
	s_delay_alu instid0(VALU_DEP_1) | instskip(NEXT) | instid1(VALU_DEP_1)
	v_fmac_f32_e32 v5, v2, v4
	v_div_fmas_f32 v2, v5, v3, v4
	s_wait_dscnt 0x0
	v_cmp_neq_f32_e32 vcc_lo, 1.0, v7
	s_delay_alu instid0(VALU_DEP_2) | instskip(NEXT) | instid1(VALU_DEP_1)
	v_div_fixup_f32 v2, v2, s11, 1.0
	v_cndmask_b32_e32 v2, 1.0, v2, vcc_lo
	s_delay_alu instid0(VALU_DEP_1) | instskip(SKIP_2) | instid1(VALU_DEP_1)
	v_cmp_neq_f32_e32 vcc_lo, 0, v2
	v_cmp_neq_f32_e64 s11, v2, |v2|
	v_cndmask_b32_e32 v3, 1.0, v7, vcc_lo
	v_frexp_mant_f32_e64 v4, |v3|
	v_cmp_lt_f32_e64 s12, |v3|, 1.0
	v_cmp_eq_f32_e64 s3, 0, v3
	s_delay_alu instid0(VALU_DEP_3) | instskip(SKIP_2) | instid1(VALU_DEP_1)
	v_cmp_gt_f32_e32 vcc_lo, 0x3f2aaaab, v4
	s_xor_b32 s11, s11, s12
	v_cndmask_b32_e64 v5, 1.0, 2.0, vcc_lo
	v_mul_f32_e32 v4, v4, v5
	s_delay_alu instid0(VALU_DEP_1) | instskip(NEXT) | instid1(VALU_DEP_1)
	v_add_f32_e32 v7, 1.0, v4
	v_dual_add_f32 v8, -1.0, v7 :: v_dual_add_f32 v5, -1.0, v4
	v_rcp_f32_e32 v10, v7
	v_nop
	s_delay_alu instid0(TRANS32_DEP_1) | instskip(NEXT) | instid1(VALU_DEP_1)
	v_dual_sub_f32 v4, v4, v8 :: v_dual_mul_f32 v11, v5, v10
	v_mul_f32_e32 v6, v7, v11
	s_delay_alu instid0(VALU_DEP_1) | instskip(NEXT) | instid1(VALU_DEP_1)
	v_fma_f32 v8, v11, v7, -v6
	v_fmac_f32_e32 v8, v11, v4
	s_delay_alu instid0(VALU_DEP_1) | instskip(NEXT) | instid1(VALU_DEP_1)
	v_add_f32_e32 v4, v6, v8
	v_dual_sub_f32 v7, v5, v4 :: v_dual_mov_b32 v9, v4
	s_delay_alu instid0(VALU_DEP_1) | instskip(NEXT) | instid1(VALU_DEP_1)
	v_pk_add_f32 v[4:5], v[4:5], v[6:7] neg_lo:[0,1] neg_hi:[0,1]
	v_pk_add_f32 v[4:5], v[4:5], v[8:9] neg_lo:[0,1] neg_hi:[0,1]
	s_delay_alu instid0(VALU_DEP_1) | instskip(NEXT) | instid1(VALU_DEP_1)
	v_add_f32_e32 v4, v4, v5
	v_add_f32_e32 v4, v7, v4
	s_delay_alu instid0(VALU_DEP_1) | instskip(NEXT) | instid1(VALU_DEP_1)
	v_mul_f32_e32 v5, v10, v4
	v_add_f32_e32 v4, v11, v5
	s_delay_alu instid0(VALU_DEP_1) | instskip(NEXT) | instid1(VALU_DEP_1)
	v_sub_f32_e32 v6, v4, v11
	v_sub_f32_e32 v16, v5, v6
	s_delay_alu instid0(VALU_DEP_1) | instskip(SKIP_1) | instid1(VALU_DEP_1)
	v_add_f32_e32 v6, v16, v16
	v_mul_f32_e32 v7, v4, v4
	v_fma_f32 v5, v4, v4, -v7
	s_delay_alu instid0(VALU_DEP_1) | instskip(NEXT) | instid1(VALU_DEP_1)
	v_fmac_f32_e32 v5, v4, v6
	v_add_f32_e32 v6, v7, v5
	s_delay_alu instid0(VALU_DEP_1) | instskip(NEXT) | instid1(VALU_DEP_1)
	v_dual_fmaak_f32 v8, s0, v6, 0x3e91f4c4 :: v_dual_sub_f32 v7, v6, v7
	v_fmaak_f32 v10, v6, v8, 0x3ecccdef
	v_cvt_f64_f32_e64 v[8:9], |v3|
	s_delay_alu instid0(VALU_DEP_2) | instskip(NEXT) | instid1(VALU_DEP_1)
	v_dual_mul_f32 v11, v6, v10 :: v_dual_sub_f32 v14, v5, v7
	v_fma_f32 v5, v6, v10, -v11
	s_delay_alu instid0(VALU_DEP_1) | instskip(NEXT) | instid1(VALU_DEP_1)
	v_fmac_f32_e32 v5, v14, v10
	v_add_f32_e32 v7, v11, v5
	s_delay_alu instid0(VALU_DEP_1) | instskip(SKIP_1) | instid1(VALU_DEP_1)
	v_sub_f32_e32 v10, v7, v11
	v_add_f32_e32 v11, 0x3f2aaaaa, v7
	v_dual_sub_f32 v5, v5, v10 :: v_dual_add_f32 v10, 0xbf2aaaaa, v11
	v_frexp_exp_i32_f64_e32 v15, v[8:9]
	s_delay_alu instid0(VALU_DEP_2) | instskip(NEXT) | instid1(VALU_DEP_3)
	v_add_f32_e32 v5, 0x31739010, v5
	v_sub_f32_e32 v7, v7, v10
	s_delay_alu instid0(VALU_DEP_1) | instskip(NEXT) | instid1(VALU_DEP_1)
	v_pk_mul_f32 v[8:9], v[4:5], v[6:7]
	v_fma_f32 v10, v6, v4, -v8
	s_delay_alu instid0(VALU_DEP_1) | instskip(NEXT) | instid1(VALU_DEP_1)
	v_fmac_f32_e32 v10, v6, v16
	v_fmac_f32_e32 v10, v14, v4
	v_pk_add_f32 v[12:13], v[4:5], v[6:7]
	s_delay_alu instid0(VALU_DEP_1) | instskip(SKIP_1) | instid1(VALU_DEP_2)
	v_mov_b32_e32 v9, v13
	v_subrev_co_ci_u32_e64 v5, null, 0, v15, vcc_lo
	v_pk_add_f32 v[6:7], v[8:9], v[10:11]
	s_delay_alu instid0(VALU_DEP_2) | instskip(NEXT) | instid1(VALU_DEP_2)
	v_cvt_f32_i32_e32 v5, v5
	v_mov_b32_e32 v12, v7
	s_delay_alu instid0(VALU_DEP_3) | instskip(NEXT) | instid1(VALU_DEP_2)
	v_dual_sub_f32 v9, v11, v7 :: v_dual_sub_f32 v11, v6, v8
	v_pk_mul_f32 v[14:15], v[6:7], v[12:13]
	s_delay_alu instid0(VALU_DEP_2) | instskip(NEXT) | instid1(VALU_DEP_2)
	v_sub_f32_e32 v10, v10, v11
	v_dual_fma_f32 v8, v6, v7, -v14 :: v_dual_add_f32 v9, v13, v9
	s_delay_alu instid0(VALU_DEP_1) | instskip(NEXT) | instid1(VALU_DEP_1)
	v_fmac_f32_e32 v8, v6, v9
	v_fmac_f32_e32 v8, v10, v7
	v_mul_f32_e32 v12, 0x3f317218, v5
	v_ldexp_f32 v7, v4, 1
	s_delay_alu instid0(VALU_DEP_3) | instskip(NEXT) | instid1(VALU_DEP_3)
	v_add_f32_e32 v13, v14, v8
	v_fma_f32 v6, 0x3f317218, v5, -v12
	s_delay_alu instid0(VALU_DEP_2) | instskip(NEXT) | instid1(VALU_DEP_2)
	v_dual_mov_b32 v15, v7 :: v_dual_mov_b32 v10, v13
	v_fmamk_f32 v6, v5, 0xb102e308, v6
	s_delay_alu instid0(VALU_DEP_1) | instskip(SKIP_1) | instid1(VALU_DEP_2)
	v_pk_add_f32 v[4:5], v[12:13], v[6:7]
	v_ldexp_f32 v7, v16, 1
	v_dual_mov_b32 v9, v13 :: v_dual_mov_b32 v11, v5
	s_delay_alu instid0(VALU_DEP_1) | instskip(NEXT) | instid1(VALU_DEP_1)
	v_pk_add_f32 v[10:11], v[10:11], v[14:15] neg_lo:[0,1] neg_hi:[0,1]
	v_pk_add_f32 v[8:9], v[8:9], v[10:11] neg_lo:[0,1] neg_hi:[0,1]
	s_delay_alu instid0(VALU_DEP_1) | instskip(NEXT) | instid1(VALU_DEP_1)
	v_add_f32_e32 v7, v7, v8
	v_dual_add_f32 v13, v7, v9 :: v_dual_mov_b32 v7, v4
	s_delay_alu instid0(VALU_DEP_1) | instskip(SKIP_1) | instid1(VALU_DEP_2)
	v_pk_add_f32 v[8:9], v[4:5], v[12:13]
	v_pk_add_f32 v[10:11], v[4:5], v[12:13] neg_lo:[0,1] neg_hi:[0,1]
	v_dual_mov_b32 v18, v5 :: v_dual_mov_b32 v11, v9
	s_delay_alu instid0(VALU_DEP_1) | instskip(NEXT) | instid1(VALU_DEP_1)
	v_pk_add_f32 v[14:15], v[6:7], v[10:11]
	v_dual_mov_b32 v14, v9 :: v_dual_mov_b32 v12, v15
	v_pk_add_f32 v[6:7], v[6:7], v[10:11] neg_lo:[0,1] neg_hi:[0,1]
	s_delay_alu instid0(VALU_DEP_2) | instskip(SKIP_1) | instid1(VALU_DEP_2)
	v_pk_add_f32 v[16:17], v[12:13], v[4:5] neg_lo:[0,1] neg_hi:[0,1]
	v_dual_mov_b32 v5, v4 :: v_dual_mov_b32 v4, v13
	v_dual_mov_b32 v13, v16 :: v_dual_mov_b32 v19, v16
	s_delay_alu instid0(VALU_DEP_1) | instskip(NEXT) | instid1(VALU_DEP_2)
	v_pk_add_f32 v[8:9], v[8:9], v[12:13] neg_lo:[0,1] neg_hi:[0,1]
	v_pk_add_f32 v[10:11], v[14:15], v[18:19] neg_lo:[0,1] neg_hi:[0,1]
	v_mov_b32_e32 v8, v6
	s_delay_alu instid0(VALU_DEP_2) | instskip(NEXT) | instid1(VALU_DEP_1)
	v_pk_add_f32 v[4:5], v[4:5], v[10:11] neg_lo:[0,1] neg_hi:[0,1]
	v_pk_add_f32 v[8:9], v[8:9], v[4:5]
	s_delay_alu instid0(VALU_DEP_1) | instskip(NEXT) | instid1(VALU_DEP_1)
	v_mov_b32_e32 v10, v9
	v_pk_add_f32 v[10:11], v[8:9], v[10:11]
	s_delay_alu instid0(VALU_DEP_1) | instskip(NEXT) | instid1(VALU_DEP_1)
	v_pk_add_f32 v[12:13], v[12:13], v[10:11]
	v_dual_mov_b32 v7, v15 :: v_dual_mov_b32 v9, v12
	s_delay_alu instid0(VALU_DEP_1) | instskip(NEXT) | instid1(VALU_DEP_1)
	v_pk_add_f32 v[14:15], v[8:9], v[6:7] neg_lo:[0,1] neg_hi:[0,1]
	v_dual_mov_b32 v5, v10 :: v_dual_sub_f32 v7, v8, v14
	s_delay_alu instid0(VALU_DEP_1) | instskip(NEXT) | instid1(VALU_DEP_2)
	v_pk_add_f32 v[4:5], v[4:5], v[14:15] neg_lo:[0,1] neg_hi:[0,1]
	v_sub_f32_e32 v6, v6, v7
	s_delay_alu instid0(VALU_DEP_1) | instskip(NEXT) | instid1(VALU_DEP_1)
	v_add_f32_e32 v4, v4, v6
	v_add_f32_e32 v4, v4, v5
	s_delay_alu instid0(VALU_DEP_1) | instskip(NEXT) | instid1(VALU_DEP_1)
	v_add_f32_e32 v5, v12, v4
	v_dual_sub_f32 v6, v5, v12 :: v_dual_mul_f32 v7, v2, v5
	s_delay_alu instid0(VALU_DEP_1) | instskip(NEXT) | instid1(VALU_DEP_2)
	v_sub_f32_e32 v4, v4, v6
	v_cmp_class_f32_e64 vcc_lo, v7, 0x204
	v_fma_f32 v5, v2, v5, -v7
	s_delay_alu instid0(VALU_DEP_1) | instskip(NEXT) | instid1(VALU_DEP_1)
	v_fmac_f32_e32 v5, v2, v4
	v_add_f32_e32 v4, v7, v5
	s_delay_alu instid0(VALU_DEP_1) | instskip(NEXT) | instid1(VALU_DEP_1)
	v_cndmask_b32_e32 v6, v4, v7, vcc_lo
	v_cmp_eq_f32_e32 vcc_lo, 0x42b17218, v6
	v_cndmask_b32_e64 v8, 0, 0x37000000, vcc_lo
	v_cmp_neq_f32_e64 vcc_lo, 0x7f800000, |v6|
	s_delay_alu instid0(VALU_DEP_2) | instskip(SKIP_1) | instid1(VALU_DEP_2)
	v_dual_sub_f32 v9, v6, v8 :: v_dual_sub_f32 v4, v4, v7
	v_trunc_f32_e32 v6, v2
	v_mul_f32_e32 v10, 0x3fb8aa3b, v9
	s_delay_alu instid0(VALU_DEP_3) | instskip(NEXT) | instid1(VALU_DEP_2)
	v_sub_f32_e32 v4, v5, v4
	v_fma_f32 v11, 0x3fb8aa3b, v9, -v10
	v_rndne_f32_e32 v12, v10
	s_delay_alu instid0(VALU_DEP_3) | instskip(SKIP_1) | instid1(VALU_DEP_3)
	v_cndmask_b32_e32 v4, 0, v4, vcc_lo
	v_cmp_ngt_f32_e32 vcc_lo, 0xc2ce8ed0, v9
	v_dual_fmamk_f32 v11, v9, 0x32a5705f, v11 :: v_dual_sub_f32 v10, v10, v12
	s_delay_alu instid0(VALU_DEP_1) | instskip(NEXT) | instid1(VALU_DEP_1)
	v_dual_add_f32 v4, v8, v4 :: v_dual_add_f32 v10, v10, v11
	v_exp_f32_e32 v7, v10
	v_nop
	v_cvt_i32_f32_e32 v10, v12
	s_delay_alu instid0(TRANS32_DEP_1) | instid1(VALU_DEP_1)
	v_ldexp_f32 v5, v7, v10
	s_delay_alu instid0(VALU_DEP_1) | instskip(NEXT) | instid1(VALU_DEP_1)
	v_dual_mul_f32 v7, 0.5, v2 :: v_dual_cndmask_b32 v5, 0, v5, vcc_lo
	v_trunc_f32_e32 v10, v7
	v_cmp_nlt_f32_e32 vcc_lo, 0x42b17218, v9
	s_delay_alu instid0(VALU_DEP_2) | instskip(NEXT) | instid1(VALU_DEP_4)
	v_cmp_neq_f32_e64 s0, v10, v7
	v_cndmask_b32_e32 v5, 0x7f800000, v5, vcc_lo
	v_cmp_eq_f32_e32 vcc_lo, v6, v2
	s_delay_alu instid0(VALU_DEP_2) | instskip(SKIP_1) | instid1(SALU_CYCLE_1)
	v_cmp_class_f32_e64 s1, v5, 0x204
	s_and_b32 s0, vcc_lo, s0
	v_dual_fma_f32 v4, v5, v4, v5 :: v_dual_cndmask_b32 v6, 1.0, v3, s0
	s_delay_alu instid0(VALU_DEP_1) | instskip(SKIP_2) | instid1(VALU_DEP_3)
	v_cndmask_b32_e64 v4, v4, v5, s1
	v_cndmask_b32_e64 v5, 0x7f800000, 0, s11
	v_cmp_gt_f32_e64 s1, 0, v2
	v_bfi_b32 v4, 0x7fffffff, v4, v6
	s_xor_b32 s1, s1, s3
	s_delay_alu instid0(SALU_CYCLE_1) | instskip(NEXT) | instid1(VALU_DEP_2)
	v_cndmask_b32_e64 v6, 0x7f800000, 0, s1
	v_cndmask_b32_e32 v7, 0x7fc00000, v4, vcc_lo
	v_cmp_neq_f32_e64 vcc_lo, |v3|, 1.0
	v_cndmask_b32_e32 v5, 1.0, v5, vcc_lo
	v_cmp_gt_f32_e32 vcc_lo, 0, v3
	s_delay_alu instid0(VALU_DEP_4) | instskip(SKIP_3) | instid1(VALU_DEP_4)
	v_cndmask_b32_e32 v4, v4, v7, vcc_lo
	v_cmp_class_f32_e64 vcc_lo, v2, 0x204
	v_cndmask_b32_e64 v8, 0, v3, s0
	v_cmp_class_f32_e64 s0, v3, 0x204
	v_cndmask_b32_e32 v4, v4, v5, vcc_lo
	s_delay_alu instid0(VALU_DEP_3) | instskip(SKIP_1) | instid1(VALU_DEP_1)
	v_bfi_b32 v6, 0x7fffffff, v6, v8
	s_or_b32 vcc_lo, s3, s0
	v_cndmask_b32_e32 v4, v4, v6, vcc_lo
	v_cmp_o_f32_e32 vcc_lo, v3, v2
	s_delay_alu instid0(VALU_DEP_2)
	v_dual_mov_b32 v3, 0 :: v_dual_cndmask_b32 v2, 0x7fc00000, v4
	ds_store_b32 v3, v2
.LBB222_22:
	s_or_b32 exec_lo, exec_lo, s5
	v_mov_b32_e32 v2, 0
	s_wait_dscnt 0x0
	s_barrier_signal -1
	s_barrier_wait -1
	ds_load_b32 v2, v2
	s_wait_dscnt 0x0
	v_cmp_nlt_f32_e32 vcc_lo, s10, v2
	s_cbranch_vccnz .LBB222_27
; %bb.23:
	s_and_saveexec_b32 s3, s2
	s_cbranch_execz .LBB222_26
; %bb.24:
	v_cvt_f64_f32_e32 v[2:3], v2
	v_cvt_f64_f32_e32 v[4:5], s10
	s_and_b32 s2, 0xffff, s4
	s_lshl_b64 s[0:1], s[6:7], 2
	s_mov_b32 s4, 0
	s_add_nc_u64 s[0:1], s[16:17], s[0:1]
	s_delay_alu instid0(VALU_DEP_2) | instskip(NEXT) | instid1(VALU_DEP_1)
	v_add_f64_e32 v[2:3], 0x3e7ad7f29abcaf48, v[2:3]
	v_div_scale_f64 v[6:7], null, v[2:3], v[2:3], v[4:5]
	s_delay_alu instid0(VALU_DEP_1) | instskip(SKIP_1) | instid1(TRANS32_DEP_1)
	v_rcp_f64_e32 v[8:9], v[6:7]
	v_nop
	v_fma_f64 v[10:11], -v[6:7], v[8:9], 1.0
	s_delay_alu instid0(VALU_DEP_1) | instskip(NEXT) | instid1(VALU_DEP_1)
	v_fmac_f64_e32 v[8:9], v[8:9], v[10:11]
	v_fma_f64 v[10:11], -v[6:7], v[8:9], 1.0
	s_delay_alu instid0(VALU_DEP_1) | instskip(SKIP_1) | instid1(VALU_DEP_1)
	v_fmac_f64_e32 v[8:9], v[8:9], v[10:11]
	v_div_scale_f64 v[10:11], vcc_lo, v[4:5], v[2:3], v[4:5]
	v_mul_f64_e32 v[12:13], v[10:11], v[8:9]
	s_delay_alu instid0(VALU_DEP_1) | instskip(NEXT) | instid1(VALU_DEP_1)
	v_fma_f64 v[6:7], -v[6:7], v[12:13], v[10:11]
	v_div_fmas_f64 v[6:7], v[6:7], v[8:9], v[12:13]
	s_delay_alu instid0(VALU_DEP_1) | instskip(NEXT) | instid1(VALU_DEP_1)
	v_div_fixup_f64 v[2:3], v[6:7], v[2:3], v[4:5]
	v_cvt_f32_f64_e32 v4, v[2:3]
	v_add_nc_u32_e32 v2, s2, v0
.LBB222_25:                             ; =>This Inner Loop Header: Depth=1
	v_mul_u64_e32 v[0:1], s[14:15], v[0:1]
	s_delay_alu instid0(VALU_DEP_2) | instskip(NEXT) | instid1(VALU_DEP_1)
	v_ashrrev_i32_e32 v3, 31, v2
	v_cmp_le_i64_e32 vcc_lo, s[8:9], v[2:3]
	s_or_b32 s4, vcc_lo, s4
	s_delay_alu instid0(VALU_DEP_3)
	v_lshl_add_u64 v[6:7], v[0:1], 2, s[0:1]
	v_mov_b64_e32 v[0:1], v[2:3]
	v_add_nc_u32_e32 v2, s2, v2
	global_load_b32 v5, v[6:7], off
	s_wait_loadcnt 0x0
	v_mul_f32_e32 v3, v5, v4
	global_store_b32 v[6:7], v3, off
	s_wait_xcnt 0x0
	s_and_not1_b32 exec_lo, exec_lo, s4
	s_cbranch_execnz .LBB222_25
.LBB222_26:
	s_or_b32 exec_lo, exec_lo, s3
.LBB222_27:
	s_delay_alu instid0(SALU_CYCLE_1)
	s_and_b32 vcc_lo, exec_lo, s18
	s_cbranch_vccnz .LBB222_30
.LBB222_28:
	s_endpgm
.LBB222_29:
	s_cbranch_execz .LBB222_28
.LBB222_30:
	s_trap 2
	; divergent unreachable
	s_endpgm
	.section	.rodata,"a",@progbits
	.p2align	6, 0x0
	.amdhsa_kernel _ZN2at6native12_GLOBAL__N_113renorm_kernelIffKiEEvPT_PT1_T0_S8_llllPKl
		.amdhsa_group_segment_fixed_size 0
		.amdhsa_private_segment_fixed_size 0
		.amdhsa_kernarg_size 320
		.amdhsa_user_sgpr_count 2
		.amdhsa_user_sgpr_dispatch_ptr 0
		.amdhsa_user_sgpr_queue_ptr 0
		.amdhsa_user_sgpr_kernarg_segment_ptr 1
		.amdhsa_user_sgpr_dispatch_id 0
		.amdhsa_user_sgpr_kernarg_preload_length 0
		.amdhsa_user_sgpr_kernarg_preload_offset 0
		.amdhsa_user_sgpr_private_segment_size 0
		.amdhsa_wavefront_size32 1
		.amdhsa_uses_dynamic_stack 0
		.amdhsa_enable_private_segment 0
		.amdhsa_system_sgpr_workgroup_id_x 1
		.amdhsa_system_sgpr_workgroup_id_y 0
		.amdhsa_system_sgpr_workgroup_id_z 0
		.amdhsa_system_sgpr_workgroup_info 0
		.amdhsa_system_vgpr_workitem_id 0
		.amdhsa_next_free_vgpr 24
		.amdhsa_next_free_sgpr 27
		.amdhsa_named_barrier_count 0
		.amdhsa_reserve_vcc 1
		.amdhsa_float_round_mode_32 0
		.amdhsa_float_round_mode_16_64 0
		.amdhsa_float_denorm_mode_32 3
		.amdhsa_float_denorm_mode_16_64 3
		.amdhsa_fp16_overflow 0
		.amdhsa_memory_ordered 1
		.amdhsa_forward_progress 1
		.amdhsa_inst_pref_size 31
		.amdhsa_round_robin_scheduling 0
		.amdhsa_exception_fp_ieee_invalid_op 0
		.amdhsa_exception_fp_denorm_src 0
		.amdhsa_exception_fp_ieee_div_zero 0
		.amdhsa_exception_fp_ieee_overflow 0
		.amdhsa_exception_fp_ieee_underflow 0
		.amdhsa_exception_fp_ieee_inexact 0
		.amdhsa_exception_int_div_zero 0
	.end_amdhsa_kernel
	.section	.text._ZN2at6native12_GLOBAL__N_113renorm_kernelIffKiEEvPT_PT1_T0_S8_llllPKl,"axG",@progbits,_ZN2at6native12_GLOBAL__N_113renorm_kernelIffKiEEvPT_PT1_T0_S8_llllPKl,comdat
.Lfunc_end222:
	.size	_ZN2at6native12_GLOBAL__N_113renorm_kernelIffKiEEvPT_PT1_T0_S8_llllPKl, .Lfunc_end222-_ZN2at6native12_GLOBAL__N_113renorm_kernelIffKiEEvPT_PT1_T0_S8_llllPKl
                                        ; -- End function
	.set _ZN2at6native12_GLOBAL__N_113renorm_kernelIffKiEEvPT_PT1_T0_S8_llllPKl.num_vgpr, 24
	.set _ZN2at6native12_GLOBAL__N_113renorm_kernelIffKiEEvPT_PT1_T0_S8_llllPKl.num_agpr, 0
	.set _ZN2at6native12_GLOBAL__N_113renorm_kernelIffKiEEvPT_PT1_T0_S8_llllPKl.numbered_sgpr, 27
	.set _ZN2at6native12_GLOBAL__N_113renorm_kernelIffKiEEvPT_PT1_T0_S8_llllPKl.num_named_barrier, 0
	.set _ZN2at6native12_GLOBAL__N_113renorm_kernelIffKiEEvPT_PT1_T0_S8_llllPKl.private_seg_size, 0
	.set _ZN2at6native12_GLOBAL__N_113renorm_kernelIffKiEEvPT_PT1_T0_S8_llllPKl.uses_vcc, 1
	.set _ZN2at6native12_GLOBAL__N_113renorm_kernelIffKiEEvPT_PT1_T0_S8_llllPKl.uses_flat_scratch, 0
	.set _ZN2at6native12_GLOBAL__N_113renorm_kernelIffKiEEvPT_PT1_T0_S8_llllPKl.has_dyn_sized_stack, 0
	.set _ZN2at6native12_GLOBAL__N_113renorm_kernelIffKiEEvPT_PT1_T0_S8_llllPKl.has_recursion, 0
	.set _ZN2at6native12_GLOBAL__N_113renorm_kernelIffKiEEvPT_PT1_T0_S8_llllPKl.has_indirect_call, 0
	.section	.AMDGPU.csdata,"",@progbits
; Kernel info:
; codeLenInByte = 3924
; TotalNumSgprs: 29
; NumVgprs: 24
; ScratchSize: 0
; MemoryBound: 0
; FloatMode: 240
; IeeeMode: 1
; LDSByteSize: 0 bytes/workgroup (compile time only)
; SGPRBlocks: 0
; VGPRBlocks: 1
; NumSGPRsForWavesPerEU: 29
; NumVGPRsForWavesPerEU: 24
; NamedBarCnt: 0
; Occupancy: 16
; WaveLimiterHint : 1
; COMPUTE_PGM_RSRC2:SCRATCH_EN: 0
; COMPUTE_PGM_RSRC2:USER_SGPR: 2
; COMPUTE_PGM_RSRC2:TRAP_HANDLER: 0
; COMPUTE_PGM_RSRC2:TGID_X_EN: 1
; COMPUTE_PGM_RSRC2:TGID_Y_EN: 0
; COMPUTE_PGM_RSRC2:TGID_Z_EN: 0
; COMPUTE_PGM_RSRC2:TIDIG_COMP_CNT: 0
	.section	.text._ZN2at6native12_GLOBAL__N_113renorm_kernelIN3c104HalfEfKiEEvPT_PT1_T0_SA_llllPKl,"axG",@progbits,_ZN2at6native12_GLOBAL__N_113renorm_kernelIN3c104HalfEfKiEEvPT_PT1_T0_SA_llllPKl,comdat
	.globl	_ZN2at6native12_GLOBAL__N_113renorm_kernelIN3c104HalfEfKiEEvPT_PT1_T0_SA_llllPKl ; -- Begin function _ZN2at6native12_GLOBAL__N_113renorm_kernelIN3c104HalfEfKiEEvPT_PT1_T0_SA_llllPKl
	.p2align	8
	.type	_ZN2at6native12_GLOBAL__N_113renorm_kernelIN3c104HalfEfKiEEvPT_PT1_T0_SA_llllPKl,@function
_ZN2at6native12_GLOBAL__N_113renorm_kernelIN3c104HalfEfKiEEvPT_PT1_T0_SA_llllPKl: ; @_ZN2at6native12_GLOBAL__N_113renorm_kernelIN3c104HalfEfKiEEvPT_PT1_T0_SA_llllPKl
; %bb.0:
	s_load_b64 s[2:3], s[0:1], 0x38
	s_getreg_b32 s6, hwreg(HW_REG_IB_STS2, 6, 4)
	s_wait_kmcnt 0x0
	s_load_b64 s[4:5], s[2:3], 0x0
	s_wait_xcnt 0x0
	s_bfe_u32 s2, ttmp6, 0x4000c
	s_and_b32 s3, ttmp6, 15
	s_add_co_i32 s2, s2, 1
	s_delay_alu instid0(SALU_CYCLE_1) | instskip(NEXT) | instid1(SALU_CYCLE_1)
	s_mul_i32 s2, ttmp9, s2
	s_add_co_i32 s2, s3, s2
	s_cmp_eq_u32 s6, 0
	s_mov_b32 s3, 0
	s_cselect_b32 s2, ttmp9, s2
	s_wait_kmcnt 0x0
	v_cmp_le_i64_e64 s4, s[4:5], s[2:3]
	s_and_b32 vcc_lo, exec_lo, s4
	s_cbranch_vccnz .LBB223_28
; %bb.1:
	s_load_b128 s[16:19], s[0:1], 0x0
	s_lshl_b64 s[2:3], s[2:3], 2
	s_wait_kmcnt 0x0
	s_add_nc_u64 s[2:3], s[18:19], s[2:3]
	s_load_b32 s4, s[2:3], 0x0
	s_wait_kmcnt 0x0
	s_cmp_lt_i32 s4, 0
	s_cbranch_scc1 .LBB223_29
; %bb.2:
	s_load_b256 s[8:15], s[0:1], 0x18
	s_ashr_i32 s5, s4, 31
	s_get_pc_i64 s[2:3]
	s_add_nc_u64 s[2:3], s[2:3], .str.5@rel64+4
	s_delay_alu instid0(SALU_CYCLE_1) | instskip(SKIP_4) | instid1(SALU_CYCLE_1)
	s_cmp_eq_u64 s[2:3], 0
	s_cselect_b32 s2, -1, 0
	s_wait_kmcnt 0x0
	v_cmp_le_i64_e64 s6, s[10:11], s[4:5]
	s_or_b32 s18, s6, s2
	s_and_not1_b32 vcc_lo, exec_lo, s18
	s_cbranch_vccz .LBB223_27
; %bb.3:
	s_load_b64 s[10:11], s[0:1], 0x10
	v_mov_b32_e32 v1, 0
	s_mul_u64 s[6:7], s[12:13], s[4:5]
	s_delay_alu instid0(VALU_DEP_1)
	v_cmp_gt_i64_e64 s2, s[8:9], v[0:1]
	v_mov_b32_e32 v6, v1
	s_and_saveexec_b32 s19, s2
	s_cbranch_execz .LBB223_13
; %bb.4:
	s_load_b32 s3, s[0:1], 0x4c
	s_lshl_b64 s[4:5], s[6:7], 1
	s_wait_kmcnt 0x0
	s_cmp_neq_f32 s11, 1.0
	v_mov_b64_e32 v[4:5], v[0:1]
	s_add_nc_u64 s[12:13], s[16:17], s[4:5]
	s_mov_b32 s23, 0
	s_cselect_b32 s20, -1, 0
	s_cmp_neq_f32 s11, 2.0
	s_mov_b32 s24, 0x3e76c4e1
	s_cselect_b32 s21, -1, 0
	s_and_b32 s22, s3, 0xffff
	s_delay_alu instid0(SALU_CYCLE_1)
	v_dual_mov_b32 v6, 0 :: v_dual_add_nc_u32 v2, s22, v0
	s_branch .LBB223_7
.LBB223_5:                              ;   in Loop: Header=BB223_7 Depth=1
	s_delay_alu instid0(VALU_DEP_1)
	v_and_b32_e32 v4, 0x7fffffff, v3
.LBB223_6:                              ;   in Loop: Header=BB223_7 Depth=1
	s_delay_alu instid0(VALU_DEP_1) | instskip(NEXT) | instid1(VALU_DEP_1)
	v_dual_add_f32 v6, v6, v4 :: v_dual_ashrrev_i32 v3, 31, v2
	v_cmp_le_i64_e32 vcc_lo, s[8:9], v[2:3]
	v_mov_b64_e32 v[4:5], v[2:3]
	v_add_nc_u32_e32 v2, s22, v2
	s_or_b32 s23, vcc_lo, s23
	s_delay_alu instid0(SALU_CYCLE_1)
	s_and_not1_b32 exec_lo, exec_lo, s23
	s_cbranch_execz .LBB223_12
.LBB223_7:                              ; =>This Inner Loop Header: Depth=1
	s_delay_alu instid0(VALU_DEP_2) | instskip(SKIP_1) | instid1(VALU_DEP_1)
	v_mul_u64_e32 v[4:5], s[14:15], v[4:5]
	s_and_b32 vcc_lo, exec_lo, s20
	v_lshl_add_u64 v[4:5], v[4:5], 1, s[12:13]
	global_load_u16 v4, v[4:5], off
	s_wait_loadcnt 0x0
	v_cvt_f32_f16_e32 v3, v4
	s_cbranch_vccz .LBB223_5
; %bb.8:                                ;   in Loop: Header=BB223_7 Depth=1
	s_and_b32 vcc_lo, exec_lo, s21
	s_cbranch_vccz .LBB223_10
; %bb.9:                                ;   in Loop: Header=BB223_7 Depth=1
	v_cmp_neq_f16_e32 vcc_lo, 1.0, v4
	v_cndmask_b32_e64 v4, 1.0, s11, vcc_lo
	s_delay_alu instid0(VALU_DEP_1) | instskip(SKIP_2) | instid1(VALU_DEP_1)
	v_cmp_neq_f32_e32 vcc_lo, 0, v4
	v_cmp_neq_f32_e64 s25, v4, |v4|
	v_cndmask_b32_e32 v5, 1.0, v3, vcc_lo
	v_frexp_mant_f32_e64 v7, |v5|
	s_delay_alu instid0(VALU_DEP_1) | instskip(SKIP_1) | instid1(VALU_DEP_1)
	v_cmp_gt_f32_e32 vcc_lo, 0x3f2aaaab, v7
	v_cndmask_b32_e64 v8, 1.0, 2.0, vcc_lo
	v_mul_f32_e32 v7, v7, v8
	v_cmp_lt_f32_e64 s26, |v5|, 1.0
	v_cmp_eq_f32_e64 s5, 0, v5
	s_delay_alu instid0(VALU_DEP_3) | instskip(SKIP_1) | instid1(VALU_DEP_1)
	v_dual_add_f32 v8, 1.0, v7 :: v_dual_add_f32 v9, -1.0, v7
	s_xor_b32 s25, s25, s26
	v_rcp_f32_e32 v14, v8
	v_nop
	s_delay_alu instid0(TRANS32_DEP_1) | instskip(NEXT) | instid1(VALU_DEP_1)
	v_dual_add_f32 v11, -1.0, v8 :: v_dual_mul_f32 v15, v9, v14
	v_mul_f32_e32 v10, v8, v15
	s_delay_alu instid0(VALU_DEP_2) | instskip(NEXT) | instid1(VALU_DEP_2)
	v_sub_f32_e32 v7, v7, v11
	v_fma_f32 v12, v15, v8, -v10
	s_delay_alu instid0(VALU_DEP_1) | instskip(NEXT) | instid1(VALU_DEP_1)
	v_fmac_f32_e32 v12, v15, v7
	v_add_f32_e32 v8, v10, v12
	s_delay_alu instid0(VALU_DEP_1) | instskip(NEXT) | instid1(VALU_DEP_1)
	v_dual_sub_f32 v11, v9, v8 :: v_dual_mov_b32 v13, v8
	v_pk_add_f32 v[8:9], v[8:9], v[10:11] neg_lo:[0,1] neg_hi:[0,1]
	s_delay_alu instid0(VALU_DEP_1) | instskip(NEXT) | instid1(VALU_DEP_1)
	v_pk_add_f32 v[8:9], v[8:9], v[12:13] neg_lo:[0,1] neg_hi:[0,1]
	v_add_f32_e32 v7, v8, v9
	s_delay_alu instid0(VALU_DEP_1) | instskip(NEXT) | instid1(VALU_DEP_1)
	v_add_f32_e32 v7, v11, v7
	v_mul_f32_e32 v7, v14, v7
	s_delay_alu instid0(VALU_DEP_1) | instskip(NEXT) | instid1(VALU_DEP_1)
	v_add_f32_e32 v8, v15, v7
	v_dual_sub_f32 v9, v8, v15 :: v_dual_mul_f32 v11, v8, v8
	s_delay_alu instid0(VALU_DEP_1) | instskip(NEXT) | instid1(VALU_DEP_1)
	v_dual_sub_f32 v7, v7, v9 :: v_dual_fma_f32 v9, v8, v8, -v11
	v_add_f32_e32 v10, v7, v7
	s_delay_alu instid0(VALU_DEP_1) | instskip(NEXT) | instid1(VALU_DEP_1)
	v_fmac_f32_e32 v9, v8, v10
	v_add_f32_e32 v10, v11, v9
	s_delay_alu instid0(VALU_DEP_1) | instskip(NEXT) | instid1(VALU_DEP_1)
	v_sub_f32_e32 v11, v10, v11
	v_sub_f32_e32 v18, v9, v11
	v_fmaak_f32 v12, s24, v10, 0x3e91f4c4
	s_delay_alu instid0(VALU_DEP_1) | instskip(SKIP_1) | instid1(VALU_DEP_2)
	v_fmaak_f32 v14, v10, v12, 0x3ecccdef
	v_cvt_f64_f32_e64 v[12:13], |v5|
	v_mul_f32_e32 v15, v10, v14
	s_delay_alu instid0(VALU_DEP_1) | instskip(NEXT) | instid1(VALU_DEP_1)
	v_fma_f32 v9, v10, v14, -v15
	v_fmac_f32_e32 v9, v18, v14
	s_delay_alu instid0(VALU_DEP_1) | instskip(NEXT) | instid1(VALU_DEP_1)
	v_add_f32_e32 v11, v15, v9
	v_sub_f32_e32 v14, v11, v15
	v_add_f32_e32 v15, 0x3f2aaaaa, v11
	s_delay_alu instid0(VALU_DEP_1) | instskip(SKIP_1) | instid1(VALU_DEP_2)
	v_dual_sub_f32 v9, v9, v14 :: v_dual_add_f32 v14, 0xbf2aaaaa, v15
	v_frexp_exp_i32_f64_e32 v19, v[12:13]
	v_add_f32_e32 v9, 0x31739010, v9
	s_delay_alu instid0(VALU_DEP_3) | instskip(NEXT) | instid1(VALU_DEP_1)
	v_sub_f32_e32 v11, v11, v14
	v_pk_mul_f32 v[12:13], v[8:9], v[10:11]
	s_delay_alu instid0(VALU_DEP_1) | instskip(SKIP_1) | instid1(VALU_DEP_1)
	v_fma_f32 v14, v10, v8, -v12
	v_pk_add_f32 v[16:17], v[8:9], v[10:11]
	v_dual_fmac_f32 v14, v10, v7 :: v_dual_mov_b32 v13, v17
	v_ldexp_f32 v7, v7, 1
	s_delay_alu instid0(VALU_DEP_2) | instskip(NEXT) | instid1(VALU_DEP_1)
	v_fmac_f32_e32 v14, v18, v8
	v_pk_add_f32 v[10:11], v[12:13], v[14:15]
	v_subrev_co_ci_u32_e64 v9, null, 0, v19, vcc_lo
	s_delay_alu instid0(VALU_DEP_2) | instskip(NEXT) | instid1(VALU_DEP_3)
	v_mov_b32_e32 v16, v11
	v_dual_sub_f32 v13, v15, v11 :: v_dual_sub_f32 v15, v10, v12
	s_delay_alu instid0(VALU_DEP_3) | instskip(NEXT) | instid1(VALU_DEP_3)
	v_cvt_f32_i32_e32 v9, v9
	v_pk_mul_f32 v[18:19], v[10:11], v[16:17]
	s_delay_alu instid0(VALU_DEP_3) | instskip(NEXT) | instid1(VALU_DEP_2)
	v_sub_f32_e32 v14, v14, v15
	v_dual_fma_f32 v12, v10, v11, -v18 :: v_dual_add_f32 v13, v17, v13
	s_delay_alu instid0(VALU_DEP_1) | instskip(NEXT) | instid1(VALU_DEP_1)
	v_fmac_f32_e32 v12, v10, v13
	v_fmac_f32_e32 v12, v14, v11
	v_mul_f32_e32 v16, 0x3f317218, v9
	v_ldexp_f32 v11, v8, 1
	s_delay_alu instid0(VALU_DEP_3) | instskip(NEXT) | instid1(VALU_DEP_3)
	v_add_f32_e32 v17, v18, v12
	v_fma_f32 v10, 0x3f317218, v9, -v16
	s_delay_alu instid0(VALU_DEP_2) | instskip(NEXT) | instid1(VALU_DEP_2)
	v_dual_mov_b32 v19, v11 :: v_dual_mov_b32 v14, v17
	v_dual_fmac_f32 v10, 0xb102e308, v9 :: v_dual_mov_b32 v13, v17
	s_delay_alu instid0(VALU_DEP_1) | instskip(NEXT) | instid1(VALU_DEP_1)
	v_pk_add_f32 v[8:9], v[16:17], v[10:11]
	v_dual_mov_b32 v15, v9 :: v_dual_mov_b32 v11, v8
	s_delay_alu instid0(VALU_DEP_1) | instskip(NEXT) | instid1(VALU_DEP_1)
	v_pk_add_f32 v[14:15], v[14:15], v[18:19] neg_lo:[0,1] neg_hi:[0,1]
	v_pk_add_f32 v[12:13], v[12:13], v[14:15] neg_lo:[0,1] neg_hi:[0,1]
	s_delay_alu instid0(VALU_DEP_1) | instskip(NEXT) | instid1(VALU_DEP_1)
	v_add_f32_e32 v7, v7, v12
	v_add_f32_e32 v17, v7, v13
	s_delay_alu instid0(VALU_DEP_1) | instskip(SKIP_1) | instid1(VALU_DEP_2)
	v_pk_add_f32 v[12:13], v[8:9], v[16:17]
	v_pk_add_f32 v[14:15], v[8:9], v[16:17] neg_lo:[0,1] neg_hi:[0,1]
	v_dual_mov_b32 v22, v9 :: v_dual_mov_b32 v15, v13
	s_delay_alu instid0(VALU_DEP_1) | instskip(NEXT) | instid1(VALU_DEP_1)
	v_pk_add_f32 v[18:19], v[10:11], v[14:15]
	v_dual_mov_b32 v18, v13 :: v_dual_mov_b32 v16, v19
	v_pk_add_f32 v[10:11], v[10:11], v[14:15] neg_lo:[0,1] neg_hi:[0,1]
	s_delay_alu instid0(VALU_DEP_2) | instskip(SKIP_1) | instid1(VALU_DEP_2)
	v_pk_add_f32 v[20:21], v[16:17], v[8:9] neg_lo:[0,1] neg_hi:[0,1]
	v_dual_mov_b32 v9, v8 :: v_dual_mov_b32 v8, v17
	v_dual_mov_b32 v7, v20 :: v_dual_mov_b32 v23, v20
	s_delay_alu instid0(VALU_DEP_1) | instskip(NEXT) | instid1(VALU_DEP_2)
	v_pk_add_f32 v[12:13], v[12:13], v[6:7] neg_lo:[0,1] neg_hi:[0,1]
	v_pk_add_f32 v[14:15], v[18:19], v[22:23] neg_lo:[0,1] neg_hi:[0,1]
	v_mov_b32_e32 v12, v10
	s_delay_alu instid0(VALU_DEP_2) | instskip(NEXT) | instid1(VALU_DEP_1)
	v_pk_add_f32 v[8:9], v[8:9], v[14:15] neg_lo:[0,1] neg_hi:[0,1]
	v_pk_add_f32 v[12:13], v[12:13], v[8:9]
	s_delay_alu instid0(VALU_DEP_1) | instskip(NEXT) | instid1(VALU_DEP_1)
	v_mov_b32_e32 v14, v13
	v_pk_add_f32 v[14:15], v[12:13], v[14:15]
	s_delay_alu instid0(VALU_DEP_1) | instskip(NEXT) | instid1(VALU_DEP_1)
	v_pk_add_f32 v[16:17], v[16:17], v[14:15]
	v_dual_mov_b32 v11, v19 :: v_dual_mov_b32 v13, v16
	s_delay_alu instid0(VALU_DEP_1) | instskip(NEXT) | instid1(VALU_DEP_1)
	v_pk_add_f32 v[18:19], v[12:13], v[10:11] neg_lo:[0,1] neg_hi:[0,1]
	v_dual_mov_b32 v9, v14 :: v_dual_sub_f32 v7, v12, v18
	s_delay_alu instid0(VALU_DEP_1) | instskip(NEXT) | instid1(VALU_DEP_2)
	v_pk_add_f32 v[8:9], v[8:9], v[18:19] neg_lo:[0,1] neg_hi:[0,1]
	v_sub_f32_e32 v7, v10, v7
	s_delay_alu instid0(VALU_DEP_1) | instskip(NEXT) | instid1(VALU_DEP_1)
	v_add_f32_e32 v7, v8, v7
	v_add_f32_e32 v7, v7, v9
	s_delay_alu instid0(VALU_DEP_1) | instskip(NEXT) | instid1(VALU_DEP_1)
	v_add_f32_e32 v8, v16, v7
	v_sub_f32_e32 v9, v8, v16
	s_delay_alu instid0(VALU_DEP_1) | instskip(NEXT) | instid1(VALU_DEP_1)
	v_dual_mul_f32 v10, v4, v8 :: v_dual_sub_f32 v7, v7, v9
	v_cmp_class_f32_e64 vcc_lo, v10, 0x204
	v_fma_f32 v8, v4, v8, -v10
	s_delay_alu instid0(VALU_DEP_1) | instskip(NEXT) | instid1(VALU_DEP_1)
	v_fmac_f32_e32 v8, v4, v7
	v_add_f32_e32 v7, v10, v8
	s_delay_alu instid0(VALU_DEP_1) | instskip(NEXT) | instid1(VALU_DEP_1)
	v_cndmask_b32_e32 v9, v7, v10, vcc_lo
	v_cmp_eq_f32_e32 vcc_lo, 0x42b17218, v9
	v_cndmask_b32_e64 v11, 0, 0x37000000, vcc_lo
	v_cmp_neq_f32_e64 vcc_lo, 0x7f800000, |v9|
	s_delay_alu instid0(VALU_DEP_2) | instskip(SKIP_2) | instid1(VALU_DEP_3)
	v_sub_f32_e32 v12, v9, v11
	v_trunc_f32_e32 v9, v4
	v_sub_f32_e32 v7, v7, v10
	v_mul_f32_e32 v13, 0x3fb8aa3b, v12
	s_delay_alu instid0(VALU_DEP_2) | instskip(NEXT) | instid1(VALU_DEP_2)
	v_sub_f32_e32 v7, v8, v7
	v_fma_f32 v14, 0x3fb8aa3b, v12, -v13
	v_rndne_f32_e32 v15, v13
	s_delay_alu instid0(VALU_DEP_3) | instskip(SKIP_1) | instid1(VALU_DEP_3)
	v_cndmask_b32_e32 v7, 0, v7, vcc_lo
	v_cmp_ngt_f32_e32 vcc_lo, 0xc2ce8ed0, v12
	v_dual_fmac_f32 v14, 0x32a5705f, v12 :: v_dual_sub_f32 v13, v13, v15
	s_delay_alu instid0(VALU_DEP_1) | instskip(NEXT) | instid1(VALU_DEP_1)
	v_dual_add_f32 v7, v11, v7 :: v_dual_add_f32 v13, v13, v14
	v_exp_f32_e32 v10, v13
	v_nop
	v_cvt_i32_f32_e32 v13, v15
	s_delay_alu instid0(TRANS32_DEP_1) | instid1(VALU_DEP_1)
	v_ldexp_f32 v8, v10, v13
	v_mul_f32_e32 v10, 0.5, v4
	s_delay_alu instid0(VALU_DEP_2) | instskip(NEXT) | instid1(VALU_DEP_2)
	v_cndmask_b32_e32 v8, 0, v8, vcc_lo
	v_trunc_f32_e32 v13, v10
	v_cmp_nlt_f32_e32 vcc_lo, 0x42b17218, v12
	s_delay_alu instid0(VALU_DEP_2) | instskip(NEXT) | instid1(VALU_DEP_4)
	v_cmp_neq_f32_e64 s3, v13, v10
	v_cndmask_b32_e32 v8, 0x7f800000, v8, vcc_lo
	v_cmp_eq_f32_e32 vcc_lo, v9, v4
	s_delay_alu instid0(VALU_DEP_2) | instskip(SKIP_1) | instid1(SALU_CYCLE_1)
	v_cmp_class_f32_e64 s4, v8, 0x204
	s_and_b32 s3, vcc_lo, s3
	v_dual_fma_f32 v7, v8, v7, v8 :: v_dual_cndmask_b32 v9, 1.0, v5, s3
	s_delay_alu instid0(VALU_DEP_1) | instskip(SKIP_2) | instid1(VALU_DEP_3)
	v_cndmask_b32_e64 v7, v7, v8, s4
	v_cndmask_b32_e64 v8, 0x7f800000, 0, s25
	v_cmp_gt_f32_e64 s4, 0, v4
	v_bfi_b32 v7, 0x7fffffff, v7, v9
	s_xor_b32 s4, s4, s5
	s_delay_alu instid0(SALU_CYCLE_1) | instskip(NEXT) | instid1(VALU_DEP_2)
	v_cndmask_b32_e64 v10, 0x7f800000, 0, s4
	v_cndmask_b32_e32 v9, 0x7fc00000, v7, vcc_lo
	v_cmp_neq_f32_e64 vcc_lo, |v5|, 1.0
	v_cndmask_b32_e32 v8, 1.0, v8, vcc_lo
	v_cmp_gt_f32_e32 vcc_lo, 0, v5
	s_delay_alu instid0(VALU_DEP_4) | instskip(SKIP_3) | instid1(VALU_DEP_4)
	v_cndmask_b32_e32 v7, v7, v9, vcc_lo
	v_cmp_class_f32_e64 vcc_lo, v4, 0x204
	v_cndmask_b32_e64 v9, 0, v5, s3
	v_cmp_class_f32_e64 s3, v5, 0x204
	v_cndmask_b32_e32 v7, v7, v8, vcc_lo
	s_delay_alu instid0(VALU_DEP_3) | instskip(SKIP_1) | instid1(VALU_DEP_1)
	v_bfi_b32 v8, 0x7fffffff, v10, v9
	s_or_b32 vcc_lo, s5, s3
	v_cndmask_b32_e32 v7, v7, v8, vcc_lo
	v_cmp_o_f32_e32 vcc_lo, v5, v4
	s_delay_alu instid0(VALU_DEP_2)
	v_cndmask_b32_e32 v4, 0x7fc00000, v7, vcc_lo
	s_cbranch_execnz .LBB223_6
	s_branch .LBB223_11
.LBB223_10:                             ;   in Loop: Header=BB223_7 Depth=1
                                        ; implicit-def: $vgpr4
.LBB223_11:                             ;   in Loop: Header=BB223_7 Depth=1
	s_delay_alu instid0(VALU_DEP_1)
	v_mul_f32_e32 v4, v3, v3
	s_branch .LBB223_6
.LBB223_12:
	s_or_b32 exec_lo, exec_lo, s23
.LBB223_13:
	s_delay_alu instid0(SALU_CYCLE_1)
	s_or_b32 exec_lo, exec_lo, s19
; %bb.14:
	v_mbcnt_lo_u32_b32 v7, -1, 0
	s_mov_b32 s3, exec_lo
	s_barrier_signal -1
	s_barrier_wait -1
	s_delay_alu instid0(VALU_DEP_1) | instskip(SKIP_4) | instid1(VALU_DEP_2)
	v_lshl_or_b32 v2, v7, 2, 64
	v_cmp_gt_u32_e32 vcc_lo, 24, v7
	ds_bpermute_b32 v4, v2, v6
	v_cndmask_b32_e64 v3, 0, 8, vcc_lo
	v_cmp_gt_u32_e32 vcc_lo, 28, v7
	v_add_lshl_u32 v3, v3, v7, 2
	s_wait_dscnt 0x0
	v_add_f32_e32 v5, v6, v4
	v_cndmask_b32_e64 v4, 0, 4, vcc_lo
	v_cmp_gt_u32_e32 vcc_lo, 30, v7
	ds_bpermute_b32 v6, v3, v5
	v_add_lshl_u32 v4, v4, v7, 2
	s_wait_dscnt 0x0
	v_add_f32_e32 v6, v5, v6
	v_cndmask_b32_e64 v5, 0, 2, vcc_lo
	v_cmp_ne_u32_e32 vcc_lo, 31, v7
	ds_bpermute_b32 v8, v4, v6
	v_add_lshl_u32 v5, v5, v7, 2
	v_add_co_ci_u32_e64 v9, null, 0, v7, vcc_lo
	s_wait_dscnt 0x0
	v_add_f32_e32 v6, v6, v8
	ds_bpermute_b32 v8, v5, v6
	s_wait_dscnt 0x0
	v_dual_add_f32 v7, v6, v8 :: v_dual_lshlrev_b32 v6, 2, v9
	v_and_b32_e32 v8, 31, v0
	ds_bpermute_b32 v9, v6, v7
	v_cmpx_eq_u32_e32 0, v8
	s_cbranch_execz .LBB223_16
; %bb.15:
	s_wait_dscnt 0x0
	v_dual_add_f32 v7, v7, v9 :: v_dual_lshrrev_b32 v10, 3, v0
	s_delay_alu instid0(VALU_DEP_1)
	v_add_nc_u32_e32 v9, 0, v10
	ds_store_b32 v9, v7
.LBB223_16:
	s_or_b32 exec_lo, exec_lo, s3
	s_wait_dscnt 0x0
	s_barrier_signal -1
	s_barrier_wait -1
	s_load_b32 s4, s[0:1], 0x4c
	v_mov_b32_e32 v7, 0
	s_wait_kmcnt 0x0
	s_bfe_u32 s0, s4, 0xb0005
	s_delay_alu instid0(SALU_CYCLE_1)
	v_cmp_gt_u32_e32 vcc_lo, s0, v0
	s_and_saveexec_b32 s0, vcc_lo
; %bb.17:
	v_lshl_add_u32 v7, v8, 2, 0
	ds_load_b32 v7, v7
; %bb.18:
	s_or_b32 exec_lo, exec_lo, s0
	s_delay_alu instid0(SALU_CYCLE_1)
	s_mov_b32 s0, exec_lo
	v_cmpx_gt_u32_e32 32, v0
	s_cbranch_execz .LBB223_20
; %bb.19:
	s_wait_dscnt 0x0
	ds_bpermute_b32 v2, v2, v7
	s_wait_dscnt 0x0
	v_add_f32_e32 v2, v7, v2
	ds_bpermute_b32 v3, v3, v2
	s_wait_dscnt 0x0
	v_add_f32_e32 v2, v2, v3
	;; [unrolled: 3-line block ×5, first 2 shown]
.LBB223_20:
	s_or_b32 exec_lo, exec_lo, s0
	s_delay_alu instid0(SALU_CYCLE_1)
	s_mov_b32 s5, exec_lo
	v_cmpx_eq_u32_e32 0, v0
	s_cbranch_execz .LBB223_22
; %bb.21:
	v_div_scale_f32 v2, null, s11, s11, 1.0
	v_div_scale_f32 v5, vcc_lo, 1.0, s11, 1.0
	s_mov_b32 s0, 0x3e76c4e1
	v_rcp_f32_e32 v3, v2
	v_nop
	v_xor_b32_e32 v2, 0x80000000, v2
	s_delay_alu instid0(TRANS32_DEP_1) | instid1(VALU_DEP_1)
	v_fma_f32 v4, v2, v3, 1.0
	s_delay_alu instid0(VALU_DEP_1) | instskip(NEXT) | instid1(VALU_DEP_1)
	v_fmac_f32_e32 v3, v4, v3
	v_mul_f32_e32 v4, v5, v3
	s_delay_alu instid0(VALU_DEP_1) | instskip(NEXT) | instid1(VALU_DEP_1)
	v_fma_f32 v6, v2, v4, v5
	v_fmac_f32_e32 v4, v6, v3
	s_delay_alu instid0(VALU_DEP_1) | instskip(NEXT) | instid1(VALU_DEP_1)
	v_fmac_f32_e32 v5, v2, v4
	v_div_fmas_f32 v2, v5, v3, v4
	s_wait_dscnt 0x0
	v_cmp_neq_f32_e32 vcc_lo, 1.0, v7
	s_delay_alu instid0(VALU_DEP_2) | instskip(NEXT) | instid1(VALU_DEP_1)
	v_div_fixup_f32 v2, v2, s11, 1.0
	v_cndmask_b32_e32 v2, 1.0, v2, vcc_lo
	s_delay_alu instid0(VALU_DEP_1) | instskip(SKIP_2) | instid1(VALU_DEP_1)
	v_cmp_neq_f32_e32 vcc_lo, 0, v2
	v_cmp_neq_f32_e64 s11, v2, |v2|
	v_cndmask_b32_e32 v3, 1.0, v7, vcc_lo
	v_frexp_mant_f32_e64 v4, |v3|
	v_cmp_lt_f32_e64 s12, |v3|, 1.0
	v_cmp_eq_f32_e64 s3, 0, v3
	s_delay_alu instid0(VALU_DEP_3) | instskip(SKIP_2) | instid1(VALU_DEP_1)
	v_cmp_gt_f32_e32 vcc_lo, 0x3f2aaaab, v4
	s_xor_b32 s11, s11, s12
	v_cndmask_b32_e64 v5, 1.0, 2.0, vcc_lo
	v_mul_f32_e32 v4, v4, v5
	s_delay_alu instid0(VALU_DEP_1) | instskip(NEXT) | instid1(VALU_DEP_1)
	v_add_f32_e32 v7, 1.0, v4
	v_dual_add_f32 v8, -1.0, v7 :: v_dual_add_f32 v5, -1.0, v4
	v_rcp_f32_e32 v10, v7
	v_nop
	s_delay_alu instid0(TRANS32_DEP_1) | instskip(NEXT) | instid1(VALU_DEP_1)
	v_dual_sub_f32 v4, v4, v8 :: v_dual_mul_f32 v11, v5, v10
	v_mul_f32_e32 v6, v7, v11
	s_delay_alu instid0(VALU_DEP_1) | instskip(NEXT) | instid1(VALU_DEP_1)
	v_fma_f32 v8, v11, v7, -v6
	v_fmac_f32_e32 v8, v11, v4
	s_delay_alu instid0(VALU_DEP_1) | instskip(NEXT) | instid1(VALU_DEP_1)
	v_add_f32_e32 v4, v6, v8
	v_dual_sub_f32 v7, v5, v4 :: v_dual_mov_b32 v9, v4
	s_delay_alu instid0(VALU_DEP_1) | instskip(NEXT) | instid1(VALU_DEP_1)
	v_pk_add_f32 v[4:5], v[4:5], v[6:7] neg_lo:[0,1] neg_hi:[0,1]
	v_pk_add_f32 v[4:5], v[4:5], v[8:9] neg_lo:[0,1] neg_hi:[0,1]
	s_delay_alu instid0(VALU_DEP_1) | instskip(NEXT) | instid1(VALU_DEP_1)
	v_add_f32_e32 v4, v4, v5
	v_add_f32_e32 v4, v7, v4
	s_delay_alu instid0(VALU_DEP_1) | instskip(NEXT) | instid1(VALU_DEP_1)
	v_mul_f32_e32 v5, v10, v4
	v_add_f32_e32 v4, v11, v5
	s_delay_alu instid0(VALU_DEP_1) | instskip(NEXT) | instid1(VALU_DEP_1)
	v_sub_f32_e32 v6, v4, v11
	v_sub_f32_e32 v16, v5, v6
	s_delay_alu instid0(VALU_DEP_1) | instskip(SKIP_1) | instid1(VALU_DEP_1)
	v_add_f32_e32 v6, v16, v16
	v_mul_f32_e32 v7, v4, v4
	v_fma_f32 v5, v4, v4, -v7
	s_delay_alu instid0(VALU_DEP_1) | instskip(NEXT) | instid1(VALU_DEP_1)
	v_fmac_f32_e32 v5, v4, v6
	v_add_f32_e32 v6, v7, v5
	s_delay_alu instid0(VALU_DEP_1) | instskip(NEXT) | instid1(VALU_DEP_1)
	v_dual_fmaak_f32 v8, s0, v6, 0x3e91f4c4 :: v_dual_sub_f32 v7, v6, v7
	v_fmaak_f32 v10, v6, v8, 0x3ecccdef
	v_cvt_f64_f32_e64 v[8:9], |v3|
	s_delay_alu instid0(VALU_DEP_2) | instskip(NEXT) | instid1(VALU_DEP_1)
	v_dual_mul_f32 v11, v6, v10 :: v_dual_sub_f32 v14, v5, v7
	v_fma_f32 v5, v6, v10, -v11
	s_delay_alu instid0(VALU_DEP_1) | instskip(NEXT) | instid1(VALU_DEP_1)
	v_fmac_f32_e32 v5, v14, v10
	v_add_f32_e32 v7, v11, v5
	s_delay_alu instid0(VALU_DEP_1) | instskip(SKIP_1) | instid1(VALU_DEP_1)
	v_sub_f32_e32 v10, v7, v11
	v_add_f32_e32 v11, 0x3f2aaaaa, v7
	v_dual_sub_f32 v5, v5, v10 :: v_dual_add_f32 v10, 0xbf2aaaaa, v11
	v_frexp_exp_i32_f64_e32 v15, v[8:9]
	s_delay_alu instid0(VALU_DEP_2) | instskip(NEXT) | instid1(VALU_DEP_3)
	v_add_f32_e32 v5, 0x31739010, v5
	v_sub_f32_e32 v7, v7, v10
	s_delay_alu instid0(VALU_DEP_1) | instskip(NEXT) | instid1(VALU_DEP_1)
	v_pk_mul_f32 v[8:9], v[4:5], v[6:7]
	v_fma_f32 v10, v6, v4, -v8
	s_delay_alu instid0(VALU_DEP_1) | instskip(NEXT) | instid1(VALU_DEP_1)
	v_fmac_f32_e32 v10, v6, v16
	v_fmac_f32_e32 v10, v14, v4
	v_pk_add_f32 v[12:13], v[4:5], v[6:7]
	s_delay_alu instid0(VALU_DEP_1) | instskip(SKIP_1) | instid1(VALU_DEP_2)
	v_mov_b32_e32 v9, v13
	v_subrev_co_ci_u32_e64 v5, null, 0, v15, vcc_lo
	v_pk_add_f32 v[6:7], v[8:9], v[10:11]
	s_delay_alu instid0(VALU_DEP_2) | instskip(NEXT) | instid1(VALU_DEP_2)
	v_cvt_f32_i32_e32 v5, v5
	v_mov_b32_e32 v12, v7
	s_delay_alu instid0(VALU_DEP_3) | instskip(NEXT) | instid1(VALU_DEP_2)
	v_dual_sub_f32 v9, v11, v7 :: v_dual_sub_f32 v11, v6, v8
	v_pk_mul_f32 v[14:15], v[6:7], v[12:13]
	s_delay_alu instid0(VALU_DEP_2) | instskip(NEXT) | instid1(VALU_DEP_2)
	v_sub_f32_e32 v10, v10, v11
	v_dual_fma_f32 v8, v6, v7, -v14 :: v_dual_add_f32 v9, v13, v9
	s_delay_alu instid0(VALU_DEP_1) | instskip(NEXT) | instid1(VALU_DEP_1)
	v_fmac_f32_e32 v8, v6, v9
	v_fmac_f32_e32 v8, v10, v7
	v_mul_f32_e32 v12, 0x3f317218, v5
	v_ldexp_f32 v7, v4, 1
	s_delay_alu instid0(VALU_DEP_3) | instskip(NEXT) | instid1(VALU_DEP_3)
	v_add_f32_e32 v13, v14, v8
	v_fma_f32 v6, 0x3f317218, v5, -v12
	s_delay_alu instid0(VALU_DEP_2) | instskip(NEXT) | instid1(VALU_DEP_2)
	v_dual_mov_b32 v15, v7 :: v_dual_mov_b32 v10, v13
	v_fmamk_f32 v6, v5, 0xb102e308, v6
	s_delay_alu instid0(VALU_DEP_1) | instskip(SKIP_1) | instid1(VALU_DEP_2)
	v_pk_add_f32 v[4:5], v[12:13], v[6:7]
	v_ldexp_f32 v7, v16, 1
	v_dual_mov_b32 v9, v13 :: v_dual_mov_b32 v11, v5
	s_delay_alu instid0(VALU_DEP_1) | instskip(NEXT) | instid1(VALU_DEP_1)
	v_pk_add_f32 v[10:11], v[10:11], v[14:15] neg_lo:[0,1] neg_hi:[0,1]
	v_pk_add_f32 v[8:9], v[8:9], v[10:11] neg_lo:[0,1] neg_hi:[0,1]
	s_delay_alu instid0(VALU_DEP_1) | instskip(NEXT) | instid1(VALU_DEP_1)
	v_add_f32_e32 v7, v7, v8
	v_dual_add_f32 v13, v7, v9 :: v_dual_mov_b32 v7, v4
	s_delay_alu instid0(VALU_DEP_1) | instskip(SKIP_1) | instid1(VALU_DEP_2)
	v_pk_add_f32 v[8:9], v[4:5], v[12:13]
	v_pk_add_f32 v[10:11], v[4:5], v[12:13] neg_lo:[0,1] neg_hi:[0,1]
	v_dual_mov_b32 v18, v5 :: v_dual_mov_b32 v11, v9
	s_delay_alu instid0(VALU_DEP_1) | instskip(NEXT) | instid1(VALU_DEP_1)
	v_pk_add_f32 v[14:15], v[6:7], v[10:11]
	v_dual_mov_b32 v14, v9 :: v_dual_mov_b32 v12, v15
	v_pk_add_f32 v[6:7], v[6:7], v[10:11] neg_lo:[0,1] neg_hi:[0,1]
	s_delay_alu instid0(VALU_DEP_2) | instskip(SKIP_1) | instid1(VALU_DEP_2)
	v_pk_add_f32 v[16:17], v[12:13], v[4:5] neg_lo:[0,1] neg_hi:[0,1]
	v_dual_mov_b32 v5, v4 :: v_dual_mov_b32 v4, v13
	v_dual_mov_b32 v13, v16 :: v_dual_mov_b32 v19, v16
	s_delay_alu instid0(VALU_DEP_1) | instskip(NEXT) | instid1(VALU_DEP_2)
	v_pk_add_f32 v[8:9], v[8:9], v[12:13] neg_lo:[0,1] neg_hi:[0,1]
	v_pk_add_f32 v[10:11], v[14:15], v[18:19] neg_lo:[0,1] neg_hi:[0,1]
	v_mov_b32_e32 v8, v6
	s_delay_alu instid0(VALU_DEP_2) | instskip(NEXT) | instid1(VALU_DEP_1)
	v_pk_add_f32 v[4:5], v[4:5], v[10:11] neg_lo:[0,1] neg_hi:[0,1]
	v_pk_add_f32 v[8:9], v[8:9], v[4:5]
	s_delay_alu instid0(VALU_DEP_1) | instskip(NEXT) | instid1(VALU_DEP_1)
	v_mov_b32_e32 v10, v9
	v_pk_add_f32 v[10:11], v[8:9], v[10:11]
	s_delay_alu instid0(VALU_DEP_1) | instskip(NEXT) | instid1(VALU_DEP_1)
	v_pk_add_f32 v[12:13], v[12:13], v[10:11]
	v_dual_mov_b32 v7, v15 :: v_dual_mov_b32 v9, v12
	s_delay_alu instid0(VALU_DEP_1) | instskip(NEXT) | instid1(VALU_DEP_1)
	v_pk_add_f32 v[14:15], v[8:9], v[6:7] neg_lo:[0,1] neg_hi:[0,1]
	v_dual_mov_b32 v5, v10 :: v_dual_sub_f32 v7, v8, v14
	s_delay_alu instid0(VALU_DEP_1) | instskip(NEXT) | instid1(VALU_DEP_2)
	v_pk_add_f32 v[4:5], v[4:5], v[14:15] neg_lo:[0,1] neg_hi:[0,1]
	v_sub_f32_e32 v6, v6, v7
	s_delay_alu instid0(VALU_DEP_1) | instskip(NEXT) | instid1(VALU_DEP_1)
	v_add_f32_e32 v4, v4, v6
	v_add_f32_e32 v4, v4, v5
	s_delay_alu instid0(VALU_DEP_1) | instskip(NEXT) | instid1(VALU_DEP_1)
	v_add_f32_e32 v5, v12, v4
	v_dual_sub_f32 v6, v5, v12 :: v_dual_mul_f32 v7, v2, v5
	s_delay_alu instid0(VALU_DEP_1) | instskip(NEXT) | instid1(VALU_DEP_2)
	v_sub_f32_e32 v4, v4, v6
	v_cmp_class_f32_e64 vcc_lo, v7, 0x204
	v_fma_f32 v5, v2, v5, -v7
	s_delay_alu instid0(VALU_DEP_1) | instskip(NEXT) | instid1(VALU_DEP_1)
	v_fmac_f32_e32 v5, v2, v4
	v_add_f32_e32 v4, v7, v5
	s_delay_alu instid0(VALU_DEP_1) | instskip(NEXT) | instid1(VALU_DEP_1)
	v_cndmask_b32_e32 v6, v4, v7, vcc_lo
	v_cmp_eq_f32_e32 vcc_lo, 0x42b17218, v6
	v_cndmask_b32_e64 v8, 0, 0x37000000, vcc_lo
	v_cmp_neq_f32_e64 vcc_lo, 0x7f800000, |v6|
	s_delay_alu instid0(VALU_DEP_2) | instskip(SKIP_1) | instid1(VALU_DEP_2)
	v_dual_sub_f32 v9, v6, v8 :: v_dual_sub_f32 v4, v4, v7
	v_trunc_f32_e32 v6, v2
	v_mul_f32_e32 v10, 0x3fb8aa3b, v9
	s_delay_alu instid0(VALU_DEP_3) | instskip(NEXT) | instid1(VALU_DEP_2)
	v_sub_f32_e32 v4, v5, v4
	v_fma_f32 v11, 0x3fb8aa3b, v9, -v10
	v_rndne_f32_e32 v12, v10
	s_delay_alu instid0(VALU_DEP_3) | instskip(SKIP_1) | instid1(VALU_DEP_3)
	v_cndmask_b32_e32 v4, 0, v4, vcc_lo
	v_cmp_ngt_f32_e32 vcc_lo, 0xc2ce8ed0, v9
	v_dual_fmamk_f32 v11, v9, 0x32a5705f, v11 :: v_dual_sub_f32 v10, v10, v12
	s_delay_alu instid0(VALU_DEP_1) | instskip(NEXT) | instid1(VALU_DEP_1)
	v_dual_add_f32 v4, v8, v4 :: v_dual_add_f32 v10, v10, v11
	v_exp_f32_e32 v7, v10
	v_nop
	v_cvt_i32_f32_e32 v10, v12
	s_delay_alu instid0(TRANS32_DEP_1) | instid1(VALU_DEP_1)
	v_ldexp_f32 v5, v7, v10
	s_delay_alu instid0(VALU_DEP_1) | instskip(NEXT) | instid1(VALU_DEP_1)
	v_dual_mul_f32 v7, 0.5, v2 :: v_dual_cndmask_b32 v5, 0, v5, vcc_lo
	v_trunc_f32_e32 v10, v7
	v_cmp_nlt_f32_e32 vcc_lo, 0x42b17218, v9
	s_delay_alu instid0(VALU_DEP_2) | instskip(NEXT) | instid1(VALU_DEP_4)
	v_cmp_neq_f32_e64 s0, v10, v7
	v_cndmask_b32_e32 v5, 0x7f800000, v5, vcc_lo
	v_cmp_eq_f32_e32 vcc_lo, v6, v2
	s_delay_alu instid0(VALU_DEP_2) | instskip(SKIP_1) | instid1(SALU_CYCLE_1)
	v_cmp_class_f32_e64 s1, v5, 0x204
	s_and_b32 s0, vcc_lo, s0
	v_dual_fma_f32 v4, v5, v4, v5 :: v_dual_cndmask_b32 v6, 1.0, v3, s0
	s_delay_alu instid0(VALU_DEP_1) | instskip(SKIP_2) | instid1(VALU_DEP_3)
	v_cndmask_b32_e64 v4, v4, v5, s1
	v_cndmask_b32_e64 v5, 0x7f800000, 0, s11
	v_cmp_gt_f32_e64 s1, 0, v2
	v_bfi_b32 v4, 0x7fffffff, v4, v6
	s_xor_b32 s1, s1, s3
	s_delay_alu instid0(SALU_CYCLE_1) | instskip(NEXT) | instid1(VALU_DEP_2)
	v_cndmask_b32_e64 v6, 0x7f800000, 0, s1
	v_cndmask_b32_e32 v7, 0x7fc00000, v4, vcc_lo
	v_cmp_neq_f32_e64 vcc_lo, |v3|, 1.0
	v_cndmask_b32_e32 v5, 1.0, v5, vcc_lo
	v_cmp_gt_f32_e32 vcc_lo, 0, v3
	s_delay_alu instid0(VALU_DEP_4) | instskip(SKIP_3) | instid1(VALU_DEP_4)
	v_cndmask_b32_e32 v4, v4, v7, vcc_lo
	v_cmp_class_f32_e64 vcc_lo, v2, 0x204
	v_cndmask_b32_e64 v8, 0, v3, s0
	v_cmp_class_f32_e64 s0, v3, 0x204
	v_cndmask_b32_e32 v4, v4, v5, vcc_lo
	s_delay_alu instid0(VALU_DEP_3) | instskip(SKIP_1) | instid1(VALU_DEP_1)
	v_bfi_b32 v6, 0x7fffffff, v6, v8
	s_or_b32 vcc_lo, s3, s0
	v_cndmask_b32_e32 v4, v4, v6, vcc_lo
	v_cmp_o_f32_e32 vcc_lo, v3, v2
	s_delay_alu instid0(VALU_DEP_2)
	v_dual_mov_b32 v3, 0 :: v_dual_cndmask_b32 v2, 0x7fc00000, v4
	ds_store_b32 v3, v2
.LBB223_22:
	s_or_b32 exec_lo, exec_lo, s5
	v_mov_b32_e32 v2, 0
	s_wait_dscnt 0x0
	s_barrier_signal -1
	s_barrier_wait -1
	ds_load_b32 v2, v2
	s_wait_dscnt 0x0
	v_cmp_nlt_f32_e32 vcc_lo, s10, v2
	s_cbranch_vccnz .LBB223_27
; %bb.23:
	s_and_saveexec_b32 s3, s2
	s_cbranch_execz .LBB223_26
; %bb.24:
	v_cvt_f64_f32_e32 v[2:3], v2
	v_cvt_f64_f32_e32 v[4:5], s10
	s_delay_alu instid0(VALU_DEP_2) | instskip(NEXT) | instid1(VALU_DEP_1)
	v_add_f64_e32 v[2:3], 0x3e7ad7f29abcaf48, v[2:3]
	v_div_scale_f64 v[6:7], null, v[2:3], v[2:3], v[4:5]
	v_div_scale_f64 v[12:13], vcc_lo, v[4:5], v[2:3], v[4:5]
	s_delay_alu instid0(VALU_DEP_2) | instskip(SKIP_1) | instid1(TRANS32_DEP_1)
	v_rcp_f64_e32 v[8:9], v[6:7]
	v_nop
	v_fma_f64 v[10:11], -v[6:7], v[8:9], 1.0
	s_delay_alu instid0(VALU_DEP_1) | instskip(NEXT) | instid1(VALU_DEP_1)
	v_fmac_f64_e32 v[8:9], v[8:9], v[10:11]
	v_fma_f64 v[10:11], -v[6:7], v[8:9], 1.0
	s_delay_alu instid0(VALU_DEP_1) | instskip(NEXT) | instid1(VALU_DEP_1)
	v_fmac_f64_e32 v[8:9], v[8:9], v[10:11]
	v_mul_f64_e32 v[10:11], v[12:13], v[8:9]
	s_delay_alu instid0(VALU_DEP_1) | instskip(NEXT) | instid1(VALU_DEP_1)
	v_fma_f64 v[6:7], -v[6:7], v[10:11], v[12:13]
	v_div_fmas_f64 v[6:7], v[6:7], v[8:9], v[10:11]
	s_delay_alu instid0(VALU_DEP_1) | instskip(NEXT) | instid1(VALU_DEP_1)
	v_div_fixup_f64 v[2:3], v[6:7], v[2:3], v[4:5]
	v_readfirstlane_b32 s0, v3
	s_and_b32 s1, s0, 0x1ff
	s_lshr_b32 s5, s0, 8
	v_or_b32_e32 v2, s1, v2
	s_bfe_u32 s1, s0, 0xb0014
	s_and_b32 s5, s5, 0xffe
	s_sub_co_i32 s2, 0x3f1, s1
	s_delay_alu instid0(SALU_CYCLE_1) | instskip(SKIP_1) | instid1(VALU_DEP_2)
	v_med3_i32 v3, s2, 0, 13
	v_cmp_ne_u32_e32 vcc_lo, 0, v2
	v_readfirstlane_b32 s10, v3
	v_cndmask_b32_e64 v2, 0, 1, vcc_lo
	s_delay_alu instid0(VALU_DEP_1) | instskip(SKIP_1) | instid1(SALU_CYCLE_1)
	v_readfirstlane_b32 s2, v2
	s_or_b32 s2, s5, s2
	s_or_b32 s5, s2, 0x1000
	s_delay_alu instid0(SALU_CYCLE_1) | instskip(NEXT) | instid1(SALU_CYCLE_1)
	s_lshr_b32 s11, s5, s10
	s_lshl_b32 s10, s11, s10
	s_delay_alu instid0(SALU_CYCLE_1) | instskip(SKIP_4) | instid1(SALU_CYCLE_1)
	s_cmp_lg_u32 s10, s5
	s_cselect_b32 s5, 1, 0
	s_addk_co_i32 s1, 0xfc10
	s_or_b32 s5, s11, s5
	s_lshl_b32 s10, s1, 12
	s_or_b32 s10, s2, s10
	s_cmp_lt_i32 s1, 1
	s_cselect_b32 s5, s5, s10
	s_delay_alu instid0(SALU_CYCLE_1) | instskip(NEXT) | instid1(SALU_CYCLE_1)
	s_and_b32 s10, s5, 7
	s_cmp_gt_i32 s10, 5
	s_cselect_b32 s11, 1, 0
	s_cmp_eq_u32 s10, 3
	s_cselect_b32 s10, 1, 0
	s_lshr_b32 s5, s5, 2
	s_or_b32 s10, s10, s11
	s_delay_alu instid0(SALU_CYCLE_1)
	s_add_co_i32 s5, s5, s10
	s_cmp_lt_i32 s1, 31
	s_movk_i32 s10, 0x7e00
	s_cselect_b32 s5, s5, 0x7c00
	s_cmp_lg_u32 s2, 0
	s_mov_b32 s2, 0
	s_cselect_b32 s10, s10, 0x7c00
	s_cmp_eq_u32 s1, 0x40f
	s_cselect_b32 s5, s10, s5
	s_and_b32 s4, 0xffff, s4
	s_lshr_b32 s0, s0, 16
	v_add_nc_u32_e32 v2, s4, v0
	s_and_b32 s10, s0, 0x8000
	s_lshl_b64 s[0:1], s[6:7], 1
	s_or_b32 s5, s10, s5
	s_add_nc_u64 s[0:1], s[16:17], s[0:1]
.LBB223_25:                             ; =>This Inner Loop Header: Depth=1
	v_mul_u64_e32 v[0:1], s[14:15], v[0:1]
	v_ashrrev_i32_e32 v3, 31, v2
	s_delay_alu instid0(VALU_DEP_1) | instskip(SKIP_1) | instid1(VALU_DEP_3)
	v_cmp_le_i64_e32 vcc_lo, s[8:9], v[2:3]
	s_or_b32 s2, vcc_lo, s2
	v_lshl_add_u64 v[4:5], v[0:1], 1, s[0:1]
	v_mov_b64_e32 v[0:1], v[2:3]
	v_add_nc_u32_e32 v2, s4, v2
	global_load_u16 v6, v[4:5], off
	s_wait_loadcnt 0x0
	v_mul_f16_e32 v3, s5, v6
	global_store_b16 v[4:5], v3, off
	s_wait_xcnt 0x0
	s_and_not1_b32 exec_lo, exec_lo, s2
	s_cbranch_execnz .LBB223_25
.LBB223_26:
	s_or_b32 exec_lo, exec_lo, s3
.LBB223_27:
	s_delay_alu instid0(SALU_CYCLE_1)
	s_and_b32 vcc_lo, exec_lo, s18
	s_cbranch_vccnz .LBB223_30
.LBB223_28:
	s_endpgm
.LBB223_29:
	s_cbranch_execz .LBB223_28
.LBB223_30:
	s_trap 2
	; divergent unreachable
	s_endpgm
	.section	.rodata,"a",@progbits
	.p2align	6, 0x0
	.amdhsa_kernel _ZN2at6native12_GLOBAL__N_113renorm_kernelIN3c104HalfEfKiEEvPT_PT1_T0_SA_llllPKl
		.amdhsa_group_segment_fixed_size 0
		.amdhsa_private_segment_fixed_size 0
		.amdhsa_kernarg_size 320
		.amdhsa_user_sgpr_count 2
		.amdhsa_user_sgpr_dispatch_ptr 0
		.amdhsa_user_sgpr_queue_ptr 0
		.amdhsa_user_sgpr_kernarg_segment_ptr 1
		.amdhsa_user_sgpr_dispatch_id 0
		.amdhsa_user_sgpr_kernarg_preload_length 0
		.amdhsa_user_sgpr_kernarg_preload_offset 0
		.amdhsa_user_sgpr_private_segment_size 0
		.amdhsa_wavefront_size32 1
		.amdhsa_uses_dynamic_stack 0
		.amdhsa_enable_private_segment 0
		.amdhsa_system_sgpr_workgroup_id_x 1
		.amdhsa_system_sgpr_workgroup_id_y 0
		.amdhsa_system_sgpr_workgroup_id_z 0
		.amdhsa_system_sgpr_workgroup_info 0
		.amdhsa_system_vgpr_workitem_id 0
		.amdhsa_next_free_vgpr 24
		.amdhsa_next_free_sgpr 27
		.amdhsa_named_barrier_count 0
		.amdhsa_reserve_vcc 1
		.amdhsa_float_round_mode_32 0
		.amdhsa_float_round_mode_16_64 0
		.amdhsa_float_denorm_mode_32 3
		.amdhsa_float_denorm_mode_16_64 3
		.amdhsa_fp16_overflow 0
		.amdhsa_memory_ordered 1
		.amdhsa_forward_progress 1
		.amdhsa_inst_pref_size 33
		.amdhsa_round_robin_scheduling 0
		.amdhsa_exception_fp_ieee_invalid_op 0
		.amdhsa_exception_fp_denorm_src 0
		.amdhsa_exception_fp_ieee_div_zero 0
		.amdhsa_exception_fp_ieee_overflow 0
		.amdhsa_exception_fp_ieee_underflow 0
		.amdhsa_exception_fp_ieee_inexact 0
		.amdhsa_exception_int_div_zero 0
	.end_amdhsa_kernel
	.section	.text._ZN2at6native12_GLOBAL__N_113renorm_kernelIN3c104HalfEfKiEEvPT_PT1_T0_SA_llllPKl,"axG",@progbits,_ZN2at6native12_GLOBAL__N_113renorm_kernelIN3c104HalfEfKiEEvPT_PT1_T0_SA_llllPKl,comdat
.Lfunc_end223:
	.size	_ZN2at6native12_GLOBAL__N_113renorm_kernelIN3c104HalfEfKiEEvPT_PT1_T0_SA_llllPKl, .Lfunc_end223-_ZN2at6native12_GLOBAL__N_113renorm_kernelIN3c104HalfEfKiEEvPT_PT1_T0_SA_llllPKl
                                        ; -- End function
	.set _ZN2at6native12_GLOBAL__N_113renorm_kernelIN3c104HalfEfKiEEvPT_PT1_T0_SA_llllPKl.num_vgpr, 24
	.set _ZN2at6native12_GLOBAL__N_113renorm_kernelIN3c104HalfEfKiEEvPT_PT1_T0_SA_llllPKl.num_agpr, 0
	.set _ZN2at6native12_GLOBAL__N_113renorm_kernelIN3c104HalfEfKiEEvPT_PT1_T0_SA_llllPKl.numbered_sgpr, 27
	.set _ZN2at6native12_GLOBAL__N_113renorm_kernelIN3c104HalfEfKiEEvPT_PT1_T0_SA_llllPKl.num_named_barrier, 0
	.set _ZN2at6native12_GLOBAL__N_113renorm_kernelIN3c104HalfEfKiEEvPT_PT1_T0_SA_llllPKl.private_seg_size, 0
	.set _ZN2at6native12_GLOBAL__N_113renorm_kernelIN3c104HalfEfKiEEvPT_PT1_T0_SA_llllPKl.uses_vcc, 1
	.set _ZN2at6native12_GLOBAL__N_113renorm_kernelIN3c104HalfEfKiEEvPT_PT1_T0_SA_llllPKl.uses_flat_scratch, 0
	.set _ZN2at6native12_GLOBAL__N_113renorm_kernelIN3c104HalfEfKiEEvPT_PT1_T0_SA_llllPKl.has_dyn_sized_stack, 0
	.set _ZN2at6native12_GLOBAL__N_113renorm_kernelIN3c104HalfEfKiEEvPT_PT1_T0_SA_llllPKl.has_recursion, 0
	.set _ZN2at6native12_GLOBAL__N_113renorm_kernelIN3c104HalfEfKiEEvPT_PT1_T0_SA_llllPKl.has_indirect_call, 0
	.section	.AMDGPU.csdata,"",@progbits
; Kernel info:
; codeLenInByte = 4152
; TotalNumSgprs: 29
; NumVgprs: 24
; ScratchSize: 0
; MemoryBound: 0
; FloatMode: 240
; IeeeMode: 1
; LDSByteSize: 0 bytes/workgroup (compile time only)
; SGPRBlocks: 0
; VGPRBlocks: 1
; NumSGPRsForWavesPerEU: 29
; NumVGPRsForWavesPerEU: 24
; NamedBarCnt: 0
; Occupancy: 16
; WaveLimiterHint : 1
; COMPUTE_PGM_RSRC2:SCRATCH_EN: 0
; COMPUTE_PGM_RSRC2:USER_SGPR: 2
; COMPUTE_PGM_RSRC2:TRAP_HANDLER: 0
; COMPUTE_PGM_RSRC2:TGID_X_EN: 1
; COMPUTE_PGM_RSRC2:TGID_Y_EN: 0
; COMPUTE_PGM_RSRC2:TGID_Z_EN: 0
; COMPUTE_PGM_RSRC2:TIDIG_COMP_CNT: 0
	.section	.text._ZN2at6native12_GLOBAL__N_113renorm_kernelIN3c108BFloat16EfKiEEvPT_PT1_T0_SA_llllPKl,"axG",@progbits,_ZN2at6native12_GLOBAL__N_113renorm_kernelIN3c108BFloat16EfKiEEvPT_PT1_T0_SA_llllPKl,comdat
	.globl	_ZN2at6native12_GLOBAL__N_113renorm_kernelIN3c108BFloat16EfKiEEvPT_PT1_T0_SA_llllPKl ; -- Begin function _ZN2at6native12_GLOBAL__N_113renorm_kernelIN3c108BFloat16EfKiEEvPT_PT1_T0_SA_llllPKl
	.p2align	8
	.type	_ZN2at6native12_GLOBAL__N_113renorm_kernelIN3c108BFloat16EfKiEEvPT_PT1_T0_SA_llllPKl,@function
_ZN2at6native12_GLOBAL__N_113renorm_kernelIN3c108BFloat16EfKiEEvPT_PT1_T0_SA_llllPKl: ; @_ZN2at6native12_GLOBAL__N_113renorm_kernelIN3c108BFloat16EfKiEEvPT_PT1_T0_SA_llllPKl
; %bb.0:
	s_load_b64 s[2:3], s[0:1], 0x38
	s_getreg_b32 s6, hwreg(HW_REG_IB_STS2, 6, 4)
	s_wait_kmcnt 0x0
	s_load_b64 s[4:5], s[2:3], 0x0
	s_wait_xcnt 0x0
	s_bfe_u32 s2, ttmp6, 0x4000c
	s_and_b32 s3, ttmp6, 15
	s_add_co_i32 s2, s2, 1
	s_delay_alu instid0(SALU_CYCLE_1) | instskip(NEXT) | instid1(SALU_CYCLE_1)
	s_mul_i32 s2, ttmp9, s2
	s_add_co_i32 s2, s3, s2
	s_cmp_eq_u32 s6, 0
	s_mov_b32 s3, 0
	s_cselect_b32 s2, ttmp9, s2
	s_wait_kmcnt 0x0
	v_cmp_le_i64_e64 s4, s[4:5], s[2:3]
	s_and_b32 vcc_lo, exec_lo, s4
	s_cbranch_vccnz .LBB224_27
; %bb.1:
	s_load_b128 s[16:19], s[0:1], 0x0
	s_lshl_b64 s[2:3], s[2:3], 2
	s_wait_kmcnt 0x0
	s_add_nc_u64 s[2:3], s[18:19], s[2:3]
	s_load_b32 s4, s[2:3], 0x0
	s_wait_kmcnt 0x0
	s_cmp_lt_i32 s4, 0
	s_cbranch_scc1 .LBB224_28
; %bb.2:
	s_load_b256 s[8:15], s[0:1], 0x18
	s_ashr_i32 s5, s4, 31
	s_get_pc_i64 s[2:3]
	s_add_nc_u64 s[2:3], s[2:3], .str.5@rel64+4
	s_delay_alu instid0(SALU_CYCLE_1) | instskip(SKIP_4) | instid1(SALU_CYCLE_1)
	s_cmp_eq_u64 s[2:3], 0
	s_cselect_b32 s2, -1, 0
	s_wait_kmcnt 0x0
	v_cmp_le_i64_e64 s6, s[10:11], s[4:5]
	s_or_b32 s18, s6, s2
	s_and_not1_b32 vcc_lo, exec_lo, s18
	s_cbranch_vccz .LBB224_26
; %bb.3:
	s_load_b64 s[10:11], s[0:1], 0x10
	v_mov_b32_e32 v1, 0
	s_mul_u64 s[6:7], s[12:13], s[4:5]
	s_mov_b32 s19, exec_lo
	s_delay_alu instid0(VALU_DEP_1)
	v_cmp_le_i64_e64 s2, s[8:9], v[0:1]
	v_mov_b32_e32 v6, v1
	v_cmpx_gt_i64_e64 s[8:9], v[0:1]
	s_cbranch_execz .LBB224_13
; %bb.4:
	s_load_b32 s3, s[0:1], 0x4c
	s_lshl_b64 s[4:5], s[6:7], 1
	s_wait_kmcnt 0x0
	s_cmp_neq_f32 s11, 1.0
	v_mov_b64_e32 v[4:5], v[0:1]
	s_add_nc_u64 s[12:13], s[16:17], s[4:5]
	s_mov_b32 s23, 0
	s_cselect_b32 s20, -1, 0
	s_cmp_neq_f32 s11, 2.0
	s_mov_b32 s24, 0x3e76c4e1
	s_cselect_b32 s21, -1, 0
	s_and_b32 s22, s3, 0xffff
	s_delay_alu instid0(SALU_CYCLE_1)
	v_dual_mov_b32 v6, 0 :: v_dual_add_nc_u32 v2, s22, v0
	s_branch .LBB224_7
.LBB224_5:                              ;   in Loop: Header=BB224_7 Depth=1
	s_delay_alu instid0(VALU_DEP_1)
	v_and_b32_e32 v4, 0x7fffffff, v3
.LBB224_6:                              ;   in Loop: Header=BB224_7 Depth=1
	s_delay_alu instid0(VALU_DEP_1) | instskip(NEXT) | instid1(VALU_DEP_1)
	v_dual_add_f32 v6, v6, v4 :: v_dual_ashrrev_i32 v3, 31, v2
	v_cmp_le_i64_e32 vcc_lo, s[8:9], v[2:3]
	v_mov_b64_e32 v[4:5], v[2:3]
	v_add_nc_u32_e32 v2, s22, v2
	s_or_b32 s23, vcc_lo, s23
	s_delay_alu instid0(SALU_CYCLE_1)
	s_and_not1_b32 exec_lo, exec_lo, s23
	s_cbranch_execz .LBB224_12
.LBB224_7:                              ; =>This Inner Loop Header: Depth=1
	s_delay_alu instid0(VALU_DEP_2) | instskip(SKIP_1) | instid1(VALU_DEP_1)
	v_mul_u64_e32 v[4:5], s[14:15], v[4:5]
	s_and_b32 vcc_lo, exec_lo, s20
	v_lshl_add_u64 v[4:5], v[4:5], 1, s[12:13]
	global_load_u16 v3, v[4:5], off
	s_wait_loadcnt 0x0
	v_lshlrev_b32_e32 v3, 16, v3
	s_cbranch_vccz .LBB224_5
; %bb.8:                                ;   in Loop: Header=BB224_7 Depth=1
	s_and_b32 vcc_lo, exec_lo, s21
	s_cbranch_vccz .LBB224_10
; %bb.9:                                ;   in Loop: Header=BB224_7 Depth=1
	s_delay_alu instid0(VALU_DEP_1) | instskip(SKIP_1) | instid1(VALU_DEP_1)
	v_cmp_neq_f32_e32 vcc_lo, 1.0, v3
	v_cndmask_b32_e64 v4, 1.0, s11, vcc_lo
	v_cmp_neq_f32_e32 vcc_lo, 0, v4
	v_cmp_neq_f32_e64 s25, v4, |v4|
	v_cndmask_b32_e32 v5, 1.0, v3, vcc_lo
	s_delay_alu instid0(VALU_DEP_1) | instskip(NEXT) | instid1(VALU_DEP_1)
	v_frexp_mant_f32_e64 v7, |v5|
	v_cmp_gt_f32_e32 vcc_lo, 0x3f2aaaab, v7
	v_cndmask_b32_e64 v8, 1.0, 2.0, vcc_lo
	s_delay_alu instid0(VALU_DEP_1) | instskip(SKIP_2) | instid1(VALU_DEP_3)
	v_mul_f32_e32 v7, v7, v8
	v_cmp_lt_f32_e64 s26, |v5|, 1.0
	v_cmp_eq_f32_e64 s5, 0, v5
	v_dual_add_f32 v8, 1.0, v7 :: v_dual_add_f32 v9, -1.0, v7
	s_xor_b32 s25, s25, s26
	s_delay_alu instid0(VALU_DEP_1) | instskip(SKIP_1) | instid1(TRANS32_DEP_1)
	v_rcp_f32_e32 v14, v8
	v_nop
	v_dual_add_f32 v11, -1.0, v8 :: v_dual_mul_f32 v15, v9, v14
	s_delay_alu instid0(VALU_DEP_1) | instskip(NEXT) | instid1(VALU_DEP_2)
	v_mul_f32_e32 v10, v8, v15
	v_sub_f32_e32 v7, v7, v11
	s_delay_alu instid0(VALU_DEP_2) | instskip(NEXT) | instid1(VALU_DEP_1)
	v_fma_f32 v12, v15, v8, -v10
	v_fmac_f32_e32 v12, v15, v7
	s_delay_alu instid0(VALU_DEP_1) | instskip(NEXT) | instid1(VALU_DEP_1)
	v_add_f32_e32 v8, v10, v12
	v_dual_sub_f32 v11, v9, v8 :: v_dual_mov_b32 v13, v8
	s_delay_alu instid0(VALU_DEP_1) | instskip(NEXT) | instid1(VALU_DEP_1)
	v_pk_add_f32 v[8:9], v[8:9], v[10:11] neg_lo:[0,1] neg_hi:[0,1]
	v_pk_add_f32 v[8:9], v[8:9], v[12:13] neg_lo:[0,1] neg_hi:[0,1]
	s_delay_alu instid0(VALU_DEP_1) | instskip(NEXT) | instid1(VALU_DEP_1)
	v_add_f32_e32 v7, v8, v9
	v_add_f32_e32 v7, v11, v7
	s_delay_alu instid0(VALU_DEP_1) | instskip(NEXT) | instid1(VALU_DEP_1)
	v_mul_f32_e32 v7, v14, v7
	v_add_f32_e32 v8, v15, v7
	s_delay_alu instid0(VALU_DEP_1) | instskip(NEXT) | instid1(VALU_DEP_1)
	v_dual_sub_f32 v9, v8, v15 :: v_dual_mul_f32 v11, v8, v8
	v_dual_sub_f32 v7, v7, v9 :: v_dual_fma_f32 v9, v8, v8, -v11
	s_delay_alu instid0(VALU_DEP_1) | instskip(NEXT) | instid1(VALU_DEP_1)
	v_add_f32_e32 v10, v7, v7
	v_fmac_f32_e32 v9, v8, v10
	s_delay_alu instid0(VALU_DEP_1) | instskip(NEXT) | instid1(VALU_DEP_1)
	v_add_f32_e32 v10, v11, v9
	v_sub_f32_e32 v11, v10, v11
	s_delay_alu instid0(VALU_DEP_1) | instskip(SKIP_1) | instid1(VALU_DEP_1)
	v_sub_f32_e32 v18, v9, v11
	v_fmaak_f32 v12, s24, v10, 0x3e91f4c4
	v_fmaak_f32 v14, v10, v12, 0x3ecccdef
	v_cvt_f64_f32_e64 v[12:13], |v5|
	s_delay_alu instid0(VALU_DEP_2) | instskip(NEXT) | instid1(VALU_DEP_1)
	v_mul_f32_e32 v15, v10, v14
	v_fma_f32 v9, v10, v14, -v15
	s_delay_alu instid0(VALU_DEP_1) | instskip(NEXT) | instid1(VALU_DEP_1)
	v_fmac_f32_e32 v9, v18, v14
	v_add_f32_e32 v11, v15, v9
	s_delay_alu instid0(VALU_DEP_1) | instskip(SKIP_1) | instid1(VALU_DEP_1)
	v_sub_f32_e32 v14, v11, v15
	v_add_f32_e32 v15, 0x3f2aaaaa, v11
	v_dual_sub_f32 v9, v9, v14 :: v_dual_add_f32 v14, 0xbf2aaaaa, v15
	v_frexp_exp_i32_f64_e32 v19, v[12:13]
	s_delay_alu instid0(VALU_DEP_2) | instskip(NEXT) | instid1(VALU_DEP_3)
	v_add_f32_e32 v9, 0x31739010, v9
	v_sub_f32_e32 v11, v11, v14
	s_delay_alu instid0(VALU_DEP_1) | instskip(NEXT) | instid1(VALU_DEP_1)
	v_pk_mul_f32 v[12:13], v[8:9], v[10:11]
	v_fma_f32 v14, v10, v8, -v12
	v_pk_add_f32 v[16:17], v[8:9], v[10:11]
	s_delay_alu instid0(VALU_DEP_1) | instskip(SKIP_1) | instid1(VALU_DEP_2)
	v_dual_fmac_f32 v14, v10, v7 :: v_dual_mov_b32 v13, v17
	v_ldexp_f32 v7, v7, 1
	v_fmac_f32_e32 v14, v18, v8
	s_delay_alu instid0(VALU_DEP_1) | instskip(SKIP_1) | instid1(VALU_DEP_2)
	v_pk_add_f32 v[10:11], v[12:13], v[14:15]
	v_subrev_co_ci_u32_e64 v9, null, 0, v19, vcc_lo
	v_mov_b32_e32 v16, v11
	s_delay_alu instid0(VALU_DEP_3) | instskip(NEXT) | instid1(VALU_DEP_3)
	v_dual_sub_f32 v13, v15, v11 :: v_dual_sub_f32 v15, v10, v12
	v_cvt_f32_i32_e32 v9, v9
	s_delay_alu instid0(VALU_DEP_3) | instskip(NEXT) | instid1(VALU_DEP_3)
	v_pk_mul_f32 v[18:19], v[10:11], v[16:17]
	v_sub_f32_e32 v14, v14, v15
	s_delay_alu instid0(VALU_DEP_2) | instskip(NEXT) | instid1(VALU_DEP_1)
	v_dual_fma_f32 v12, v10, v11, -v18 :: v_dual_add_f32 v13, v17, v13
	v_fmac_f32_e32 v12, v10, v13
	s_delay_alu instid0(VALU_DEP_1) | instskip(SKIP_2) | instid1(VALU_DEP_3)
	v_fmac_f32_e32 v12, v14, v11
	v_mul_f32_e32 v16, 0x3f317218, v9
	v_ldexp_f32 v11, v8, 1
	v_add_f32_e32 v17, v18, v12
	s_delay_alu instid0(VALU_DEP_3) | instskip(NEXT) | instid1(VALU_DEP_2)
	v_fma_f32 v10, 0x3f317218, v9, -v16
	v_dual_mov_b32 v19, v11 :: v_dual_mov_b32 v14, v17
	s_delay_alu instid0(VALU_DEP_2) | instskip(NEXT) | instid1(VALU_DEP_1)
	v_dual_fmac_f32 v10, 0xb102e308, v9 :: v_dual_mov_b32 v13, v17
	v_pk_add_f32 v[8:9], v[16:17], v[10:11]
	s_delay_alu instid0(VALU_DEP_1) | instskip(NEXT) | instid1(VALU_DEP_1)
	v_dual_mov_b32 v15, v9 :: v_dual_mov_b32 v11, v8
	v_pk_add_f32 v[14:15], v[14:15], v[18:19] neg_lo:[0,1] neg_hi:[0,1]
	s_delay_alu instid0(VALU_DEP_1) | instskip(NEXT) | instid1(VALU_DEP_1)
	v_pk_add_f32 v[12:13], v[12:13], v[14:15] neg_lo:[0,1] neg_hi:[0,1]
	v_add_f32_e32 v7, v7, v12
	s_delay_alu instid0(VALU_DEP_1) | instskip(NEXT) | instid1(VALU_DEP_1)
	v_add_f32_e32 v17, v7, v13
	v_pk_add_f32 v[12:13], v[8:9], v[16:17]
	v_pk_add_f32 v[14:15], v[8:9], v[16:17] neg_lo:[0,1] neg_hi:[0,1]
	s_delay_alu instid0(VALU_DEP_2) | instskip(NEXT) | instid1(VALU_DEP_1)
	v_dual_mov_b32 v22, v9 :: v_dual_mov_b32 v15, v13
	v_pk_add_f32 v[18:19], v[10:11], v[14:15]
	s_delay_alu instid0(VALU_DEP_1) | instskip(SKIP_1) | instid1(VALU_DEP_2)
	v_dual_mov_b32 v18, v13 :: v_dual_mov_b32 v16, v19
	v_pk_add_f32 v[10:11], v[10:11], v[14:15] neg_lo:[0,1] neg_hi:[0,1]
	v_pk_add_f32 v[20:21], v[16:17], v[8:9] neg_lo:[0,1] neg_hi:[0,1]
	v_dual_mov_b32 v9, v8 :: v_dual_mov_b32 v8, v17
	s_delay_alu instid0(VALU_DEP_2) | instskip(NEXT) | instid1(VALU_DEP_1)
	v_dual_mov_b32 v7, v20 :: v_dual_mov_b32 v23, v20
	v_pk_add_f32 v[12:13], v[12:13], v[6:7] neg_lo:[0,1] neg_hi:[0,1]
	s_delay_alu instid0(VALU_DEP_2) | instskip(SKIP_1) | instid1(VALU_DEP_2)
	v_pk_add_f32 v[14:15], v[18:19], v[22:23] neg_lo:[0,1] neg_hi:[0,1]
	v_mov_b32_e32 v12, v10
	v_pk_add_f32 v[8:9], v[8:9], v[14:15] neg_lo:[0,1] neg_hi:[0,1]
	s_delay_alu instid0(VALU_DEP_1) | instskip(NEXT) | instid1(VALU_DEP_1)
	v_pk_add_f32 v[12:13], v[12:13], v[8:9]
	v_mov_b32_e32 v14, v13
	s_delay_alu instid0(VALU_DEP_1) | instskip(NEXT) | instid1(VALU_DEP_1)
	v_pk_add_f32 v[14:15], v[12:13], v[14:15]
	v_pk_add_f32 v[16:17], v[16:17], v[14:15]
	s_delay_alu instid0(VALU_DEP_1) | instskip(NEXT) | instid1(VALU_DEP_1)
	v_dual_mov_b32 v11, v19 :: v_dual_mov_b32 v13, v16
	v_pk_add_f32 v[18:19], v[12:13], v[10:11] neg_lo:[0,1] neg_hi:[0,1]
	s_delay_alu instid0(VALU_DEP_1) | instskip(NEXT) | instid1(VALU_DEP_1)
	v_dual_mov_b32 v9, v14 :: v_dual_sub_f32 v7, v12, v18
	v_pk_add_f32 v[8:9], v[8:9], v[18:19] neg_lo:[0,1] neg_hi:[0,1]
	s_delay_alu instid0(VALU_DEP_2) | instskip(NEXT) | instid1(VALU_DEP_1)
	v_sub_f32_e32 v7, v10, v7
	v_add_f32_e32 v7, v8, v7
	s_delay_alu instid0(VALU_DEP_1) | instskip(NEXT) | instid1(VALU_DEP_1)
	v_add_f32_e32 v7, v7, v9
	v_add_f32_e32 v8, v16, v7
	s_delay_alu instid0(VALU_DEP_1) | instskip(NEXT) | instid1(VALU_DEP_1)
	v_sub_f32_e32 v9, v8, v16
	v_dual_mul_f32 v10, v4, v8 :: v_dual_sub_f32 v7, v7, v9
	s_delay_alu instid0(VALU_DEP_1) | instskip(SKIP_1) | instid1(VALU_DEP_1)
	v_cmp_class_f32_e64 vcc_lo, v10, 0x204
	v_fma_f32 v8, v4, v8, -v10
	v_fmac_f32_e32 v8, v4, v7
	s_delay_alu instid0(VALU_DEP_1) | instskip(NEXT) | instid1(VALU_DEP_1)
	v_add_f32_e32 v7, v10, v8
	v_cndmask_b32_e32 v9, v7, v10, vcc_lo
	s_delay_alu instid0(VALU_DEP_1) | instskip(SKIP_2) | instid1(VALU_DEP_2)
	v_cmp_eq_f32_e32 vcc_lo, 0x42b17218, v9
	v_cndmask_b32_e64 v11, 0, 0x37000000, vcc_lo
	v_cmp_neq_f32_e64 vcc_lo, 0x7f800000, |v9|
	v_sub_f32_e32 v12, v9, v11
	v_trunc_f32_e32 v9, v4
	v_sub_f32_e32 v7, v7, v10
	s_delay_alu instid0(VALU_DEP_3) | instskip(NEXT) | instid1(VALU_DEP_2)
	v_mul_f32_e32 v13, 0x3fb8aa3b, v12
	v_sub_f32_e32 v7, v8, v7
	s_delay_alu instid0(VALU_DEP_2) | instskip(SKIP_1) | instid1(VALU_DEP_3)
	v_fma_f32 v14, 0x3fb8aa3b, v12, -v13
	v_rndne_f32_e32 v15, v13
	v_cndmask_b32_e32 v7, 0, v7, vcc_lo
	v_cmp_ngt_f32_e32 vcc_lo, 0xc2ce8ed0, v12
	s_delay_alu instid0(VALU_DEP_3) | instskip(NEXT) | instid1(VALU_DEP_1)
	v_dual_fmac_f32 v14, 0x32a5705f, v12 :: v_dual_sub_f32 v13, v13, v15
	v_dual_add_f32 v7, v11, v7 :: v_dual_add_f32 v13, v13, v14
	s_delay_alu instid0(VALU_DEP_1)
	v_exp_f32_e32 v10, v13
	v_nop
	v_cvt_i32_f32_e32 v13, v15
	s_delay_alu instid0(TRANS32_DEP_1) | instid1(VALU_DEP_1)
	v_ldexp_f32 v8, v10, v13
	v_mul_f32_e32 v10, 0.5, v4
	s_delay_alu instid0(VALU_DEP_2) | instskip(NEXT) | instid1(VALU_DEP_2)
	v_cndmask_b32_e32 v8, 0, v8, vcc_lo
	v_trunc_f32_e32 v13, v10
	v_cmp_nlt_f32_e32 vcc_lo, 0x42b17218, v12
	s_delay_alu instid0(VALU_DEP_2) | instskip(NEXT) | instid1(VALU_DEP_4)
	v_cmp_neq_f32_e64 s3, v13, v10
	v_cndmask_b32_e32 v8, 0x7f800000, v8, vcc_lo
	v_cmp_eq_f32_e32 vcc_lo, v9, v4
	s_delay_alu instid0(VALU_DEP_2) | instskip(SKIP_1) | instid1(SALU_CYCLE_1)
	v_cmp_class_f32_e64 s4, v8, 0x204
	s_and_b32 s3, vcc_lo, s3
	v_dual_fma_f32 v7, v8, v7, v8 :: v_dual_cndmask_b32 v9, 1.0, v5, s3
	s_delay_alu instid0(VALU_DEP_1) | instskip(SKIP_2) | instid1(VALU_DEP_3)
	v_cndmask_b32_e64 v7, v7, v8, s4
	v_cndmask_b32_e64 v8, 0x7f800000, 0, s25
	v_cmp_gt_f32_e64 s4, 0, v4
	v_bfi_b32 v7, 0x7fffffff, v7, v9
	s_xor_b32 s4, s4, s5
	s_delay_alu instid0(SALU_CYCLE_1) | instskip(NEXT) | instid1(VALU_DEP_2)
	v_cndmask_b32_e64 v10, 0x7f800000, 0, s4
	v_cndmask_b32_e32 v9, 0x7fc00000, v7, vcc_lo
	v_cmp_neq_f32_e64 vcc_lo, |v5|, 1.0
	v_cndmask_b32_e32 v8, 1.0, v8, vcc_lo
	v_cmp_gt_f32_e32 vcc_lo, 0, v5
	s_delay_alu instid0(VALU_DEP_4) | instskip(SKIP_3) | instid1(VALU_DEP_4)
	v_cndmask_b32_e32 v7, v7, v9, vcc_lo
	v_cmp_class_f32_e64 vcc_lo, v4, 0x204
	v_cndmask_b32_e64 v9, 0, v5, s3
	v_cmp_class_f32_e64 s3, v5, 0x204
	v_cndmask_b32_e32 v7, v7, v8, vcc_lo
	s_delay_alu instid0(VALU_DEP_3) | instskip(SKIP_1) | instid1(VALU_DEP_1)
	v_bfi_b32 v8, 0x7fffffff, v10, v9
	s_or_b32 vcc_lo, s5, s3
	v_cndmask_b32_e32 v7, v7, v8, vcc_lo
	v_cmp_o_f32_e32 vcc_lo, v5, v4
	s_delay_alu instid0(VALU_DEP_2)
	v_cndmask_b32_e32 v4, 0x7fc00000, v7, vcc_lo
	s_cbranch_execnz .LBB224_6
	s_branch .LBB224_11
.LBB224_10:                             ;   in Loop: Header=BB224_7 Depth=1
                                        ; implicit-def: $vgpr4
.LBB224_11:                             ;   in Loop: Header=BB224_7 Depth=1
	s_delay_alu instid0(VALU_DEP_1)
	v_mul_f32_e32 v4, v3, v3
	s_branch .LBB224_6
.LBB224_12:
	s_or_b32 exec_lo, exec_lo, s23
.LBB224_13:
	s_delay_alu instid0(SALU_CYCLE_1)
	s_or_b32 exec_lo, exec_lo, s19
; %bb.14:
	v_mbcnt_lo_u32_b32 v7, -1, 0
	s_mov_b32 s3, exec_lo
	s_barrier_signal -1
	s_barrier_wait -1
	s_delay_alu instid0(VALU_DEP_1) | instskip(SKIP_4) | instid1(VALU_DEP_2)
	v_lshl_or_b32 v2, v7, 2, 64
	v_cmp_gt_u32_e32 vcc_lo, 24, v7
	ds_bpermute_b32 v4, v2, v6
	v_cndmask_b32_e64 v3, 0, 8, vcc_lo
	v_cmp_gt_u32_e32 vcc_lo, 28, v7
	v_add_lshl_u32 v3, v3, v7, 2
	s_wait_dscnt 0x0
	v_add_f32_e32 v5, v6, v4
	v_cndmask_b32_e64 v4, 0, 4, vcc_lo
	v_cmp_gt_u32_e32 vcc_lo, 30, v7
	ds_bpermute_b32 v6, v3, v5
	v_add_lshl_u32 v4, v4, v7, 2
	s_wait_dscnt 0x0
	v_add_f32_e32 v6, v5, v6
	v_cndmask_b32_e64 v5, 0, 2, vcc_lo
	v_cmp_ne_u32_e32 vcc_lo, 31, v7
	ds_bpermute_b32 v8, v4, v6
	v_add_lshl_u32 v5, v5, v7, 2
	v_add_co_ci_u32_e64 v9, null, 0, v7, vcc_lo
	s_wait_dscnt 0x0
	v_add_f32_e32 v6, v6, v8
	ds_bpermute_b32 v8, v5, v6
	s_wait_dscnt 0x0
	v_dual_add_f32 v7, v6, v8 :: v_dual_lshlrev_b32 v6, 2, v9
	v_and_b32_e32 v8, 31, v0
	ds_bpermute_b32 v9, v6, v7
	v_cmpx_eq_u32_e32 0, v8
	s_cbranch_execz .LBB224_16
; %bb.15:
	s_wait_dscnt 0x0
	v_dual_add_f32 v7, v7, v9 :: v_dual_lshrrev_b32 v10, 3, v0
	s_delay_alu instid0(VALU_DEP_1)
	v_add_nc_u32_e32 v9, 0, v10
	ds_store_b32 v9, v7
.LBB224_16:
	s_or_b32 exec_lo, exec_lo, s3
	s_wait_dscnt 0x0
	s_barrier_signal -1
	s_barrier_wait -1
	s_load_b32 s4, s[0:1], 0x4c
	v_mov_b32_e32 v7, 0
	s_wait_kmcnt 0x0
	s_bfe_u32 s0, s4, 0xb0005
	s_delay_alu instid0(SALU_CYCLE_1)
	v_cmp_gt_u32_e32 vcc_lo, s0, v0
	s_and_saveexec_b32 s0, vcc_lo
; %bb.17:
	v_lshl_add_u32 v7, v8, 2, 0
	ds_load_b32 v7, v7
; %bb.18:
	s_or_b32 exec_lo, exec_lo, s0
	s_delay_alu instid0(SALU_CYCLE_1)
	s_mov_b32 s0, exec_lo
	v_cmpx_gt_u32_e32 32, v0
	s_cbranch_execz .LBB224_20
; %bb.19:
	s_wait_dscnt 0x0
	ds_bpermute_b32 v2, v2, v7
	s_wait_dscnt 0x0
	v_add_f32_e32 v2, v7, v2
	ds_bpermute_b32 v3, v3, v2
	s_wait_dscnt 0x0
	v_add_f32_e32 v2, v2, v3
	;; [unrolled: 3-line block ×5, first 2 shown]
.LBB224_20:
	s_or_b32 exec_lo, exec_lo, s0
	s_delay_alu instid0(SALU_CYCLE_1)
	s_mov_b32 s5, exec_lo
	v_cmpx_eq_u32_e32 0, v0
	s_cbranch_execz .LBB224_22
; %bb.21:
	v_div_scale_f32 v2, null, s11, s11, 1.0
	v_div_scale_f32 v5, vcc_lo, 1.0, s11, 1.0
	s_mov_b32 s0, 0x3e76c4e1
	v_rcp_f32_e32 v3, v2
	v_nop
	v_xor_b32_e32 v2, 0x80000000, v2
	s_delay_alu instid0(TRANS32_DEP_1) | instid1(VALU_DEP_1)
	v_fma_f32 v4, v2, v3, 1.0
	s_delay_alu instid0(VALU_DEP_1) | instskip(NEXT) | instid1(VALU_DEP_1)
	v_fmac_f32_e32 v3, v4, v3
	v_mul_f32_e32 v4, v5, v3
	s_delay_alu instid0(VALU_DEP_1) | instskip(NEXT) | instid1(VALU_DEP_1)
	v_fma_f32 v6, v2, v4, v5
	v_fmac_f32_e32 v4, v6, v3
	s_delay_alu instid0(VALU_DEP_1) | instskip(NEXT) | instid1(VALU_DEP_1)
	v_fmac_f32_e32 v5, v2, v4
	v_div_fmas_f32 v2, v5, v3, v4
	s_wait_dscnt 0x0
	v_cmp_neq_f32_e32 vcc_lo, 1.0, v7
	s_delay_alu instid0(VALU_DEP_2) | instskip(NEXT) | instid1(VALU_DEP_1)
	v_div_fixup_f32 v2, v2, s11, 1.0
	v_cndmask_b32_e32 v2, 1.0, v2, vcc_lo
	s_delay_alu instid0(VALU_DEP_1) | instskip(SKIP_2) | instid1(VALU_DEP_1)
	v_cmp_neq_f32_e32 vcc_lo, 0, v2
	v_cmp_neq_f32_e64 s11, v2, |v2|
	v_cndmask_b32_e32 v3, 1.0, v7, vcc_lo
	v_frexp_mant_f32_e64 v4, |v3|
	v_cmp_lt_f32_e64 s12, |v3|, 1.0
	v_cmp_eq_f32_e64 s3, 0, v3
	s_delay_alu instid0(VALU_DEP_3) | instskip(SKIP_2) | instid1(VALU_DEP_1)
	v_cmp_gt_f32_e32 vcc_lo, 0x3f2aaaab, v4
	s_xor_b32 s11, s11, s12
	v_cndmask_b32_e64 v5, 1.0, 2.0, vcc_lo
	v_mul_f32_e32 v4, v4, v5
	s_delay_alu instid0(VALU_DEP_1) | instskip(NEXT) | instid1(VALU_DEP_1)
	v_add_f32_e32 v7, 1.0, v4
	v_dual_add_f32 v8, -1.0, v7 :: v_dual_add_f32 v5, -1.0, v4
	v_rcp_f32_e32 v10, v7
	v_nop
	s_delay_alu instid0(TRANS32_DEP_1) | instskip(NEXT) | instid1(VALU_DEP_1)
	v_dual_sub_f32 v4, v4, v8 :: v_dual_mul_f32 v11, v5, v10
	v_mul_f32_e32 v6, v7, v11
	s_delay_alu instid0(VALU_DEP_1) | instskip(NEXT) | instid1(VALU_DEP_1)
	v_fma_f32 v8, v11, v7, -v6
	v_fmac_f32_e32 v8, v11, v4
	s_delay_alu instid0(VALU_DEP_1) | instskip(NEXT) | instid1(VALU_DEP_1)
	v_add_f32_e32 v4, v6, v8
	v_dual_sub_f32 v7, v5, v4 :: v_dual_mov_b32 v9, v4
	s_delay_alu instid0(VALU_DEP_1) | instskip(NEXT) | instid1(VALU_DEP_1)
	v_pk_add_f32 v[4:5], v[4:5], v[6:7] neg_lo:[0,1] neg_hi:[0,1]
	v_pk_add_f32 v[4:5], v[4:5], v[8:9] neg_lo:[0,1] neg_hi:[0,1]
	s_delay_alu instid0(VALU_DEP_1) | instskip(NEXT) | instid1(VALU_DEP_1)
	v_add_f32_e32 v4, v4, v5
	v_add_f32_e32 v4, v7, v4
	s_delay_alu instid0(VALU_DEP_1) | instskip(NEXT) | instid1(VALU_DEP_1)
	v_mul_f32_e32 v5, v10, v4
	v_add_f32_e32 v4, v11, v5
	s_delay_alu instid0(VALU_DEP_1) | instskip(NEXT) | instid1(VALU_DEP_1)
	v_sub_f32_e32 v6, v4, v11
	v_sub_f32_e32 v16, v5, v6
	s_delay_alu instid0(VALU_DEP_1) | instskip(SKIP_1) | instid1(VALU_DEP_1)
	v_add_f32_e32 v6, v16, v16
	v_mul_f32_e32 v7, v4, v4
	v_fma_f32 v5, v4, v4, -v7
	s_delay_alu instid0(VALU_DEP_1) | instskip(NEXT) | instid1(VALU_DEP_1)
	v_fmac_f32_e32 v5, v4, v6
	v_add_f32_e32 v6, v7, v5
	s_delay_alu instid0(VALU_DEP_1) | instskip(NEXT) | instid1(VALU_DEP_1)
	v_dual_fmaak_f32 v8, s0, v6, 0x3e91f4c4 :: v_dual_sub_f32 v7, v6, v7
	v_fmaak_f32 v10, v6, v8, 0x3ecccdef
	v_cvt_f64_f32_e64 v[8:9], |v3|
	s_delay_alu instid0(VALU_DEP_2) | instskip(NEXT) | instid1(VALU_DEP_1)
	v_dual_mul_f32 v11, v6, v10 :: v_dual_sub_f32 v14, v5, v7
	v_fma_f32 v5, v6, v10, -v11
	s_delay_alu instid0(VALU_DEP_1) | instskip(NEXT) | instid1(VALU_DEP_1)
	v_fmac_f32_e32 v5, v14, v10
	v_add_f32_e32 v7, v11, v5
	s_delay_alu instid0(VALU_DEP_1) | instskip(SKIP_1) | instid1(VALU_DEP_1)
	v_sub_f32_e32 v10, v7, v11
	v_add_f32_e32 v11, 0x3f2aaaaa, v7
	v_dual_sub_f32 v5, v5, v10 :: v_dual_add_f32 v10, 0xbf2aaaaa, v11
	v_frexp_exp_i32_f64_e32 v15, v[8:9]
	s_delay_alu instid0(VALU_DEP_2) | instskip(NEXT) | instid1(VALU_DEP_3)
	v_add_f32_e32 v5, 0x31739010, v5
	v_sub_f32_e32 v7, v7, v10
	s_delay_alu instid0(VALU_DEP_1) | instskip(NEXT) | instid1(VALU_DEP_1)
	v_pk_mul_f32 v[8:9], v[4:5], v[6:7]
	v_fma_f32 v10, v6, v4, -v8
	s_delay_alu instid0(VALU_DEP_1) | instskip(NEXT) | instid1(VALU_DEP_1)
	v_fmac_f32_e32 v10, v6, v16
	v_fmac_f32_e32 v10, v14, v4
	v_pk_add_f32 v[12:13], v[4:5], v[6:7]
	s_delay_alu instid0(VALU_DEP_1) | instskip(SKIP_1) | instid1(VALU_DEP_2)
	v_mov_b32_e32 v9, v13
	v_subrev_co_ci_u32_e64 v5, null, 0, v15, vcc_lo
	v_pk_add_f32 v[6:7], v[8:9], v[10:11]
	s_delay_alu instid0(VALU_DEP_2) | instskip(NEXT) | instid1(VALU_DEP_2)
	v_cvt_f32_i32_e32 v5, v5
	v_mov_b32_e32 v12, v7
	s_delay_alu instid0(VALU_DEP_3) | instskip(NEXT) | instid1(VALU_DEP_2)
	v_dual_sub_f32 v9, v11, v7 :: v_dual_sub_f32 v11, v6, v8
	v_pk_mul_f32 v[14:15], v[6:7], v[12:13]
	s_delay_alu instid0(VALU_DEP_2) | instskip(NEXT) | instid1(VALU_DEP_2)
	v_sub_f32_e32 v10, v10, v11
	v_dual_fma_f32 v8, v6, v7, -v14 :: v_dual_add_f32 v9, v13, v9
	s_delay_alu instid0(VALU_DEP_1) | instskip(NEXT) | instid1(VALU_DEP_1)
	v_fmac_f32_e32 v8, v6, v9
	v_fmac_f32_e32 v8, v10, v7
	v_mul_f32_e32 v12, 0x3f317218, v5
	v_ldexp_f32 v7, v4, 1
	s_delay_alu instid0(VALU_DEP_3) | instskip(NEXT) | instid1(VALU_DEP_3)
	v_add_f32_e32 v13, v14, v8
	v_fma_f32 v6, 0x3f317218, v5, -v12
	s_delay_alu instid0(VALU_DEP_2) | instskip(NEXT) | instid1(VALU_DEP_2)
	v_dual_mov_b32 v15, v7 :: v_dual_mov_b32 v10, v13
	v_fmamk_f32 v6, v5, 0xb102e308, v6
	s_delay_alu instid0(VALU_DEP_1) | instskip(SKIP_1) | instid1(VALU_DEP_2)
	v_pk_add_f32 v[4:5], v[12:13], v[6:7]
	v_ldexp_f32 v7, v16, 1
	v_dual_mov_b32 v9, v13 :: v_dual_mov_b32 v11, v5
	s_delay_alu instid0(VALU_DEP_1) | instskip(NEXT) | instid1(VALU_DEP_1)
	v_pk_add_f32 v[10:11], v[10:11], v[14:15] neg_lo:[0,1] neg_hi:[0,1]
	v_pk_add_f32 v[8:9], v[8:9], v[10:11] neg_lo:[0,1] neg_hi:[0,1]
	s_delay_alu instid0(VALU_DEP_1) | instskip(NEXT) | instid1(VALU_DEP_1)
	v_add_f32_e32 v7, v7, v8
	v_dual_add_f32 v13, v7, v9 :: v_dual_mov_b32 v7, v4
	s_delay_alu instid0(VALU_DEP_1) | instskip(SKIP_1) | instid1(VALU_DEP_2)
	v_pk_add_f32 v[8:9], v[4:5], v[12:13]
	v_pk_add_f32 v[10:11], v[4:5], v[12:13] neg_lo:[0,1] neg_hi:[0,1]
	v_dual_mov_b32 v18, v5 :: v_dual_mov_b32 v11, v9
	s_delay_alu instid0(VALU_DEP_1) | instskip(NEXT) | instid1(VALU_DEP_1)
	v_pk_add_f32 v[14:15], v[6:7], v[10:11]
	v_dual_mov_b32 v14, v9 :: v_dual_mov_b32 v12, v15
	v_pk_add_f32 v[6:7], v[6:7], v[10:11] neg_lo:[0,1] neg_hi:[0,1]
	s_delay_alu instid0(VALU_DEP_2) | instskip(SKIP_1) | instid1(VALU_DEP_2)
	v_pk_add_f32 v[16:17], v[12:13], v[4:5] neg_lo:[0,1] neg_hi:[0,1]
	v_dual_mov_b32 v5, v4 :: v_dual_mov_b32 v4, v13
	v_dual_mov_b32 v13, v16 :: v_dual_mov_b32 v19, v16
	s_delay_alu instid0(VALU_DEP_1) | instskip(NEXT) | instid1(VALU_DEP_2)
	v_pk_add_f32 v[8:9], v[8:9], v[12:13] neg_lo:[0,1] neg_hi:[0,1]
	v_pk_add_f32 v[10:11], v[14:15], v[18:19] neg_lo:[0,1] neg_hi:[0,1]
	v_mov_b32_e32 v8, v6
	s_delay_alu instid0(VALU_DEP_2) | instskip(NEXT) | instid1(VALU_DEP_1)
	v_pk_add_f32 v[4:5], v[4:5], v[10:11] neg_lo:[0,1] neg_hi:[0,1]
	v_pk_add_f32 v[8:9], v[8:9], v[4:5]
	s_delay_alu instid0(VALU_DEP_1) | instskip(NEXT) | instid1(VALU_DEP_1)
	v_mov_b32_e32 v10, v9
	v_pk_add_f32 v[10:11], v[8:9], v[10:11]
	s_delay_alu instid0(VALU_DEP_1) | instskip(NEXT) | instid1(VALU_DEP_1)
	v_pk_add_f32 v[12:13], v[12:13], v[10:11]
	v_dual_mov_b32 v7, v15 :: v_dual_mov_b32 v9, v12
	s_delay_alu instid0(VALU_DEP_1) | instskip(NEXT) | instid1(VALU_DEP_1)
	v_pk_add_f32 v[14:15], v[8:9], v[6:7] neg_lo:[0,1] neg_hi:[0,1]
	v_dual_mov_b32 v5, v10 :: v_dual_sub_f32 v7, v8, v14
	s_delay_alu instid0(VALU_DEP_1) | instskip(NEXT) | instid1(VALU_DEP_2)
	v_pk_add_f32 v[4:5], v[4:5], v[14:15] neg_lo:[0,1] neg_hi:[0,1]
	v_sub_f32_e32 v6, v6, v7
	s_delay_alu instid0(VALU_DEP_1) | instskip(NEXT) | instid1(VALU_DEP_1)
	v_add_f32_e32 v4, v4, v6
	v_add_f32_e32 v4, v4, v5
	s_delay_alu instid0(VALU_DEP_1) | instskip(NEXT) | instid1(VALU_DEP_1)
	v_add_f32_e32 v5, v12, v4
	v_dual_sub_f32 v6, v5, v12 :: v_dual_mul_f32 v7, v2, v5
	s_delay_alu instid0(VALU_DEP_1) | instskip(NEXT) | instid1(VALU_DEP_2)
	v_sub_f32_e32 v4, v4, v6
	v_cmp_class_f32_e64 vcc_lo, v7, 0x204
	v_fma_f32 v5, v2, v5, -v7
	s_delay_alu instid0(VALU_DEP_1) | instskip(NEXT) | instid1(VALU_DEP_1)
	v_fmac_f32_e32 v5, v2, v4
	v_add_f32_e32 v4, v7, v5
	s_delay_alu instid0(VALU_DEP_1) | instskip(NEXT) | instid1(VALU_DEP_1)
	v_cndmask_b32_e32 v6, v4, v7, vcc_lo
	v_cmp_eq_f32_e32 vcc_lo, 0x42b17218, v6
	v_cndmask_b32_e64 v8, 0, 0x37000000, vcc_lo
	v_cmp_neq_f32_e64 vcc_lo, 0x7f800000, |v6|
	s_delay_alu instid0(VALU_DEP_2) | instskip(SKIP_1) | instid1(VALU_DEP_2)
	v_dual_sub_f32 v9, v6, v8 :: v_dual_sub_f32 v4, v4, v7
	v_trunc_f32_e32 v6, v2
	v_mul_f32_e32 v10, 0x3fb8aa3b, v9
	s_delay_alu instid0(VALU_DEP_3) | instskip(NEXT) | instid1(VALU_DEP_2)
	v_sub_f32_e32 v4, v5, v4
	v_fma_f32 v11, 0x3fb8aa3b, v9, -v10
	v_rndne_f32_e32 v12, v10
	s_delay_alu instid0(VALU_DEP_3) | instskip(SKIP_1) | instid1(VALU_DEP_3)
	v_cndmask_b32_e32 v4, 0, v4, vcc_lo
	v_cmp_ngt_f32_e32 vcc_lo, 0xc2ce8ed0, v9
	v_dual_fmamk_f32 v11, v9, 0x32a5705f, v11 :: v_dual_sub_f32 v10, v10, v12
	s_delay_alu instid0(VALU_DEP_1) | instskip(NEXT) | instid1(VALU_DEP_1)
	v_dual_add_f32 v4, v8, v4 :: v_dual_add_f32 v10, v10, v11
	v_exp_f32_e32 v7, v10
	v_nop
	v_cvt_i32_f32_e32 v10, v12
	s_delay_alu instid0(TRANS32_DEP_1) | instid1(VALU_DEP_1)
	v_ldexp_f32 v5, v7, v10
	s_delay_alu instid0(VALU_DEP_1) | instskip(NEXT) | instid1(VALU_DEP_1)
	v_dual_mul_f32 v7, 0.5, v2 :: v_dual_cndmask_b32 v5, 0, v5, vcc_lo
	v_trunc_f32_e32 v10, v7
	v_cmp_nlt_f32_e32 vcc_lo, 0x42b17218, v9
	s_delay_alu instid0(VALU_DEP_2) | instskip(NEXT) | instid1(VALU_DEP_4)
	v_cmp_neq_f32_e64 s0, v10, v7
	v_cndmask_b32_e32 v5, 0x7f800000, v5, vcc_lo
	v_cmp_eq_f32_e32 vcc_lo, v6, v2
	s_delay_alu instid0(VALU_DEP_2) | instskip(SKIP_1) | instid1(SALU_CYCLE_1)
	v_cmp_class_f32_e64 s1, v5, 0x204
	s_and_b32 s0, vcc_lo, s0
	v_dual_fma_f32 v4, v5, v4, v5 :: v_dual_cndmask_b32 v6, 1.0, v3, s0
	s_delay_alu instid0(VALU_DEP_1) | instskip(SKIP_2) | instid1(VALU_DEP_3)
	v_cndmask_b32_e64 v4, v4, v5, s1
	v_cndmask_b32_e64 v5, 0x7f800000, 0, s11
	v_cmp_gt_f32_e64 s1, 0, v2
	v_bfi_b32 v4, 0x7fffffff, v4, v6
	s_xor_b32 s1, s1, s3
	s_delay_alu instid0(SALU_CYCLE_1) | instskip(NEXT) | instid1(VALU_DEP_2)
	v_cndmask_b32_e64 v6, 0x7f800000, 0, s1
	v_cndmask_b32_e32 v7, 0x7fc00000, v4, vcc_lo
	v_cmp_neq_f32_e64 vcc_lo, |v3|, 1.0
	v_cndmask_b32_e32 v5, 1.0, v5, vcc_lo
	v_cmp_gt_f32_e32 vcc_lo, 0, v3
	s_delay_alu instid0(VALU_DEP_4) | instskip(SKIP_3) | instid1(VALU_DEP_4)
	v_cndmask_b32_e32 v4, v4, v7, vcc_lo
	v_cmp_class_f32_e64 vcc_lo, v2, 0x204
	v_cndmask_b32_e64 v8, 0, v3, s0
	v_cmp_class_f32_e64 s0, v3, 0x204
	v_cndmask_b32_e32 v4, v4, v5, vcc_lo
	s_delay_alu instid0(VALU_DEP_3) | instskip(SKIP_1) | instid1(VALU_DEP_1)
	v_bfi_b32 v6, 0x7fffffff, v6, v8
	s_or_b32 vcc_lo, s3, s0
	v_cndmask_b32_e32 v4, v4, v6, vcc_lo
	v_cmp_o_f32_e32 vcc_lo, v3, v2
	s_delay_alu instid0(VALU_DEP_2)
	v_dual_mov_b32 v3, 0 :: v_dual_cndmask_b32 v2, 0x7fc00000, v4
	ds_store_b32 v3, v2
.LBB224_22:
	s_or_b32 exec_lo, exec_lo, s5
	v_mov_b32_e32 v2, 0
	s_wait_dscnt 0x0
	s_barrier_signal -1
	s_barrier_wait -1
	ds_load_b32 v2, v2
	s_mov_b32 s1, 0
	s_wait_dscnt 0x0
	v_readfirstlane_b32 s0, v2
	s_cmp_gt_f32 s0, s10
	s_cselect_b32 s0, -1, 0
	s_xor_b32 s2, s2, -1
	s_delay_alu instid0(SALU_CYCLE_1) | instskip(NEXT) | instid1(SALU_CYCLE_1)
	s_and_b32 s0, s0, s2
	s_and_saveexec_b32 s5, s0
	s_cbranch_execz .LBB224_25
; %bb.23:
	v_cvt_f64_f32_e32 v[2:3], v2
	v_cvt_f64_f32_e32 v[4:5], s10
	s_and_b32 s4, 0xffff, s4
	s_lshl_b64 s[2:3], s[6:7], 1
	s_delay_alu instid0(SALU_CYCLE_1) | instskip(NEXT) | instid1(VALU_DEP_2)
	s_add_nc_u64 s[2:3], s[16:17], s[2:3]
	v_add_f64_e32 v[2:3], 0x3e7ad7f29abcaf48, v[2:3]
	s_delay_alu instid0(VALU_DEP_1) | instskip(SKIP_1) | instid1(VALU_DEP_2)
	v_div_scale_f64 v[6:7], null, v[2:3], v[2:3], v[4:5]
	v_div_scale_f64 v[12:13], vcc_lo, v[4:5], v[2:3], v[4:5]
	v_rcp_f64_e32 v[8:9], v[6:7]
	v_nop
	s_delay_alu instid0(TRANS32_DEP_1) | instskip(NEXT) | instid1(VALU_DEP_1)
	v_fma_f64 v[10:11], -v[6:7], v[8:9], 1.0
	v_fmac_f64_e32 v[8:9], v[8:9], v[10:11]
	s_delay_alu instid0(VALU_DEP_1) | instskip(NEXT) | instid1(VALU_DEP_1)
	v_fma_f64 v[10:11], -v[6:7], v[8:9], 1.0
	v_fmac_f64_e32 v[8:9], v[8:9], v[10:11]
	s_delay_alu instid0(VALU_DEP_1) | instskip(NEXT) | instid1(VALU_DEP_1)
	v_mul_f64_e32 v[10:11], v[12:13], v[8:9]
	v_fma_f64 v[6:7], -v[6:7], v[10:11], v[12:13]
	s_delay_alu instid0(VALU_DEP_1) | instskip(NEXT) | instid1(VALU_DEP_1)
	v_div_fmas_f64 v[6:7], v[6:7], v[8:9], v[10:11]
	v_div_fixup_f64 v[2:3], v[6:7], v[2:3], v[4:5]
	s_delay_alu instid0(VALU_DEP_1) | instskip(NEXT) | instid1(VALU_DEP_1)
	v_cvt_f32_f64_e32 v2, v[2:3]
	v_bfe_u32 v3, v2, 16, 1
	v_cmp_o_f32_e32 vcc_lo, v2, v2
	s_delay_alu instid0(VALU_DEP_2) | instskip(NEXT) | instid1(VALU_DEP_1)
	v_dual_add_nc_u32 v3, v2, v3 :: v_dual_add_nc_u32 v2, s4, v0
	v_add_nc_u32_e32 v3, 0x7fff, v3
	s_delay_alu instid0(VALU_DEP_1) | instskip(NEXT) | instid1(VALU_DEP_1)
	v_and_b32_e32 v3, 0xffff0000, v3
	v_cndmask_b32_e32 v4, 0x7fc00000, v3, vcc_lo
.LBB224_24:                             ; =>This Inner Loop Header: Depth=1
	v_mul_u64_e32 v[0:1], s[14:15], v[0:1]
	v_ashrrev_i32_e32 v3, 31, v2
	s_delay_alu instid0(VALU_DEP_1) | instskip(SKIP_1) | instid1(VALU_DEP_3)
	v_cmp_le_i64_e32 vcc_lo, s[8:9], v[2:3]
	s_or_b32 s1, vcc_lo, s1
	v_lshl_add_u64 v[6:7], v[0:1], 1, s[2:3]
	global_load_u16 v0, v[6:7], off
	s_wait_loadcnt 0x0
	v_lshlrev_b32_e32 v0, 16, v0
	s_delay_alu instid0(VALU_DEP_1) | instskip(NEXT) | instid1(VALU_DEP_1)
	v_mul_f32_e32 v5, v4, v0
	v_bfe_u32 v0, v5, 16, 1
	s_delay_alu instid0(VALU_DEP_1) | instskip(NEXT) | instid1(VALU_DEP_1)
	v_add3_u32 v0, v5, v0, 0x7fff
	v_lshrrev_b32_e32 v8, 16, v0
	v_cmp_o_f32_e64 s0, v5, v5
	v_mov_b64_e32 v[0:1], v[2:3]
	v_add_nc_u32_e32 v2, s4, v2
	s_delay_alu instid0(VALU_DEP_3)
	v_cndmask_b32_e64 v3, 0x7fc0, v8, s0
	global_store_b16 v[6:7], v3, off
	s_wait_xcnt 0x0
	s_and_not1_b32 exec_lo, exec_lo, s1
	s_cbranch_execnz .LBB224_24
.LBB224_25:
	s_or_b32 exec_lo, exec_lo, s5
.LBB224_26:
	s_delay_alu instid0(SALU_CYCLE_1)
	s_and_b32 vcc_lo, exec_lo, s18
	s_cbranch_vccnz .LBB224_29
.LBB224_27:
	s_endpgm
.LBB224_28:
	s_cbranch_execz .LBB224_27
.LBB224_29:
	s_trap 2
	; divergent unreachable
	s_endpgm
	.section	.rodata,"a",@progbits
	.p2align	6, 0x0
	.amdhsa_kernel _ZN2at6native12_GLOBAL__N_113renorm_kernelIN3c108BFloat16EfKiEEvPT_PT1_T0_SA_llllPKl
		.amdhsa_group_segment_fixed_size 0
		.amdhsa_private_segment_fixed_size 0
		.amdhsa_kernarg_size 320
		.amdhsa_user_sgpr_count 2
		.amdhsa_user_sgpr_dispatch_ptr 0
		.amdhsa_user_sgpr_queue_ptr 0
		.amdhsa_user_sgpr_kernarg_segment_ptr 1
		.amdhsa_user_sgpr_dispatch_id 0
		.amdhsa_user_sgpr_kernarg_preload_length 0
		.amdhsa_user_sgpr_kernarg_preload_offset 0
		.amdhsa_user_sgpr_private_segment_size 0
		.amdhsa_wavefront_size32 1
		.amdhsa_uses_dynamic_stack 0
		.amdhsa_enable_private_segment 0
		.amdhsa_system_sgpr_workgroup_id_x 1
		.amdhsa_system_sgpr_workgroup_id_y 0
		.amdhsa_system_sgpr_workgroup_id_z 0
		.amdhsa_system_sgpr_workgroup_info 0
		.amdhsa_system_vgpr_workitem_id 0
		.amdhsa_next_free_vgpr 24
		.amdhsa_next_free_sgpr 27
		.amdhsa_named_barrier_count 0
		.amdhsa_reserve_vcc 1
		.amdhsa_float_round_mode_32 0
		.amdhsa_float_round_mode_16_64 0
		.amdhsa_float_denorm_mode_32 3
		.amdhsa_float_denorm_mode_16_64 3
		.amdhsa_fp16_overflow 0
		.amdhsa_memory_ordered 1
		.amdhsa_forward_progress 1
		.amdhsa_inst_pref_size 32
		.amdhsa_round_robin_scheduling 0
		.amdhsa_exception_fp_ieee_invalid_op 0
		.amdhsa_exception_fp_denorm_src 0
		.amdhsa_exception_fp_ieee_div_zero 0
		.amdhsa_exception_fp_ieee_overflow 0
		.amdhsa_exception_fp_ieee_underflow 0
		.amdhsa_exception_fp_ieee_inexact 0
		.amdhsa_exception_int_div_zero 0
	.end_amdhsa_kernel
	.section	.text._ZN2at6native12_GLOBAL__N_113renorm_kernelIN3c108BFloat16EfKiEEvPT_PT1_T0_SA_llllPKl,"axG",@progbits,_ZN2at6native12_GLOBAL__N_113renorm_kernelIN3c108BFloat16EfKiEEvPT_PT1_T0_SA_llllPKl,comdat
.Lfunc_end224:
	.size	_ZN2at6native12_GLOBAL__N_113renorm_kernelIN3c108BFloat16EfKiEEvPT_PT1_T0_SA_llllPKl, .Lfunc_end224-_ZN2at6native12_GLOBAL__N_113renorm_kernelIN3c108BFloat16EfKiEEvPT_PT1_T0_SA_llllPKl
                                        ; -- End function
	.set _ZN2at6native12_GLOBAL__N_113renorm_kernelIN3c108BFloat16EfKiEEvPT_PT1_T0_SA_llllPKl.num_vgpr, 24
	.set _ZN2at6native12_GLOBAL__N_113renorm_kernelIN3c108BFloat16EfKiEEvPT_PT1_T0_SA_llllPKl.num_agpr, 0
	.set _ZN2at6native12_GLOBAL__N_113renorm_kernelIN3c108BFloat16EfKiEEvPT_PT1_T0_SA_llllPKl.numbered_sgpr, 27
	.set _ZN2at6native12_GLOBAL__N_113renorm_kernelIN3c108BFloat16EfKiEEvPT_PT1_T0_SA_llllPKl.num_named_barrier, 0
	.set _ZN2at6native12_GLOBAL__N_113renorm_kernelIN3c108BFloat16EfKiEEvPT_PT1_T0_SA_llllPKl.private_seg_size, 0
	.set _ZN2at6native12_GLOBAL__N_113renorm_kernelIN3c108BFloat16EfKiEEvPT_PT1_T0_SA_llllPKl.uses_vcc, 1
	.set _ZN2at6native12_GLOBAL__N_113renorm_kernelIN3c108BFloat16EfKiEEvPT_PT1_T0_SA_llllPKl.uses_flat_scratch, 0
	.set _ZN2at6native12_GLOBAL__N_113renorm_kernelIN3c108BFloat16EfKiEEvPT_PT1_T0_SA_llllPKl.has_dyn_sized_stack, 0
	.set _ZN2at6native12_GLOBAL__N_113renorm_kernelIN3c108BFloat16EfKiEEvPT_PT1_T0_SA_llllPKl.has_recursion, 0
	.set _ZN2at6native12_GLOBAL__N_113renorm_kernelIN3c108BFloat16EfKiEEvPT_PT1_T0_SA_llllPKl.has_indirect_call, 0
	.section	.AMDGPU.csdata,"",@progbits
; Kernel info:
; codeLenInByte = 4064
; TotalNumSgprs: 29
; NumVgprs: 24
; ScratchSize: 0
; MemoryBound: 0
; FloatMode: 240
; IeeeMode: 1
; LDSByteSize: 0 bytes/workgroup (compile time only)
; SGPRBlocks: 0
; VGPRBlocks: 1
; NumSGPRsForWavesPerEU: 29
; NumVGPRsForWavesPerEU: 24
; NamedBarCnt: 0
; Occupancy: 16
; WaveLimiterHint : 1
; COMPUTE_PGM_RSRC2:SCRATCH_EN: 0
; COMPUTE_PGM_RSRC2:USER_SGPR: 2
; COMPUTE_PGM_RSRC2:TRAP_HANDLER: 0
; COMPUTE_PGM_RSRC2:TGID_X_EN: 1
; COMPUTE_PGM_RSRC2:TGID_Y_EN: 0
; COMPUTE_PGM_RSRC2:TGID_Z_EN: 0
; COMPUTE_PGM_RSRC2:TIDIG_COMP_CNT: 0
	.section	.text._ZN2at6native12_GLOBAL__N_136embedding_renorm_wrap_indices_kernelIlEEvPKT_PS3_ll,"axG",@progbits,_ZN2at6native12_GLOBAL__N_136embedding_renorm_wrap_indices_kernelIlEEvPKT_PS3_ll,comdat
	.globl	_ZN2at6native12_GLOBAL__N_136embedding_renorm_wrap_indices_kernelIlEEvPKT_PS3_ll ; -- Begin function _ZN2at6native12_GLOBAL__N_136embedding_renorm_wrap_indices_kernelIlEEvPKT_PS3_ll
	.p2align	8
	.type	_ZN2at6native12_GLOBAL__N_136embedding_renorm_wrap_indices_kernelIlEEvPKT_PS3_ll,@function
_ZN2at6native12_GLOBAL__N_136embedding_renorm_wrap_indices_kernelIlEEvPKT_PS3_ll: ; @_ZN2at6native12_GLOBAL__N_136embedding_renorm_wrap_indices_kernelIlEEvPKT_PS3_ll
; %bb.0:
	s_load_b32 s2, s[0:1], 0x2c
	s_bfe_u32 s12, ttmp6, 0x4000c
	s_load_b256 s[4:11], s[0:1], 0x0
	s_add_co_i32 s12, s12, 1
	s_and_b32 s3, ttmp6, 15
	s_wait_xcnt 0x0
	s_mul_i32 s1, ttmp9, s12
	s_getreg_b32 s0, hwreg(HW_REG_IB_STS2, 6, 4)
	v_mov_b32_e32 v1, 0
	s_add_co_i32 s3, s3, s1
	s_wait_kmcnt 0x0
	s_and_b32 s2, s2, 0xffff
	s_cmp_eq_u32 s0, 0
	s_cselect_b32 s0, ttmp9, s3
	s_delay_alu instid0(SALU_CYCLE_1) | instskip(SKIP_1) | instid1(VALU_DEP_1)
	v_mad_nc_u64_u32 v[0:1], s2, s0, v[0:1]
	s_mov_b32 s0, exec_lo
	v_cmpx_gt_i64_e64 s[8:9], v[0:1]
	s_cbranch_execz .LBB225_6
; %bb.1:
	v_lshl_add_u64 v[2:3], v[0:1], 3, s[4:5]
	s_sub_nc_u64 s[0:1], 0, s[10:11]
	global_load_b64 v[2:3], v[2:3], off
	s_wait_loadcnt 0x0
	v_cmp_le_i64_e32 vcc_lo, s[0:1], v[2:3]
	s_mov_b32 s1, -1
	s_and_saveexec_b32 s0, vcc_lo
	s_cbranch_execz .LBB225_5
; %bb.2:
	v_cmp_le_i64_e32 vcc_lo, s[10:11], v[2:3]
	s_get_pc_i64 s[2:3]
	s_add_nc_u64 s[2:3], s[2:3], .str.5@rel64+4
	s_delay_alu instid0(SALU_CYCLE_1) | instskip(SKIP_1) | instid1(SALU_CYCLE_1)
	s_cmp_eq_u64 s[2:3], 0
	s_cselect_b32 s1, -1, 0
	s_or_b32 s1, vcc_lo, s1
	s_delay_alu instid0(SALU_CYCLE_1) | instskip(NEXT) | instid1(SALU_CYCLE_1)
	s_xor_b32 s3, s1, -1
	s_and_saveexec_b32 s2, s3
; %bb.3:
	v_ashrrev_i32_e32 v4, 31, v3
	v_lshl_add_u64 v[0:1], v[0:1], 3, s[6:7]
	s_delay_alu instid0(VALU_DEP_2) | instskip(SKIP_1) | instid1(VALU_DEP_1)
	v_and_b32_e32 v5, s11, v4
	v_and_b32_e32 v4, s10, v4
	v_add_nc_u64_e32 v[2:3], v[4:5], v[2:3]
	global_store_b64 v[0:1], v[2:3], off
; %bb.4:
	s_wait_xcnt 0x0
	s_or_b32 exec_lo, exec_lo, s2
	s_delay_alu instid0(SALU_CYCLE_1)
	s_or_not1_b32 s1, s1, exec_lo
.LBB225_5:
	s_or_b32 exec_lo, exec_lo, s0
	s_delay_alu instid0(SALU_CYCLE_1)
	s_and_b32 exec_lo, exec_lo, s1
	s_cbranch_execnz .LBB225_7
.LBB225_6:
	s_endpgm
.LBB225_7:
	s_trap 2
	; divergent unreachable
	s_endpgm
	.section	.rodata,"a",@progbits
	.p2align	6, 0x0
	.amdhsa_kernel _ZN2at6native12_GLOBAL__N_136embedding_renorm_wrap_indices_kernelIlEEvPKT_PS3_ll
		.amdhsa_group_segment_fixed_size 0
		.amdhsa_private_segment_fixed_size 0
		.amdhsa_kernarg_size 288
		.amdhsa_user_sgpr_count 2
		.amdhsa_user_sgpr_dispatch_ptr 0
		.amdhsa_user_sgpr_queue_ptr 0
		.amdhsa_user_sgpr_kernarg_segment_ptr 1
		.amdhsa_user_sgpr_dispatch_id 0
		.amdhsa_user_sgpr_kernarg_preload_length 0
		.amdhsa_user_sgpr_kernarg_preload_offset 0
		.amdhsa_user_sgpr_private_segment_size 0
		.amdhsa_wavefront_size32 1
		.amdhsa_uses_dynamic_stack 0
		.amdhsa_enable_private_segment 0
		.amdhsa_system_sgpr_workgroup_id_x 1
		.amdhsa_system_sgpr_workgroup_id_y 0
		.amdhsa_system_sgpr_workgroup_id_z 0
		.amdhsa_system_sgpr_workgroup_info 0
		.amdhsa_system_vgpr_workitem_id 0
		.amdhsa_next_free_vgpr 6
		.amdhsa_next_free_sgpr 13
		.amdhsa_named_barrier_count 0
		.amdhsa_reserve_vcc 1
		.amdhsa_float_round_mode_32 0
		.amdhsa_float_round_mode_16_64 0
		.amdhsa_float_denorm_mode_32 3
		.amdhsa_float_denorm_mode_16_64 3
		.amdhsa_fp16_overflow 0
		.amdhsa_memory_ordered 1
		.amdhsa_forward_progress 1
		.amdhsa_inst_pref_size 3
		.amdhsa_round_robin_scheduling 0
		.amdhsa_exception_fp_ieee_invalid_op 0
		.amdhsa_exception_fp_denorm_src 0
		.amdhsa_exception_fp_ieee_div_zero 0
		.amdhsa_exception_fp_ieee_overflow 0
		.amdhsa_exception_fp_ieee_underflow 0
		.amdhsa_exception_fp_ieee_inexact 0
		.amdhsa_exception_int_div_zero 0
	.end_amdhsa_kernel
	.section	.text._ZN2at6native12_GLOBAL__N_136embedding_renorm_wrap_indices_kernelIlEEvPKT_PS3_ll,"axG",@progbits,_ZN2at6native12_GLOBAL__N_136embedding_renorm_wrap_indices_kernelIlEEvPKT_PS3_ll,comdat
.Lfunc_end225:
	.size	_ZN2at6native12_GLOBAL__N_136embedding_renorm_wrap_indices_kernelIlEEvPKT_PS3_ll, .Lfunc_end225-_ZN2at6native12_GLOBAL__N_136embedding_renorm_wrap_indices_kernelIlEEvPKT_PS3_ll
                                        ; -- End function
	.set _ZN2at6native12_GLOBAL__N_136embedding_renorm_wrap_indices_kernelIlEEvPKT_PS3_ll.num_vgpr, 6
	.set _ZN2at6native12_GLOBAL__N_136embedding_renorm_wrap_indices_kernelIlEEvPKT_PS3_ll.num_agpr, 0
	.set _ZN2at6native12_GLOBAL__N_136embedding_renorm_wrap_indices_kernelIlEEvPKT_PS3_ll.numbered_sgpr, 13
	.set _ZN2at6native12_GLOBAL__N_136embedding_renorm_wrap_indices_kernelIlEEvPKT_PS3_ll.num_named_barrier, 0
	.set _ZN2at6native12_GLOBAL__N_136embedding_renorm_wrap_indices_kernelIlEEvPKT_PS3_ll.private_seg_size, 0
	.set _ZN2at6native12_GLOBAL__N_136embedding_renorm_wrap_indices_kernelIlEEvPKT_PS3_ll.uses_vcc, 1
	.set _ZN2at6native12_GLOBAL__N_136embedding_renorm_wrap_indices_kernelIlEEvPKT_PS3_ll.uses_flat_scratch, 0
	.set _ZN2at6native12_GLOBAL__N_136embedding_renorm_wrap_indices_kernelIlEEvPKT_PS3_ll.has_dyn_sized_stack, 0
	.set _ZN2at6native12_GLOBAL__N_136embedding_renorm_wrap_indices_kernelIlEEvPKT_PS3_ll.has_recursion, 0
	.set _ZN2at6native12_GLOBAL__N_136embedding_renorm_wrap_indices_kernelIlEEvPKT_PS3_ll.has_indirect_call, 0
	.section	.AMDGPU.csdata,"",@progbits
; Kernel info:
; codeLenInByte = 276
; TotalNumSgprs: 15
; NumVgprs: 6
; ScratchSize: 0
; MemoryBound: 0
; FloatMode: 240
; IeeeMode: 1
; LDSByteSize: 0 bytes/workgroup (compile time only)
; SGPRBlocks: 0
; VGPRBlocks: 0
; NumSGPRsForWavesPerEU: 15
; NumVGPRsForWavesPerEU: 6
; NamedBarCnt: 0
; Occupancy: 16
; WaveLimiterHint : 0
; COMPUTE_PGM_RSRC2:SCRATCH_EN: 0
; COMPUTE_PGM_RSRC2:USER_SGPR: 2
; COMPUTE_PGM_RSRC2:TRAP_HANDLER: 0
; COMPUTE_PGM_RSRC2:TGID_X_EN: 1
; COMPUTE_PGM_RSRC2:TGID_Y_EN: 0
; COMPUTE_PGM_RSRC2:TGID_Z_EN: 0
; COMPUTE_PGM_RSRC2:TIDIG_COMP_CNT: 0
	.section	.text._ZN7rocprim17ROCPRIM_400000_NS6detail17trampoline_kernelINS0_14default_configENS1_25partition_config_selectorILNS1_17partition_subalgoE8ElNS0_10empty_typeEbEEZZNS1_14partition_implILS5_8ELb0ES3_jPKlPS6_PKS6_NS0_5tupleIJPlS6_EEENSE_IJSB_SB_EEENS0_18inequality_wrapperIN6hipcub16HIPCUB_304000_NS8EqualityEEESF_JS6_EEE10hipError_tPvRmT3_T4_T5_T6_T7_T9_mT8_P12ihipStream_tbDpT10_ENKUlT_T0_E_clISt17integral_constantIbLb0EES16_EEDaS11_S12_EUlS11_E_NS1_11comp_targetILNS1_3genE0ELNS1_11target_archE4294967295ELNS1_3gpuE0ELNS1_3repE0EEENS1_30default_config_static_selectorELNS0_4arch9wavefront6targetE0EEEvT1_,"axG",@progbits,_ZN7rocprim17ROCPRIM_400000_NS6detail17trampoline_kernelINS0_14default_configENS1_25partition_config_selectorILNS1_17partition_subalgoE8ElNS0_10empty_typeEbEEZZNS1_14partition_implILS5_8ELb0ES3_jPKlPS6_PKS6_NS0_5tupleIJPlS6_EEENSE_IJSB_SB_EEENS0_18inequality_wrapperIN6hipcub16HIPCUB_304000_NS8EqualityEEESF_JS6_EEE10hipError_tPvRmT3_T4_T5_T6_T7_T9_mT8_P12ihipStream_tbDpT10_ENKUlT_T0_E_clISt17integral_constantIbLb0EES16_EEDaS11_S12_EUlS11_E_NS1_11comp_targetILNS1_3genE0ELNS1_11target_archE4294967295ELNS1_3gpuE0ELNS1_3repE0EEENS1_30default_config_static_selectorELNS0_4arch9wavefront6targetE0EEEvT1_,comdat
	.protected	_ZN7rocprim17ROCPRIM_400000_NS6detail17trampoline_kernelINS0_14default_configENS1_25partition_config_selectorILNS1_17partition_subalgoE8ElNS0_10empty_typeEbEEZZNS1_14partition_implILS5_8ELb0ES3_jPKlPS6_PKS6_NS0_5tupleIJPlS6_EEENSE_IJSB_SB_EEENS0_18inequality_wrapperIN6hipcub16HIPCUB_304000_NS8EqualityEEESF_JS6_EEE10hipError_tPvRmT3_T4_T5_T6_T7_T9_mT8_P12ihipStream_tbDpT10_ENKUlT_T0_E_clISt17integral_constantIbLb0EES16_EEDaS11_S12_EUlS11_E_NS1_11comp_targetILNS1_3genE0ELNS1_11target_archE4294967295ELNS1_3gpuE0ELNS1_3repE0EEENS1_30default_config_static_selectorELNS0_4arch9wavefront6targetE0EEEvT1_ ; -- Begin function _ZN7rocprim17ROCPRIM_400000_NS6detail17trampoline_kernelINS0_14default_configENS1_25partition_config_selectorILNS1_17partition_subalgoE8ElNS0_10empty_typeEbEEZZNS1_14partition_implILS5_8ELb0ES3_jPKlPS6_PKS6_NS0_5tupleIJPlS6_EEENSE_IJSB_SB_EEENS0_18inequality_wrapperIN6hipcub16HIPCUB_304000_NS8EqualityEEESF_JS6_EEE10hipError_tPvRmT3_T4_T5_T6_T7_T9_mT8_P12ihipStream_tbDpT10_ENKUlT_T0_E_clISt17integral_constantIbLb0EES16_EEDaS11_S12_EUlS11_E_NS1_11comp_targetILNS1_3genE0ELNS1_11target_archE4294967295ELNS1_3gpuE0ELNS1_3repE0EEENS1_30default_config_static_selectorELNS0_4arch9wavefront6targetE0EEEvT1_
	.globl	_ZN7rocprim17ROCPRIM_400000_NS6detail17trampoline_kernelINS0_14default_configENS1_25partition_config_selectorILNS1_17partition_subalgoE8ElNS0_10empty_typeEbEEZZNS1_14partition_implILS5_8ELb0ES3_jPKlPS6_PKS6_NS0_5tupleIJPlS6_EEENSE_IJSB_SB_EEENS0_18inequality_wrapperIN6hipcub16HIPCUB_304000_NS8EqualityEEESF_JS6_EEE10hipError_tPvRmT3_T4_T5_T6_T7_T9_mT8_P12ihipStream_tbDpT10_ENKUlT_T0_E_clISt17integral_constantIbLb0EES16_EEDaS11_S12_EUlS11_E_NS1_11comp_targetILNS1_3genE0ELNS1_11target_archE4294967295ELNS1_3gpuE0ELNS1_3repE0EEENS1_30default_config_static_selectorELNS0_4arch9wavefront6targetE0EEEvT1_
	.p2align	8
	.type	_ZN7rocprim17ROCPRIM_400000_NS6detail17trampoline_kernelINS0_14default_configENS1_25partition_config_selectorILNS1_17partition_subalgoE8ElNS0_10empty_typeEbEEZZNS1_14partition_implILS5_8ELb0ES3_jPKlPS6_PKS6_NS0_5tupleIJPlS6_EEENSE_IJSB_SB_EEENS0_18inequality_wrapperIN6hipcub16HIPCUB_304000_NS8EqualityEEESF_JS6_EEE10hipError_tPvRmT3_T4_T5_T6_T7_T9_mT8_P12ihipStream_tbDpT10_ENKUlT_T0_E_clISt17integral_constantIbLb0EES16_EEDaS11_S12_EUlS11_E_NS1_11comp_targetILNS1_3genE0ELNS1_11target_archE4294967295ELNS1_3gpuE0ELNS1_3repE0EEENS1_30default_config_static_selectorELNS0_4arch9wavefront6targetE0EEEvT1_,@function
_ZN7rocprim17ROCPRIM_400000_NS6detail17trampoline_kernelINS0_14default_configENS1_25partition_config_selectorILNS1_17partition_subalgoE8ElNS0_10empty_typeEbEEZZNS1_14partition_implILS5_8ELb0ES3_jPKlPS6_PKS6_NS0_5tupleIJPlS6_EEENSE_IJSB_SB_EEENS0_18inequality_wrapperIN6hipcub16HIPCUB_304000_NS8EqualityEEESF_JS6_EEE10hipError_tPvRmT3_T4_T5_T6_T7_T9_mT8_P12ihipStream_tbDpT10_ENKUlT_T0_E_clISt17integral_constantIbLb0EES16_EEDaS11_S12_EUlS11_E_NS1_11comp_targetILNS1_3genE0ELNS1_11target_archE4294967295ELNS1_3gpuE0ELNS1_3repE0EEENS1_30default_config_static_selectorELNS0_4arch9wavefront6targetE0EEEvT1_: ; @_ZN7rocprim17ROCPRIM_400000_NS6detail17trampoline_kernelINS0_14default_configENS1_25partition_config_selectorILNS1_17partition_subalgoE8ElNS0_10empty_typeEbEEZZNS1_14partition_implILS5_8ELb0ES3_jPKlPS6_PKS6_NS0_5tupleIJPlS6_EEENSE_IJSB_SB_EEENS0_18inequality_wrapperIN6hipcub16HIPCUB_304000_NS8EqualityEEESF_JS6_EEE10hipError_tPvRmT3_T4_T5_T6_T7_T9_mT8_P12ihipStream_tbDpT10_ENKUlT_T0_E_clISt17integral_constantIbLb0EES16_EEDaS11_S12_EUlS11_E_NS1_11comp_targetILNS1_3genE0ELNS1_11target_archE4294967295ELNS1_3gpuE0ELNS1_3repE0EEENS1_30default_config_static_selectorELNS0_4arch9wavefront6targetE0EEEvT1_
; %bb.0:
	s_clause 0x3
	s_load_b128 s[4:7], s[0:1], 0x8
	s_load_b128 s[12:15], s[0:1], 0x40
	s_load_b32 s9, s[0:1], 0x68
	s_load_b64 s[2:3], s[0:1], 0x50
	s_bfe_u32 s8, ttmp6, 0x4000c
	s_and_b32 s10, ttmp6, 15
	s_add_co_i32 s11, s8, 1
	s_mov_b32 s17, 0
	s_mul_i32 s11, ttmp9, s11
	s_getreg_b32 s18, hwreg(HW_REG_IB_STS2, 6, 4)
	s_add_co_i32 s19, s10, s11
	s_mov_b32 s21, s17
	v_dual_mov_b32 v1, v0 :: v_dual_lshlrev_b32 v22, 3, v0
	s_mov_b32 s8, -1
	s_wait_kmcnt 0x0
	s_lshl_b64 s[22:23], s[6:7], 3
	s_load_b64 s[10:11], s[14:15], 0x0
	s_mul_i32 s16, s9, 0xe00
	s_cmp_eq_u32 s18, 0
	s_wait_xcnt 0x0
	s_add_nc_u64 s[14:15], s[6:7], s[16:17]
	s_cselect_b32 s18, ttmp9, s19
	s_add_co_i32 s16, s16, s6
	v_cmp_le_u64_e64 s15, s[2:3], s[14:15]
	s_add_co_i32 s9, s9, -1
	s_sub_co_i32 s14, s2, s16
	s_cmp_eq_u32 s18, s9
	s_mul_i32 s20, s18, 0xe00
	s_cselect_b32 s16, -1, 0
	s_add_nc_u64 s[2:3], s[4:5], s[22:23]
	s_and_b32 s9, s16, s15
	s_lshl_b64 s[4:5], s[20:21], 3
	s_xor_b32 s17, s9, -1
	s_add_nc_u64 s[2:3], s[2:3], s[4:5]
	s_and_b32 vcc_lo, exec_lo, s17
	s_cbranch_vccz .LBB226_2
; %bb.1:
	s_clause 0x6
	global_load_b64 v[2:3], v0, s[2:3] scale_offset
	global_load_b64 v[4:5], v0, s[2:3] offset:4096 scale_offset
	global_load_b64 v[6:7], v0, s[2:3] offset:8192 scale_offset
	global_load_b64 v[8:9], v0, s[2:3] offset:12288 scale_offset
	global_load_b64 v[10:11], v0, s[2:3] offset:16384 scale_offset
	global_load_b64 v[12:13], v0, s[2:3] offset:20480 scale_offset
	global_load_b64 v[14:15], v0, s[2:3] offset:24576 scale_offset
	v_lshlrev_b32_e32 v16, 3, v0
	s_mov_b32 s8, 0
	s_wait_loadcnt 0x5
	ds_store_2addr_stride64_b64 v16, v[2:3], v[4:5] offset1:8
	s_wait_loadcnt 0x3
	ds_store_2addr_stride64_b64 v16, v[6:7], v[8:9] offset0:16 offset1:24
	s_wait_loadcnt 0x1
	ds_store_2addr_stride64_b64 v16, v[10:11], v[12:13] offset0:32 offset1:40
	s_wait_loadcnt 0x0
	ds_store_b64 v16, v[14:15] offset:24576
	s_wait_dscnt 0x0
	s_barrier_signal -1
	s_barrier_wait -1
.LBB226_2:
	s_and_not1_b32 vcc_lo, exec_lo, s8
	s_add_co_i32 s8, s14, 0xe00
	s_cbranch_vccnz .LBB226_18
; %bb.3:
	v_mov_b32_e32 v2, 0
	s_mov_b32 s4, exec_lo
	s_delay_alu instid0(VALU_DEP_1)
	v_dual_mov_b32 v3, v2 :: v_dual_mov_b32 v4, v2
	v_dual_mov_b32 v5, v2 :: v_dual_mov_b32 v6, v2
	;; [unrolled: 1-line block ×6, first 2 shown]
	v_mov_b32_e32 v15, v2
	v_cmpx_gt_u32_e64 s8, v0
	s_cbranch_execz .LBB226_5
; %bb.4:
	global_load_b64 v[4:5], v0, s[2:3] scale_offset
	v_dual_mov_b32 v6, v2 :: v_dual_mov_b32 v7, v2
	v_dual_mov_b32 v8, v2 :: v_dual_mov_b32 v9, v2
	;; [unrolled: 1-line block ×6, first 2 shown]
	s_wait_loadcnt 0x0
	v_mov_b64_e32 v[2:3], v[4:5]
	v_mov_b64_e32 v[4:5], v[6:7]
	;; [unrolled: 1-line block ×8, first 2 shown]
.LBB226_5:
	s_or_b32 exec_lo, exec_lo, s4
	v_or_b32_e32 v16, 0x200, v0
	s_mov_b32 s4, exec_lo
	s_delay_alu instid0(VALU_DEP_1)
	v_cmpx_gt_u32_e64 s8, v16
	s_cbranch_execz .LBB226_7
; %bb.6:
	global_load_b64 v[4:5], v0, s[2:3] offset:4096 scale_offset
.LBB226_7:
	s_wait_xcnt 0x0
	s_or_b32 exec_lo, exec_lo, s4
	v_or_b32_e32 v16, 0x400, v0
	s_mov_b32 s4, exec_lo
	s_delay_alu instid0(VALU_DEP_1)
	v_cmpx_gt_u32_e64 s8, v16
	s_cbranch_execz .LBB226_9
; %bb.8:
	global_load_b64 v[6:7], v0, s[2:3] offset:8192 scale_offset
.LBB226_9:
	s_wait_xcnt 0x0
	;; [unrolled: 10-line block ×6, first 2 shown]
	s_or_b32 exec_lo, exec_lo, s4
	v_lshlrev_b32_e32 v16, 3, v0
	s_wait_loadcnt 0x0
	ds_store_2addr_stride64_b64 v16, v[2:3], v[4:5] offset1:8
	ds_store_2addr_stride64_b64 v16, v[6:7], v[8:9] offset0:16 offset1:24
	ds_store_2addr_stride64_b64 v16, v[10:11], v[12:13] offset0:32 offset1:40
	ds_store_b64 v16, v[14:15] offset:24576
	s_wait_dscnt 0x0
	s_barrier_signal -1
	s_barrier_wait -1
.LBB226_18:
	v_mul_u32_u24_e32 v28, 7, v0
	s_cmp_lg_u32 s18, 0
	s_mov_b32 s14, 0
	s_cselect_b32 s19, -1, 0
	s_delay_alu instid0(VALU_DEP_1)
	v_lshlrev_b32_e32 v30, 3, v28
	s_cmp_lg_u64 s[6:7], 0
	ds_load_2addr_b64 v[10:13], v30 offset0:2 offset1:3
	ds_load_2addr_b64 v[6:9], v30 offset0:3 offset1:4
	ds_load_2addr_b64 v[14:17], v30 offset1:1
	ds_load_2addr_b64 v[18:21], v30 offset0:1 offset1:2
	ds_load_2addr_b64 v[2:5], v30 offset0:5 offset1:6
	s_cselect_b32 s4, -1, 0
	s_wait_dscnt 0x0
	s_or_b32 s4, s19, s4
	s_barrier_signal -1
	s_and_b32 vcc_lo, exec_lo, s4
	s_barrier_wait -1
	s_cbranch_vccz .LBB226_23
; %bb.19:
	s_add_nc_u64 s[2:3], s[2:3], -8
	v_lshlrev_b32_e32 v26, 3, v0
	s_load_b64 s[2:3], s[2:3], 0x0
	s_and_b32 vcc_lo, exec_lo, s17
	ds_store_b64 v26, v[4:5]
	s_cbranch_vccz .LBB226_25
; %bb.20:
	s_wait_kmcnt 0x0
	v_mov_b64_e32 v[24:25], s[2:3]
	s_mov_b32 s5, 0
	s_mov_b32 s4, exec_lo
	s_wait_dscnt 0x0
	s_barrier_signal -1
	s_barrier_wait -1
	v_cmpx_ne_u32_e32 0, v0
; %bb.21:
	v_add_nc_u32_e32 v23, -8, v26
	ds_load_b64 v[24:25], v23
; %bb.22:
	s_or_b32 exec_lo, exec_lo, s4
	v_cmp_ne_u64_e32 vcc_lo, v[10:11], v[12:13]
	s_wait_dscnt 0x0
	v_cmp_ne_u64_e64 s4, v[24:25], v[14:15]
	v_cndmask_b32_e64 v23, 0, 1, vcc_lo
	v_cmp_ne_u64_e32 vcc_lo, v[16:17], v[10:11]
	s_delay_alu instid0(VALU_DEP_2) | instskip(SKIP_2) | instid1(VALU_DEP_2)
	v_lshlrev_b16 v23, 8, v23
	v_cndmask_b32_e64 v27, 0, 1, vcc_lo
	v_cmp_ne_u64_e32 vcc_lo, v[14:15], v[16:17]
	v_or_b32_e32 v27, v27, v23
	v_cndmask_b32_e64 v29, 0, 1, vcc_lo
	v_cmp_ne_u64_e32 vcc_lo, v[2:3], v[4:5]
	s_delay_alu instid0(VALU_DEP_3) | instskip(NEXT) | instid1(VALU_DEP_3)
	v_lshlrev_b32_e32 v31, 16, v27
	v_lshlrev_b16 v29, 8, v29
	v_cndmask_b32_e64 v23, 0, 1, vcc_lo
	v_cmp_ne_u64_e32 vcc_lo, v[8:9], v[2:3]
	s_delay_alu instid0(VALU_DEP_3) | instskip(NEXT) | instid1(VALU_DEP_1)
	v_and_b32_e32 v29, 0xffff, v29
	v_or_b32_e32 v29, v29, v31
	v_cndmask_b32_e64 v27, 0, 1, vcc_lo
	v_cmp_ne_u64_e32 vcc_lo, v[12:13], v[8:9]
	v_cndmask_b32_e64 v33, 0, 1, vcc_lo
	s_and_b32 vcc_lo, exec_lo, s5
	s_cbranch_vccnz .LBB226_26
	s_branch .LBB226_29
.LBB226_23:
                                        ; implicit-def: $sgpr4
                                        ; implicit-def: $vgpr23
                                        ; implicit-def: $vgpr27
                                        ; implicit-def: $vgpr33
                                        ; implicit-def: $vgpr29
	s_branch .LBB226_30
.LBB226_24:
                                        ; implicit-def: $vgpr24
                                        ; implicit-def: $vgpr32
                                        ; implicit-def: $vgpr31
                                        ; implicit-def: $vgpr26
	s_branch .LBB226_38
.LBB226_25:
                                        ; implicit-def: $sgpr4
                                        ; implicit-def: $vgpr23
                                        ; implicit-def: $vgpr27
                                        ; implicit-def: $vgpr33
                                        ; implicit-def: $vgpr29
	s_cbranch_execz .LBB226_29
.LBB226_26:
	s_wait_kmcnt 0x0
	v_mov_b64_e32 v[24:25], s[2:3]
	s_mov_b32 s2, exec_lo
	s_wait_dscnt 0x0
	s_barrier_signal -1
	s_barrier_wait -1
	v_cmpx_ne_u32_e32 0, v0
; %bb.27:
	v_add_nc_u32_e32 v23, -8, v26
	ds_load_b64 v[24:25], v23
; %bb.28:
	s_or_b32 exec_lo, exec_lo, s2
	v_dual_add_nc_u32 v23, 6, v28 :: v_dual_add_nc_u32 v26, 5, v28
	v_cmp_ne_u64_e32 vcc_lo, v[2:3], v[4:5]
	v_dual_add_nc_u32 v27, 3, v28 :: v_dual_add_nc_u32 v29, 2, v28
	s_delay_alu instid0(VALU_DEP_3) | instskip(SKIP_2) | instid1(VALU_DEP_4)
	v_cmp_gt_u32_e64 s2, s8, v23
	v_cmp_ne_u64_e64 s3, v[10:11], v[12:13]
	v_cmp_ne_u64_e64 s4, v[16:17], v[10:11]
	v_cmp_gt_u32_e64 s5, s8, v27
	v_add_nc_u32_e32 v27, 1, v28
	s_and_b32 s2, s2, vcc_lo
	v_cmp_gt_u32_e32 vcc_lo, s8, v29
	v_cndmask_b32_e64 v23, 0, 1, s2
	v_cmp_ne_u64_e64 s2, v[14:15], v[16:17]
	s_and_b32 s3, s5, s3
	v_cmp_ne_u64_e64 s5, v[8:9], v[2:3]
	v_cndmask_b32_e64 v29, 0, 1, s3
	s_and_b32 s4, vcc_lo, s4
	v_cmp_gt_u32_e32 vcc_lo, s8, v26
	v_add_nc_u32_e32 v26, 4, v28
	v_cmp_gt_u32_e64 s3, s8, v27
	v_cndmask_b32_e64 v27, 0, 1, s4
	v_lshlrev_b16 v29, 8, v29
	v_cmp_gt_u32_e64 s4, s8, v28
	s_and_b32 s2, s3, s2
	s_and_b32 s3, vcc_lo, s5
	v_cndmask_b32_e64 v31, 0, 1, s2
	v_or_b32_e32 v29, v27, v29
	v_cmp_ne_u64_e64 s2, v[12:13], v[8:9]
	v_cmp_gt_u32_e32 vcc_lo, s8, v26
	v_cndmask_b32_e64 v27, 0, 1, s3
	v_lshlrev_b16 v31, 8, v31
	v_lshlrev_b32_e32 v26, 16, v29
	s_wait_dscnt 0x0
	v_cmp_ne_u64_e64 s3, v[24:25], v[14:15]
	s_and_b32 s2, vcc_lo, s2
	v_and_b32_e32 v29, 0xffff, v31
	v_cndmask_b32_e64 v33, 0, 1, s2
	s_and_b32 s4, s4, s3
	s_delay_alu instid0(VALU_DEP_2)
	v_or_b32_e32 v29, v29, v26
.LBB226_29:
	s_wait_kmcnt 0x0
	s_mov_b32 s14, -1
	s_cbranch_execnz .LBB226_24
.LBB226_30:
	v_cmp_ne_u64_e64 s2, v[2:3], v[4:5]
	v_mad_i32_i24 v34, 0xffffffd0, v0, v30
	s_and_b32 vcc_lo, exec_lo, s17
	ds_store_b64 v34, v[4:5]
	s_cbranch_vccz .LBB226_34
; %bb.31:
	v_cmp_ne_u64_e32 vcc_lo, v[8:9], v[2:3]
	v_cndmask_b32_e64 v23, 0, 1, s2
	v_mov_b32_e32 v24, 1
	s_mov_b32 s2, 0
	s_mov_b32 s3, exec_lo
	s_wait_dscnt 0x0
	s_barrier_signal -1
	v_cndmask_b32_e64 v27, 0, 1, vcc_lo
	v_cmp_ne_u64_e32 vcc_lo, v[12:13], v[8:9]
	s_barrier_wait -1
                                        ; implicit-def: $sgpr4
                                        ; implicit-def: $vgpr29
	v_cndmask_b32_e64 v25, 0, 1, vcc_lo
	v_cmp_ne_u64_e32 vcc_lo, v[14:15], v[16:17]
	v_cndmask_b32_e64 v32, 0, 1, vcc_lo
	v_cmp_ne_u64_e32 vcc_lo, v[16:17], v[10:11]
	v_cndmask_b32_e64 v31, 0, 1, vcc_lo
	v_cmp_ne_u64_e32 vcc_lo, v[10:11], v[12:13]
	v_cndmask_b32_e64 v26, 0, 1, vcc_lo
	v_cmpx_ne_u32_e32 0, v0
	s_xor_b32 s3, exec_lo, s3
	s_cbranch_execz .LBB226_33
; %bb.32:
	v_lshlrev_b16 v33, 8, v32
	v_add_nc_u32_e32 v29, -8, v34
	s_or_b32 s14, s14, exec_lo
	s_delay_alu instid0(VALU_DEP_2) | instskip(SKIP_3) | instid1(VALU_DEP_2)
	v_or_b32_e32 v33, 1, v33
	ds_load_b64 v[36:37], v29
	v_lshlrev_b16 v29, 8, v26
	v_and_b32_e32 v33, 0xffff, v33
	v_or_b32_e32 v29, v31, v29
	s_delay_alu instid0(VALU_DEP_1) | instskip(NEXT) | instid1(VALU_DEP_1)
	v_lshlrev_b32_e32 v29, 16, v29
	v_or_b32_e32 v29, v33, v29
	s_wait_dscnt 0x0
	v_cmp_ne_u64_e64 s4, v[36:37], v[14:15]
	s_delay_alu instid0(VALU_DEP_2)
	v_perm_b32 v29, v29, v29, 0x3020104
.LBB226_33:
	s_or_b32 exec_lo, exec_lo, s3
	v_mov_b32_e32 v33, v25
	s_and_b32 vcc_lo, exec_lo, s2
	s_cbranch_vccnz .LBB226_35
	s_branch .LBB226_38
.LBB226_34:
                                        ; implicit-def: $sgpr4
                                        ; implicit-def: $vgpr23
                                        ; implicit-def: $vgpr27
                                        ; implicit-def: $vgpr33
                                        ; implicit-def: $vgpr29
                                        ; implicit-def: $vgpr24
                                        ; implicit-def: $vgpr32
                                        ; implicit-def: $vgpr31
                                        ; implicit-def: $vgpr26
	s_cbranch_execz .LBB226_38
.LBB226_35:
	v_dual_add_nc_u32 v23, 4, v28 :: v_dual_add_nc_u32 v24, 6, v28
	v_cmp_ne_u64_e32 vcc_lo, v[12:13], v[8:9]
	v_dual_add_nc_u32 v25, 5, v28 :: v_dual_add_nc_u32 v26, 3, v28
	s_delay_alu instid0(VALU_DEP_3)
	v_cmp_gt_u32_e64 s2, s8, v23
	v_add_nc_u32_e32 v23, 2, v28
	v_cmp_ne_u64_e64 s3, v[16:17], v[20:21]
	v_cmp_ne_u64_e64 s4, v[10:11], v[6:7]
	v_add_nc_u32_e32 v7, 1, v28
	s_and_b32 s2, s2, vcc_lo
	v_cmp_gt_u32_e32 vcc_lo, s8, v26
	v_cmp_gt_u32_e64 s6, s8, v23
	v_cndmask_b32_e64 v20, 0, 1, s2
	v_cmp_ne_u64_e64 s2, v[2:3], v[4:5]
	v_cmp_gt_u32_e64 s7, s8, v25
	s_and_b32 s4, vcc_lo, s4
	s_and_b32 s3, s6, s3
	v_lshlrev_b16 v6, 8, v20
	v_cndmask_b32_e64 v25, 0, 1, s4
	v_cndmask_b32_e64 v21, 0, 1, s3
	v_cmp_gt_u32_e64 s5, s8, v24
	v_cmp_ne_u64_e32 vcc_lo, v[8:9], v[2:3]
	v_cmp_ne_u64_e64 s3, v[14:15], v[18:19]
	v_dual_mov_b32 v24, 1 :: v_dual_bitop2_b32 v26, v25, v6 bitop3:0x54
	v_lshlrev_b16 v6, 8, v21
	s_and_b32 s2, s5, s2
	s_wait_dscnt 0x0
	v_cndmask_b32_e64 v23, 0, 1, s2
	v_cmp_gt_u32_e64 s2, s8, v7
	v_lshlrev_b32_e32 v7, 16, v26
	v_and_b32_e32 v18, 0xffff, v6
	s_and_b32 s4, s7, vcc_lo
	s_barrier_signal -1
	s_and_b32 s2, s2, s3
	v_cndmask_b32_e64 v27, 0, 1, s4
	v_cndmask_b32_e64 v19, 0, 1, s2
	v_or_b32_e32 v18, v18, v7
	s_mov_b32 s3, exec_lo
	s_barrier_wait -1
                                        ; implicit-def: $sgpr4
                                        ; implicit-def: $vgpr33
                                        ; implicit-def: $vgpr29
	v_cmpx_ne_u32_e32 0, v0
	s_cbranch_execz .LBB226_37
; %bb.36:
	v_lshlrev_b16 v25, 8, v25
	v_add_nc_u32_e32 v31, -8, v34
	v_lshlrev_b16 v29, 8, v19
	v_cmp_gt_u32_e64 s2, s8, v28
	s_or_b32 s14, s14, exec_lo
	v_lshrrev_b32_e32 v25, 8, v25
	ds_load_b64 v[32:33], v31
	v_lshlrev_b16 v31, 8, v27
	v_lshrrev_b32_e32 v29, 8, v29
	v_lshlrev_b16 v25, 8, v25
	s_delay_alu instid0(VALU_DEP_3) | instskip(NEXT) | instid1(VALU_DEP_3)
	v_or_b32_e32 v20, v20, v31
	v_lshlrev_b16 v29, 8, v29
	s_delay_alu instid0(VALU_DEP_3) | instskip(NEXT) | instid1(VALU_DEP_3)
	v_or_b32_e32 v21, v21, v25
	v_and_b32_e32 v20, 0xffff, v20
	s_delay_alu instid0(VALU_DEP_3) | instskip(NEXT) | instid1(VALU_DEP_3)
	v_or_b32_e32 v25, 1, v29
	v_lshlrev_b32_e32 v21, 16, v21
	s_delay_alu instid0(VALU_DEP_2) | instskip(SKIP_3) | instid1(VALU_DEP_3)
	v_and_b32_e32 v25, 0xffff, v25
	s_wait_dscnt 0x0
	v_cmp_ne_u64_e32 vcc_lo, v[32:33], v[14:15]
	v_lshl_or_b32 v33, v23, 16, v20
	v_or_b32_e32 v21, v25, v21
	s_delay_alu instid0(VALU_DEP_1)
	v_perm_b32 v29, v21, v21, 0x3020104
	s_and_b32 s4, s2, vcc_lo
.LBB226_37:
	s_or_b32 exec_lo, exec_lo, s3
	v_dual_lshrrev_b32 v25, 24, v7 :: v_dual_bitop2_b32 v32, v19, v6 bitop3:0x54
	v_lshrrev_b32_e32 v31, 8, v18
.LBB226_38:
	s_and_saveexec_b32 s2, s14
; %bb.39:
	v_dual_lshrrev_b32 v26, 24, v29 :: v_dual_lshrrev_b32 v31, 16, v29
	v_dual_mov_b32 v25, v33 :: v_dual_lshrrev_b32 v32, 8, v29
	v_cndmask_b32_e64 v24, 0, 1, s4
; %bb.40:
	s_or_b32 exec_lo, exec_lo, s2
	s_load_b64 s[14:15], s[0:1], 0x60
	s_and_not1_b32 vcc_lo, exec_lo, s9
	s_cbranch_vccnz .LBB226_44
; %bb.41:
	v_perm_b32 v6, v24, v32, 0xc0c0004
	v_perm_b32 v7, v31, v26, 0xc0c0004
	v_cmp_gt_u32_e32 vcc_lo, s8, v28
	v_and_b32_e32 v19, 0xff, v23
	v_perm_b32 v20, v25, v27, 0xc0c0004
	v_add_nc_u32_e32 v18, 1, v28
	v_lshl_or_b32 v6, v7, 16, v6
	s_delay_alu instid0(VALU_DEP_1) | instskip(NEXT) | instid1(VALU_DEP_3)
	v_dual_add_nc_u32 v21, 4, v28 :: v_dual_cndmask_b32 v7, 0, v6, vcc_lo
	v_cmp_gt_u32_e32 vcc_lo, s8, v18
	v_dual_lshlrev_b32 v18, 16, v19 :: v_dual_add_nc_u32 v19, 2, v28
	s_delay_alu instid0(VALU_DEP_3) | instskip(NEXT) | instid1(VALU_DEP_2)
	v_and_b32_e32 v7, 0xff, v7
	v_or_b32_e32 v23, v20, v18
	v_bitop3_b32 v18, v20, 0xffff00, v18 bitop3:0xc8
	s_delay_alu instid0(VALU_DEP_3) | instskip(SKIP_2) | instid1(VALU_DEP_3)
	v_cndmask_b32_e32 v7, v7, v6, vcc_lo
	v_cmp_gt_u32_e32 vcc_lo, s8, v19
	v_add_nc_u32_e32 v19, 5, v28
	v_and_b32_e32 v7, 0xffff, v7
	s_delay_alu instid0(VALU_DEP_2) | instskip(NEXT) | instid1(VALU_DEP_2)
	v_cmp_gt_u32_e64 s2, s8, v19
	v_cndmask_b32_e32 v7, v7, v6, vcc_lo
	v_cmp_gt_u32_e32 vcc_lo, s8, v21
	v_cndmask_b32_e32 v18, v18, v23, vcc_lo
	s_delay_alu instid0(VALU_DEP_3) | instskip(SKIP_2) | instid1(VALU_DEP_3)
	v_and_b32_e32 v7, 0xffffff, v7
	v_add_nc_u32_e32 v20, 3, v28
	s_or_b32 vcc_lo, s2, vcc_lo
	v_and_b32_e32 v18, 0xffff00ff, v18
	s_delay_alu instid0(VALU_DEP_2) | instskip(NEXT) | instid1(VALU_DEP_1)
	v_cmp_gt_u32_e64 s3, s8, v20
	v_dual_cndmask_b32 v7, v7, v6, s3 :: v_dual_cndmask_b32 v25, v18, v23, s2
	s_mov_b32 s2, exec_lo
	s_delay_alu instid0(VALU_DEP_1) | instskip(NEXT) | instid1(VALU_DEP_2)
	v_dual_cndmask_b32 v24, v7, v6, vcc_lo :: v_dual_add_nc_u32 v6, 6, v28
	v_lshrrev_b32_e32 v23, 16, v25
	s_delay_alu instid0(VALU_DEP_2)
	v_lshrrev_b64 v[26:27], 24, v[24:25]
	v_dual_lshrrev_b32 v31, 16, v24 :: v_dual_lshrrev_b32 v32, 8, v24
	v_lshrrev_b32_e32 v27, 8, v25
	v_cmpx_le_u32_e64 s8, v6
; %bb.42:
	v_mov_b32_e32 v23, 0
; %bb.43:
	s_or_b32 exec_lo, exec_lo, s2
.LBB226_44:
	v_and_b32_e32 v33, 0xff, v24
	v_and_b32_e32 v34, 0xff, v32
	;; [unrolled: 1-line block ×5, first 2 shown]
	v_mbcnt_lo_u32_b32 v39, -1, 0
	v_and_b32_e32 v38, 0xff, v27
	v_add3_u32 v6, v34, v33, v35
	v_and_b32_e32 v7, 0xff, v23
	s_delay_alu instid0(VALU_DEP_4) | instskip(SKIP_1) | instid1(VALU_DEP_3)
	v_dual_lshrrev_b32 v40, 5, v0 :: v_dual_bitop2_b32 v18, 15, v39 bitop3:0x40
	s_and_b32 vcc_lo, exec_lo, s19
	v_add3_u32 v6, v6, v36, v37
	s_mov_b32 s8, -1
	s_wait_dscnt 0x0
	v_cmp_eq_u32_e64 s2, 0, v18
	v_cmp_lt_u32_e64 s4, 1, v18
	v_add3_u32 v41, v6, v38, v7
	v_and_b32_e32 v6, 16, v39
	v_or_b32_e32 v7, 31, v0
	v_cmp_lt_u32_e64 s5, 3, v18
	v_cmp_lt_u32_e64 s3, 7, v18
	s_barrier_signal -1
	v_cmp_eq_u32_e64 s7, 0, v6
	v_cmp_eq_u32_e64 s6, v0, v7
	s_barrier_wait -1
	s_cbranch_vccz .LBB226_66
; %bb.45:
	v_mov_b32_dpp v6, v41 row_shr:1 row_mask:0xf bank_mask:0xf
	s_delay_alu instid0(VALU_DEP_1) | instskip(NEXT) | instid1(VALU_DEP_1)
	v_cndmask_b32_e64 v6, v6, 0, s2
	v_add_nc_u32_e32 v6, v6, v41
	s_delay_alu instid0(VALU_DEP_1) | instskip(NEXT) | instid1(VALU_DEP_1)
	v_mov_b32_dpp v7, v6 row_shr:2 row_mask:0xf bank_mask:0xf
	v_cndmask_b32_e64 v7, 0, v7, s4
	s_delay_alu instid0(VALU_DEP_1) | instskip(NEXT) | instid1(VALU_DEP_1)
	v_add_nc_u32_e32 v6, v6, v7
	v_mov_b32_dpp v7, v6 row_shr:4 row_mask:0xf bank_mask:0xf
	s_delay_alu instid0(VALU_DEP_1) | instskip(NEXT) | instid1(VALU_DEP_1)
	v_cndmask_b32_e64 v7, 0, v7, s5
	v_add_nc_u32_e32 v6, v6, v7
	s_delay_alu instid0(VALU_DEP_1) | instskip(NEXT) | instid1(VALU_DEP_1)
	v_mov_b32_dpp v7, v6 row_shr:8 row_mask:0xf bank_mask:0xf
	v_cndmask_b32_e64 v7, 0, v7, s3
	s_delay_alu instid0(VALU_DEP_1) | instskip(SKIP_3) | instid1(VALU_DEP_1)
	v_add_nc_u32_e32 v6, v6, v7
	ds_swizzle_b32 v7, v6 offset:swizzle(BROADCAST,32,15)
	s_wait_dscnt 0x0
	v_cndmask_b32_e64 v7, v7, 0, s7
	v_add_nc_u32_e32 v6, v6, v7
	s_and_saveexec_b32 s8, s6
; %bb.46:
	v_lshlrev_b32_e32 v7, 2, v40
	ds_store_b32 v7, v6
; %bb.47:
	s_or_b32 exec_lo, exec_lo, s8
	s_delay_alu instid0(SALU_CYCLE_1)
	s_mov_b32 s8, exec_lo
	s_wait_dscnt 0x0
	s_barrier_signal -1
	s_barrier_wait -1
	v_cmpx_gt_u32_e32 16, v0
	s_cbranch_execz .LBB226_49
; %bb.48:
	v_lshlrev_b32_e32 v7, 2, v0
	ds_load_b32 v18, v7
	s_wait_dscnt 0x0
	v_mov_b32_dpp v19, v18 row_shr:1 row_mask:0xf bank_mask:0xf
	s_delay_alu instid0(VALU_DEP_1) | instskip(NEXT) | instid1(VALU_DEP_1)
	v_cndmask_b32_e64 v19, v19, 0, s2
	v_add_nc_u32_e32 v18, v19, v18
	s_delay_alu instid0(VALU_DEP_1) | instskip(NEXT) | instid1(VALU_DEP_1)
	v_mov_b32_dpp v19, v18 row_shr:2 row_mask:0xf bank_mask:0xf
	v_cndmask_b32_e64 v19, 0, v19, s4
	s_delay_alu instid0(VALU_DEP_1) | instskip(NEXT) | instid1(VALU_DEP_1)
	v_add_nc_u32_e32 v18, v18, v19
	v_mov_b32_dpp v19, v18 row_shr:4 row_mask:0xf bank_mask:0xf
	s_delay_alu instid0(VALU_DEP_1) | instskip(NEXT) | instid1(VALU_DEP_1)
	v_cndmask_b32_e64 v19, 0, v19, s5
	v_add_nc_u32_e32 v18, v18, v19
	s_delay_alu instid0(VALU_DEP_1) | instskip(NEXT) | instid1(VALU_DEP_1)
	v_mov_b32_dpp v19, v18 row_shr:8 row_mask:0xf bank_mask:0xf
	v_cndmask_b32_e64 v19, 0, v19, s3
	s_delay_alu instid0(VALU_DEP_1)
	v_add_nc_u32_e32 v18, v18, v19
	ds_store_b32 v7, v18
.LBB226_49:
	s_or_b32 exec_lo, exec_lo, s8
	s_delay_alu instid0(SALU_CYCLE_1)
	s_mov_b32 s9, exec_lo
	v_cmp_gt_u32_e32 vcc_lo, 32, v0
	s_wait_dscnt 0x0
	s_barrier_signal -1
	s_barrier_wait -1
                                        ; implicit-def: $vgpr42
	v_cmpx_lt_u32_e32 31, v0
	s_cbranch_execz .LBB226_51
; %bb.50:
	v_lshl_add_u32 v7, v40, 2, -4
	ds_load_b32 v42, v7
	s_wait_dscnt 0x0
	v_add_nc_u32_e32 v6, v42, v6
.LBB226_51:
	s_or_b32 exec_lo, exec_lo, s9
	v_sub_co_u32 v7, s8, v39, 1
	s_delay_alu instid0(VALU_DEP_1) | instskip(NEXT) | instid1(VALU_DEP_1)
	v_cmp_gt_i32_e64 s9, 0, v7
	v_cndmask_b32_e64 v7, v7, v39, s9
	s_delay_alu instid0(VALU_DEP_1)
	v_lshlrev_b32_e32 v7, 2, v7
	ds_bpermute_b32 v43, v7, v6
	s_and_saveexec_b32 s9, vcc_lo
	s_cbranch_execz .LBB226_71
; %bb.52:
	v_mov_b32_e32 v29, 0
	ds_load_b32 v6, v29 offset:60
	s_and_saveexec_b32 s19, s8
	s_cbranch_execz .LBB226_54
; %bb.53:
	s_add_co_i32 s20, s18, 32
	s_delay_alu instid0(SALU_CYCLE_1)
	v_dual_mov_b32 v7, 1 :: v_dual_mov_b32 v18, s20
	s_wait_xcnt 0x0
	s_wait_dscnt 0x0
	s_wait_kmcnt 0x0
	global_store_b64 v18, v[6:7], s[14:15] scale_offset scope:SCOPE_DEV
.LBB226_54:
	s_wait_xcnt 0x0
	s_or_b32 exec_lo, exec_lo, s19
	v_xad_u32 v18, v39, -1, s18
	s_mov_b32 s20, 0
	s_mov_b32 s19, exec_lo
	s_delay_alu instid0(VALU_DEP_1)
	v_add_nc_u32_e32 v28, 32, v18
	s_wait_kmcnt 0x0
	global_load_b64 v[20:21], v28, s[14:15] scale_offset scope:SCOPE_DEV
	s_wait_loadcnt 0x0
	v_and_b32_e32 v7, 0xff, v21
	s_wait_xcnt 0x0
	s_delay_alu instid0(VALU_DEP_1)
	v_cmpx_eq_u16_e32 0, v7
	s_cbranch_execz .LBB226_58
; %bb.55:
	v_lshl_add_u64 v[28:29], v[28:29], 3, s[14:15]
.LBB226_56:                             ; =>This Inner Loop Header: Depth=1
	global_load_b64 v[20:21], v[28:29], off scope:SCOPE_DEV
	s_wait_loadcnt 0x0
	v_and_b32_e32 v7, 0xff, v21
	s_delay_alu instid0(VALU_DEP_1)
	v_cmp_ne_u16_e32 vcc_lo, 0, v7
	s_or_b32 s20, vcc_lo, s20
	s_wait_xcnt 0x0
	s_and_not1_b32 exec_lo, exec_lo, s20
	s_cbranch_execnz .LBB226_56
; %bb.57:
	s_or_b32 exec_lo, exec_lo, s20
.LBB226_58:
	s_delay_alu instid0(SALU_CYCLE_1)
	s_or_b32 exec_lo, exec_lo, s19
	v_cmp_ne_u32_e32 vcc_lo, 31, v39
	v_lshlrev_b32_e64 v45, v39, -1
	v_lshl_or_b32 v52, v39, 2, 64
	v_dual_add_nc_u32 v51, 8, v39 :: v_dual_add_nc_u32 v53, 16, v39
	v_add_co_ci_u32_e64 v7, null, 0, v39, vcc_lo
	s_delay_alu instid0(VALU_DEP_1)
	v_lshlrev_b32_e32 v44, 2, v7
	v_and_b32_e32 v7, 0xff, v21
	ds_bpermute_b32 v19, v44, v20
	v_cmp_eq_u16_e32 vcc_lo, 2, v7
	v_and_or_b32 v7, vcc_lo, v45, 0x80000000
	v_cmp_gt_u32_e32 vcc_lo, 30, v39
	s_delay_alu instid0(VALU_DEP_2) | instskip(SKIP_1) | instid1(VALU_DEP_2)
	v_ctz_i32_b32_e32 v7, v7
	v_cndmask_b32_e64 v28, 0, 2, vcc_lo
	v_cmp_lt_u32_e32 vcc_lo, v39, v7
	s_delay_alu instid0(VALU_DEP_2) | instskip(SKIP_3) | instid1(VALU_DEP_2)
	v_add_lshl_u32 v46, v28, v39, 2
	s_wait_dscnt 0x0
	v_cndmask_b32_e32 v19, 0, v19, vcc_lo
	v_cmp_gt_u32_e32 vcc_lo, 28, v39
	v_dual_add_nc_u32 v19, v19, v20 :: v_dual_add_nc_u32 v47, 2, v39
	v_cndmask_b32_e64 v28, 0, 4, vcc_lo
	ds_bpermute_b32 v20, v46, v19
	v_cmp_le_u32_e32 vcc_lo, v47, v7
	v_add_lshl_u32 v48, v28, v39, 2
	s_wait_dscnt 0x0
	v_cndmask_b32_e32 v20, 0, v20, vcc_lo
	v_cmp_gt_u32_e32 vcc_lo, 24, v39
	s_delay_alu instid0(VALU_DEP_2) | instskip(SKIP_4) | instid1(VALU_DEP_2)
	v_add_nc_u32_e32 v19, v19, v20
	v_cndmask_b32_e64 v28, 0, 8, vcc_lo
	ds_bpermute_b32 v20, v48, v19
	v_add_nc_u32_e32 v49, 4, v39
	v_add_lshl_u32 v50, v28, v39, 2
	v_cmp_le_u32_e32 vcc_lo, v49, v7
	s_wait_dscnt 0x0
	v_cndmask_b32_e32 v20, 0, v20, vcc_lo
	v_cmp_le_u32_e32 vcc_lo, v51, v7
	s_delay_alu instid0(VALU_DEP_2) | instskip(SKIP_4) | instid1(VALU_DEP_2)
	v_add_nc_u32_e32 v19, v19, v20
	ds_bpermute_b32 v20, v50, v19
	s_wait_dscnt 0x0
	v_cndmask_b32_e32 v20, 0, v20, vcc_lo
	v_cmp_le_u32_e32 vcc_lo, v53, v7
	v_add_nc_u32_e32 v19, v19, v20
	ds_bpermute_b32 v20, v52, v19
	s_wait_dscnt 0x0
	v_cndmask_b32_e32 v7, 0, v20, vcc_lo
	s_delay_alu instid0(VALU_DEP_1)
	v_dual_mov_b32 v19, 0 :: v_dual_add_nc_u32 v20, v19, v7
	s_branch .LBB226_61
.LBB226_59:                             ;   in Loop: Header=BB226_61 Depth=1
	s_or_b32 exec_lo, exec_lo, s19
	v_and_b32_e32 v28, 0xff, v21
	ds_bpermute_b32 v29, v44, v20
	v_subrev_nc_u32_e32 v18, 32, v18
	s_mov_b32 s19, 0
	v_cmp_eq_u16_e32 vcc_lo, 2, v28
	v_and_or_b32 v28, vcc_lo, v45, 0x80000000
	s_delay_alu instid0(VALU_DEP_1) | instskip(NEXT) | instid1(VALU_DEP_1)
	v_ctz_i32_b32_e32 v28, v28
	v_cmp_lt_u32_e32 vcc_lo, v39, v28
	s_wait_dscnt 0x0
	v_cndmask_b32_e32 v29, 0, v29, vcc_lo
	v_cmp_le_u32_e32 vcc_lo, v47, v28
	s_delay_alu instid0(VALU_DEP_2) | instskip(SKIP_4) | instid1(VALU_DEP_2)
	v_add_nc_u32_e32 v20, v29, v20
	ds_bpermute_b32 v29, v46, v20
	s_wait_dscnt 0x0
	v_cndmask_b32_e32 v29, 0, v29, vcc_lo
	v_cmp_le_u32_e32 vcc_lo, v49, v28
	v_add_nc_u32_e32 v20, v20, v29
	ds_bpermute_b32 v29, v48, v20
	s_wait_dscnt 0x0
	v_cndmask_b32_e32 v29, 0, v29, vcc_lo
	v_cmp_le_u32_e32 vcc_lo, v51, v28
	s_delay_alu instid0(VALU_DEP_2) | instskip(SKIP_4) | instid1(VALU_DEP_2)
	v_add_nc_u32_e32 v20, v20, v29
	ds_bpermute_b32 v29, v50, v20
	s_wait_dscnt 0x0
	v_cndmask_b32_e32 v29, 0, v29, vcc_lo
	v_cmp_le_u32_e32 vcc_lo, v53, v28
	v_add_nc_u32_e32 v20, v20, v29
	ds_bpermute_b32 v29, v52, v20
	s_wait_dscnt 0x0
	v_cndmask_b32_e32 v28, 0, v29, vcc_lo
	s_delay_alu instid0(VALU_DEP_1)
	v_add3_u32 v20, v28, v7, v20
.LBB226_60:                             ;   in Loop: Header=BB226_61 Depth=1
	s_and_b32 vcc_lo, exec_lo, s19
	s_cbranch_vccnz .LBB226_67
.LBB226_61:                             ; =>This Loop Header: Depth=1
                                        ;     Child Loop BB226_64 Depth 2
	v_and_b32_e32 v7, 0xff, v21
	s_mov_b32 s19, -1
                                        ; implicit-def: $vgpr21
	s_delay_alu instid0(VALU_DEP_1)
	v_cmp_ne_u16_e32 vcc_lo, 2, v7
	v_mov_b32_e32 v7, v20
                                        ; implicit-def: $vgpr20
	s_cmp_lg_u32 vcc_lo, exec_lo
	s_cbranch_scc1 .LBB226_60
; %bb.62:                               ;   in Loop: Header=BB226_61 Depth=1
	global_load_b64 v[20:21], v18, s[14:15] scale_offset scope:SCOPE_DEV
	s_mov_b32 s19, exec_lo
	s_wait_loadcnt 0x0
	v_and_b32_e32 v28, 0xff, v21
	s_wait_xcnt 0x0
	s_delay_alu instid0(VALU_DEP_1)
	v_cmpx_eq_u16_e32 0, v28
	s_cbranch_execz .LBB226_59
; %bb.63:                               ;   in Loop: Header=BB226_61 Depth=1
	v_lshl_add_u64 v[28:29], v[18:19], 3, s[14:15]
	s_mov_b32 s20, 0
.LBB226_64:                             ;   Parent Loop BB226_61 Depth=1
                                        ; =>  This Inner Loop Header: Depth=2
	global_load_b64 v[20:21], v[28:29], off scope:SCOPE_DEV
	s_wait_loadcnt 0x0
	v_and_b32_e32 v54, 0xff, v21
	s_delay_alu instid0(VALU_DEP_1)
	v_cmp_ne_u16_e32 vcc_lo, 0, v54
	s_or_b32 s20, vcc_lo, s20
	s_wait_xcnt 0x0
	s_and_not1_b32 exec_lo, exec_lo, s20
	s_cbranch_execnz .LBB226_64
; %bb.65:                               ;   in Loop: Header=BB226_61 Depth=1
	s_or_b32 exec_lo, exec_lo, s20
	s_branch .LBB226_59
.LBB226_66:
                                        ; implicit-def: $vgpr18
                                        ; implicit-def: $vgpr6
                                        ; implicit-def: $vgpr19
                                        ; implicit-def: $vgpr20
                                        ; implicit-def: $vgpr21
                                        ; implicit-def: $vgpr28
                                        ; implicit-def: $vgpr29
                                        ; implicit-def: $vgpr42
                                        ; implicit-def: $vgpr43
	s_and_b32 vcc_lo, exec_lo, s8
	s_cbranch_vccnz .LBB226_72
	s_branch .LBB226_81
.LBB226_67:
	s_and_saveexec_b32 s19, s8
	s_cbranch_execz .LBB226_69
; %bb.68:
	s_add_co_i32 s18, s18, 32
	v_dual_mov_b32 v19, 2 :: v_dual_add_nc_u32 v18, v7, v6
	v_dual_mov_b32 v20, s18 :: v_dual_mov_b32 v21, 0
	global_store_b64 v20, v[18:19], s[14:15] scale_offset scope:SCOPE_DEV
	ds_store_b64 v21, v[6:7] offset:28672
.LBB226_69:
	s_wait_xcnt 0x0
	s_or_b32 exec_lo, exec_lo, s19
	v_cmp_eq_u32_e32 vcc_lo, 0, v0
	s_and_b32 exec_lo, exec_lo, vcc_lo
; %bb.70:
	v_mov_b32_e32 v6, 0
	ds_store_b32 v6, v7 offset:60
.LBB226_71:
	s_or_b32 exec_lo, exec_lo, s9
	s_wait_dscnt 0x0
	v_dual_mov_b32 v6, 0 :: v_dual_cndmask_b32 v18, v43, v42, s8
	s_wait_storecnt 0x0
	s_barrier_signal -1
	s_barrier_wait -1
	ds_load_b32 v7, v6 offset:60
	v_cmp_ne_u32_e32 vcc_lo, 0, v0
	s_wait_dscnt 0x0
	s_barrier_signal -1
	s_barrier_wait -1
	v_cndmask_b32_e32 v18, 0, v18, vcc_lo
	s_delay_alu instid0(VALU_DEP_1) | instskip(SKIP_2) | instid1(VALU_DEP_1)
	v_add_nc_u32_e32 v43, v7, v18
	ds_load_b64 v[6:7], v6 offset:28672
	v_add_nc_u32_e32 v42, v43, v33
	v_add_nc_u32_e32 v29, v42, v34
	s_delay_alu instid0(VALU_DEP_1) | instskip(SKIP_1) | instid1(VALU_DEP_1)
	v_add_nc_u32_e32 v28, v29, v35
	s_wait_dscnt 0x0
	v_dual_mov_b32 v18, v7 :: v_dual_add_nc_u32 v21, v28, v36
	s_delay_alu instid0(VALU_DEP_1) | instskip(NEXT) | instid1(VALU_DEP_1)
	v_add_nc_u32_e32 v20, v21, v37
	v_add_nc_u32_e32 v19, v20, v38
	s_branch .LBB226_81
.LBB226_72:
	v_mov_b32_dpp v6, v41 row_shr:1 row_mask:0xf bank_mask:0xf
	s_delay_alu instid0(VALU_DEP_1) | instskip(NEXT) | instid1(VALU_DEP_1)
	v_cndmask_b32_e64 v6, v6, 0, s2
	v_add_nc_u32_e32 v6, v6, v41
	s_delay_alu instid0(VALU_DEP_1) | instskip(NEXT) | instid1(VALU_DEP_1)
	v_mov_b32_dpp v7, v6 row_shr:2 row_mask:0xf bank_mask:0xf
	v_cndmask_b32_e64 v7, 0, v7, s4
	s_delay_alu instid0(VALU_DEP_1) | instskip(NEXT) | instid1(VALU_DEP_1)
	v_add_nc_u32_e32 v6, v6, v7
	v_mov_b32_dpp v7, v6 row_shr:4 row_mask:0xf bank_mask:0xf
	s_delay_alu instid0(VALU_DEP_1) | instskip(NEXT) | instid1(VALU_DEP_1)
	v_cndmask_b32_e64 v7, 0, v7, s5
	v_add_nc_u32_e32 v6, v6, v7
	s_delay_alu instid0(VALU_DEP_1) | instskip(NEXT) | instid1(VALU_DEP_1)
	v_mov_b32_dpp v7, v6 row_shr:8 row_mask:0xf bank_mask:0xf
	v_cndmask_b32_e64 v7, 0, v7, s3
	s_delay_alu instid0(VALU_DEP_1) | instskip(SKIP_3) | instid1(VALU_DEP_1)
	v_add_nc_u32_e32 v6, v6, v7
	ds_swizzle_b32 v7, v6 offset:swizzle(BROADCAST,32,15)
	s_wait_dscnt 0x0
	v_cndmask_b32_e64 v7, v7, 0, s7
	v_add_nc_u32_e32 v6, v6, v7
	s_and_saveexec_b32 s7, s6
; %bb.73:
	v_lshlrev_b32_e32 v7, 2, v40
	ds_store_b32 v7, v6
; %bb.74:
	s_or_b32 exec_lo, exec_lo, s7
	s_delay_alu instid0(SALU_CYCLE_1)
	s_mov_b32 s6, exec_lo
	s_wait_dscnt 0x0
	s_barrier_signal -1
	s_barrier_wait -1
	v_cmpx_gt_u32_e32 16, v0
	s_cbranch_execz .LBB226_76
; %bb.75:
	v_mad_i32_i24 v7, 0xffffffcc, v0, v30
	ds_load_b32 v18, v7
	s_wait_dscnt 0x0
	v_mov_b32_dpp v19, v18 row_shr:1 row_mask:0xf bank_mask:0xf
	s_delay_alu instid0(VALU_DEP_1) | instskip(NEXT) | instid1(VALU_DEP_1)
	v_cndmask_b32_e64 v19, v19, 0, s2
	v_add_nc_u32_e32 v18, v19, v18
	s_delay_alu instid0(VALU_DEP_1) | instskip(NEXT) | instid1(VALU_DEP_1)
	v_mov_b32_dpp v19, v18 row_shr:2 row_mask:0xf bank_mask:0xf
	v_cndmask_b32_e64 v19, 0, v19, s4
	s_delay_alu instid0(VALU_DEP_1) | instskip(NEXT) | instid1(VALU_DEP_1)
	v_add_nc_u32_e32 v18, v18, v19
	v_mov_b32_dpp v19, v18 row_shr:4 row_mask:0xf bank_mask:0xf
	s_delay_alu instid0(VALU_DEP_1) | instskip(NEXT) | instid1(VALU_DEP_1)
	v_cndmask_b32_e64 v19, 0, v19, s5
	v_add_nc_u32_e32 v18, v18, v19
	s_delay_alu instid0(VALU_DEP_1) | instskip(NEXT) | instid1(VALU_DEP_1)
	v_mov_b32_dpp v19, v18 row_shr:8 row_mask:0xf bank_mask:0xf
	v_cndmask_b32_e64 v19, 0, v19, s3
	s_delay_alu instid0(VALU_DEP_1)
	v_add_nc_u32_e32 v18, v18, v19
	ds_store_b32 v7, v18
.LBB226_76:
	s_or_b32 exec_lo, exec_lo, s6
	v_dual_mov_b32 v7, 0 :: v_dual_mov_b32 v18, 0
	s_mov_b32 s2, exec_lo
	s_wait_dscnt 0x0
	s_barrier_signal -1
	s_barrier_wait -1
	v_cmpx_lt_u32_e32 31, v0
; %bb.77:
	v_lshl_add_u32 v18, v40, 2, -4
	ds_load_b32 v18, v18
; %bb.78:
	s_or_b32 exec_lo, exec_lo, s2
	v_sub_co_u32 v19, vcc_lo, v39, 1
	s_wait_dscnt 0x0
	v_add_nc_u32_e32 v6, v18, v6
	s_delay_alu instid0(VALU_DEP_2) | instskip(NEXT) | instid1(VALU_DEP_1)
	v_cmp_gt_i32_e64 s2, 0, v19
	v_cndmask_b32_e64 v19, v19, v39, s2
	v_cmp_eq_u32_e64 s2, 0, v0
	s_delay_alu instid0(VALU_DEP_2)
	v_lshlrev_b32_e32 v19, 2, v19
	ds_bpermute_b32 v19, v19, v6
	ds_load_b32 v6, v7 offset:60
	s_and_saveexec_b32 s3, s2
	s_cbranch_execz .LBB226_80
; %bb.79:
	v_dual_mov_b32 v20, 0 :: v_dual_mov_b32 v7, 2
	s_wait_xcnt 0x0
	s_wait_dscnt 0x0
	s_wait_kmcnt 0x0
	global_store_b64 v20, v[6:7], s[14:15] offset:256 scope:SCOPE_DEV
.LBB226_80:
	s_wait_xcnt 0x0
	s_or_b32 exec_lo, exec_lo, s3
	s_wait_dscnt 0x1
	v_cndmask_b32_e32 v7, v19, v18, vcc_lo
	s_wait_storecnt_dscnt 0x0
	s_barrier_signal -1
	s_barrier_wait -1
	s_delay_alu instid0(VALU_DEP_1) | instskip(NEXT) | instid1(VALU_DEP_1)
	v_cndmask_b32_e64 v43, v7, 0, s2
	v_dual_mov_b32 v18, 0 :: v_dual_add_nc_u32 v42, v43, v33
	s_delay_alu instid0(VALU_DEP_1) | instskip(NEXT) | instid1(VALU_DEP_1)
	v_add_nc_u32_e32 v29, v42, v34
	v_add_nc_u32_e32 v28, v29, v35
	s_delay_alu instid0(VALU_DEP_1) | instskip(NEXT) | instid1(VALU_DEP_1)
	v_add_nc_u32_e32 v21, v28, v36
	v_add_nc_u32_e32 v20, v21, v37
	s_delay_alu instid0(VALU_DEP_1)
	v_add_nc_u32_e32 v19, v20, v38
.LBB226_81:
	s_load_b64 s[2:3], s[0:1], 0x28
	v_and_b32_e32 v7, 1, v24
	v_cmp_gt_u32_e32 vcc_lo, 0x201, v6
	s_wait_xcnt 0x0
	s_mov_b32 s1, -1
	s_delay_alu instid0(VALU_DEP_2)
	v_cmp_eq_u32_e64 s0, 1, v7
	s_cbranch_vccnz .LBB226_85
; %bb.82:
	s_and_b32 vcc_lo, exec_lo, s1
	s_cbranch_vccnz .LBB226_100
.LBB226_83:
	v_cmp_eq_u32_e32 vcc_lo, 0, v0
	s_and_b32 s0, vcc_lo, s16
	s_delay_alu instid0(SALU_CYCLE_1)
	s_and_saveexec_b32 s1, s0
	s_cbranch_execnz .LBB226_117
.LBB226_84:
	s_endpgm
.LBB226_85:
	v_add_nc_u32_e32 v24, v18, v6
	s_delay_alu instid0(VALU_DEP_1) | instskip(SKIP_1) | instid1(SALU_CYCLE_1)
	v_cmp_lt_u32_e32 vcc_lo, v43, v24
	s_or_b32 s1, s17, vcc_lo
	s_and_b32 s1, s1, s0
	s_delay_alu instid0(SALU_CYCLE_1)
	s_and_saveexec_b32 s0, s1
	s_cbranch_execz .LBB226_87
; %bb.86:
	s_wait_kmcnt 0x0
	s_lshl_b64 s[4:5], s[10:11], 3
	s_delay_alu instid0(SALU_CYCLE_1)
	s_add_nc_u64 s[4:5], s[2:3], s[4:5]
	global_store_b64 v43, v[14:15], s[4:5] scale_offset
.LBB226_87:
	s_wait_xcnt 0x0
	s_or_b32 exec_lo, exec_lo, s0
	v_and_b32_e32 v30, 1, v32
	v_cmp_lt_u32_e32 vcc_lo, v42, v24
	s_delay_alu instid0(VALU_DEP_2) | instskip(SKIP_1) | instid1(SALU_CYCLE_1)
	v_cmp_eq_u32_e64 s0, 1, v30
	s_or_b32 s1, s17, vcc_lo
	s_and_b32 s1, s1, s0
	s_delay_alu instid0(SALU_CYCLE_1)
	s_and_saveexec_b32 s0, s1
	s_cbranch_execz .LBB226_89
; %bb.88:
	s_wait_kmcnt 0x0
	s_lshl_b64 s[4:5], s[10:11], 3
	s_delay_alu instid0(SALU_CYCLE_1)
	s_add_nc_u64 s[4:5], s[2:3], s[4:5]
	global_store_b64 v42, v[16:17], s[4:5] scale_offset
.LBB226_89:
	s_wait_xcnt 0x0
	s_or_b32 exec_lo, exec_lo, s0
	v_and_b32_e32 v30, 1, v31
	v_cmp_lt_u32_e32 vcc_lo, v29, v24
	s_delay_alu instid0(VALU_DEP_2) | instskip(SKIP_1) | instid1(SALU_CYCLE_1)
	v_cmp_eq_u32_e64 s0, 1, v30
	s_or_b32 s1, s17, vcc_lo
	s_and_b32 s1, s1, s0
	s_delay_alu instid0(SALU_CYCLE_1)
	s_and_saveexec_b32 s0, s1
	s_cbranch_execz .LBB226_91
; %bb.90:
	s_wait_kmcnt 0x0
	s_lshl_b64 s[4:5], s[10:11], 3
	s_delay_alu instid0(SALU_CYCLE_1)
	s_add_nc_u64 s[4:5], s[2:3], s[4:5]
	global_store_b64 v29, v[10:11], s[4:5] scale_offset
.LBB226_91:
	s_wait_xcnt 0x0
	s_or_b32 exec_lo, exec_lo, s0
	v_and_b32_e32 v30, 1, v26
	v_cmp_lt_u32_e32 vcc_lo, v28, v24
	s_delay_alu instid0(VALU_DEP_2) | instskip(SKIP_1) | instid1(SALU_CYCLE_1)
	v_cmp_eq_u32_e64 s0, 1, v30
	s_or_b32 s1, s17, vcc_lo
	s_and_b32 s1, s1, s0
	s_delay_alu instid0(SALU_CYCLE_1)
	s_and_saveexec_b32 s0, s1
	s_cbranch_execz .LBB226_93
; %bb.92:
	s_wait_kmcnt 0x0
	s_lshl_b64 s[4:5], s[10:11], 3
	s_delay_alu instid0(SALU_CYCLE_1)
	s_add_nc_u64 s[4:5], s[2:3], s[4:5]
	global_store_b64 v28, v[12:13], s[4:5] scale_offset
.LBB226_93:
	s_wait_xcnt 0x0
	s_or_b32 exec_lo, exec_lo, s0
	v_and_b32_e32 v30, 1, v25
	v_cmp_lt_u32_e32 vcc_lo, v21, v24
	s_delay_alu instid0(VALU_DEP_2) | instskip(SKIP_1) | instid1(SALU_CYCLE_1)
	v_cmp_eq_u32_e64 s0, 1, v30
	s_or_b32 s1, s17, vcc_lo
	s_and_b32 s1, s1, s0
	s_delay_alu instid0(SALU_CYCLE_1)
	s_and_saveexec_b32 s0, s1
	s_cbranch_execz .LBB226_95
; %bb.94:
	s_wait_kmcnt 0x0
	s_lshl_b64 s[4:5], s[10:11], 3
	s_delay_alu instid0(SALU_CYCLE_1)
	s_add_nc_u64 s[4:5], s[2:3], s[4:5]
	global_store_b64 v21, v[8:9], s[4:5] scale_offset
.LBB226_95:
	s_wait_xcnt 0x0
	s_or_b32 exec_lo, exec_lo, s0
	v_and_b32_e32 v30, 1, v27
	v_cmp_lt_u32_e32 vcc_lo, v20, v24
	s_delay_alu instid0(VALU_DEP_2) | instskip(SKIP_1) | instid1(SALU_CYCLE_1)
	v_cmp_eq_u32_e64 s0, 1, v30
	s_or_b32 s1, s17, vcc_lo
	s_and_b32 s1, s1, s0
	s_delay_alu instid0(SALU_CYCLE_1)
	s_and_saveexec_b32 s0, s1
	s_cbranch_execz .LBB226_97
; %bb.96:
	s_wait_kmcnt 0x0
	s_lshl_b64 s[4:5], s[10:11], 3
	s_delay_alu instid0(SALU_CYCLE_1)
	s_add_nc_u64 s[4:5], s[2:3], s[4:5]
	global_store_b64 v20, v[2:3], s[4:5] scale_offset
.LBB226_97:
	s_wait_xcnt 0x0
	s_or_b32 exec_lo, exec_lo, s0
	v_and_b32_e32 v30, 1, v23
	v_cmp_lt_u32_e32 vcc_lo, v19, v24
	s_delay_alu instid0(VALU_DEP_2) | instskip(SKIP_1) | instid1(SALU_CYCLE_1)
	v_cmp_eq_u32_e64 s0, 1, v30
	s_or_b32 s1, s17, vcc_lo
	s_and_b32 s1, s1, s0
	s_delay_alu instid0(SALU_CYCLE_1)
	s_and_saveexec_b32 s0, s1
	s_cbranch_execz .LBB226_99
; %bb.98:
	s_wait_kmcnt 0x0
	s_lshl_b64 s[4:5], s[10:11], 3
	s_delay_alu instid0(SALU_CYCLE_1)
	s_add_nc_u64 s[4:5], s[2:3], s[4:5]
	global_store_b64 v19, v[4:5], s[4:5] scale_offset
.LBB226_99:
	s_wait_xcnt 0x0
	s_or_b32 exec_lo, exec_lo, s0
	s_branch .LBB226_83
.LBB226_100:
	s_mov_b32 s0, exec_lo
	v_cmpx_eq_u32_e32 1, v7
; %bb.101:
	v_sub_nc_u32_e32 v7, v43, v18
	s_delay_alu instid0(VALU_DEP_1)
	v_lshlrev_b32_e32 v7, 3, v7
	ds_store_b64 v7, v[14:15]
; %bb.102:
	s_or_b32 exec_lo, exec_lo, s0
	v_and_b32_e32 v7, 1, v32
	s_mov_b32 s0, exec_lo
	s_delay_alu instid0(VALU_DEP_1)
	v_cmpx_eq_u32_e32 1, v7
; %bb.103:
	v_sub_nc_u32_e32 v7, v42, v18
	s_delay_alu instid0(VALU_DEP_1)
	v_lshlrev_b32_e32 v7, 3, v7
	ds_store_b64 v7, v[16:17]
; %bb.104:
	s_or_b32 exec_lo, exec_lo, s0
	v_and_b32_e32 v7, 1, v31
	s_mov_b32 s0, exec_lo
	s_delay_alu instid0(VALU_DEP_1)
	;; [unrolled: 11-line block ×6, first 2 shown]
	v_cmpx_eq_u32_e32 1, v2
; %bb.113:
	v_sub_nc_u32_e32 v2, v19, v18
	s_delay_alu instid0(VALU_DEP_1)
	v_lshlrev_b32_e32 v2, 3, v2
	ds_store_b64 v2, v[4:5]
; %bb.114:
	s_or_b32 exec_lo, exec_lo, s0
	v_mov_b32_e32 v19, 0
	s_wait_kmcnt 0x0
	s_lshl_b64 s[0:1], s[10:11], 3
	s_wait_storecnt_dscnt 0x0
	s_barrier_signal -1
	s_barrier_wait -1
	v_lshlrev_b64_e32 v[2:3], 3, v[18:19]
	v_mov_b32_e32 v23, v19
	s_delay_alu instid0(VALU_DEP_2) | instskip(SKIP_1) | instid1(VALU_DEP_1)
	v_add_nc_u64_e32 v[2:3], s[0:1], v[2:3]
	s_mov_b32 s0, 0
	v_add_nc_u64_e32 v[2:3], s[2:3], v[2:3]
	s_delay_alu instid0(VALU_DEP_1)
	v_add_nc_u64_e32 v[2:3], v[2:3], v[22:23]
.LBB226_115:                            ; =>This Inner Loop Header: Depth=1
	ds_load_b64 v[4:5], v22
	v_add_nc_u32_e32 v1, 0x200, v1
	v_add_nc_u32_e32 v22, 0x1000, v22
	s_delay_alu instid0(VALU_DEP_2)
	v_cmp_ge_u32_e32 vcc_lo, v1, v6
	s_or_b32 s0, vcc_lo, s0
	s_wait_dscnt 0x0
	global_store_b64 v[2:3], v[4:5], off
	s_wait_xcnt 0x0
	v_add_nc_u64_e32 v[2:3], 0x1000, v[2:3]
	s_and_not1_b32 exec_lo, exec_lo, s0
	s_cbranch_execnz .LBB226_115
; %bb.116:
	s_or_b32 exec_lo, exec_lo, s0
	v_cmp_eq_u32_e32 vcc_lo, 0, v0
	s_and_b32 s0, vcc_lo, s16
	s_delay_alu instid0(SALU_CYCLE_1)
	s_and_saveexec_b32 s1, s0
	s_cbranch_execz .LBB226_84
.LBB226_117:
	v_mov_b32_e32 v7, 0
	s_wait_kmcnt 0x0
	s_delay_alu instid0(VALU_DEP_1) | instskip(SKIP_1) | instid1(VALU_DEP_1)
	v_add_nc_u64_e32 v[0:1], s[10:11], v[6:7]
	v_mov_b32_e32 v19, v7
	v_add_nc_u64_e32 v[0:1], v[0:1], v[18:19]
	global_store_b64 v7, v[0:1], s[12:13]
	s_endpgm
	.section	.rodata,"a",@progbits
	.p2align	6, 0x0
	.amdhsa_kernel _ZN7rocprim17ROCPRIM_400000_NS6detail17trampoline_kernelINS0_14default_configENS1_25partition_config_selectorILNS1_17partition_subalgoE8ElNS0_10empty_typeEbEEZZNS1_14partition_implILS5_8ELb0ES3_jPKlPS6_PKS6_NS0_5tupleIJPlS6_EEENSE_IJSB_SB_EEENS0_18inequality_wrapperIN6hipcub16HIPCUB_304000_NS8EqualityEEESF_JS6_EEE10hipError_tPvRmT3_T4_T5_T6_T7_T9_mT8_P12ihipStream_tbDpT10_ENKUlT_T0_E_clISt17integral_constantIbLb0EES16_EEDaS11_S12_EUlS11_E_NS1_11comp_targetILNS1_3genE0ELNS1_11target_archE4294967295ELNS1_3gpuE0ELNS1_3repE0EEENS1_30default_config_static_selectorELNS0_4arch9wavefront6targetE0EEEvT1_
		.amdhsa_group_segment_fixed_size 28680
		.amdhsa_private_segment_fixed_size 0
		.amdhsa_kernarg_size 112
		.amdhsa_user_sgpr_count 2
		.amdhsa_user_sgpr_dispatch_ptr 0
		.amdhsa_user_sgpr_queue_ptr 0
		.amdhsa_user_sgpr_kernarg_segment_ptr 1
		.amdhsa_user_sgpr_dispatch_id 0
		.amdhsa_user_sgpr_kernarg_preload_length 0
		.amdhsa_user_sgpr_kernarg_preload_offset 0
		.amdhsa_user_sgpr_private_segment_size 0
		.amdhsa_wavefront_size32 1
		.amdhsa_uses_dynamic_stack 0
		.amdhsa_enable_private_segment 0
		.amdhsa_system_sgpr_workgroup_id_x 1
		.amdhsa_system_sgpr_workgroup_id_y 0
		.amdhsa_system_sgpr_workgroup_id_z 0
		.amdhsa_system_sgpr_workgroup_info 0
		.amdhsa_system_vgpr_workitem_id 0
		.amdhsa_next_free_vgpr 55
		.amdhsa_next_free_sgpr 24
		.amdhsa_named_barrier_count 0
		.amdhsa_reserve_vcc 1
		.amdhsa_float_round_mode_32 0
		.amdhsa_float_round_mode_16_64 0
		.amdhsa_float_denorm_mode_32 3
		.amdhsa_float_denorm_mode_16_64 3
		.amdhsa_fp16_overflow 0
		.amdhsa_memory_ordered 1
		.amdhsa_forward_progress 1
		.amdhsa_inst_pref_size 46
		.amdhsa_round_robin_scheduling 0
		.amdhsa_exception_fp_ieee_invalid_op 0
		.amdhsa_exception_fp_denorm_src 0
		.amdhsa_exception_fp_ieee_div_zero 0
		.amdhsa_exception_fp_ieee_overflow 0
		.amdhsa_exception_fp_ieee_underflow 0
		.amdhsa_exception_fp_ieee_inexact 0
		.amdhsa_exception_int_div_zero 0
	.end_amdhsa_kernel
	.section	.text._ZN7rocprim17ROCPRIM_400000_NS6detail17trampoline_kernelINS0_14default_configENS1_25partition_config_selectorILNS1_17partition_subalgoE8ElNS0_10empty_typeEbEEZZNS1_14partition_implILS5_8ELb0ES3_jPKlPS6_PKS6_NS0_5tupleIJPlS6_EEENSE_IJSB_SB_EEENS0_18inequality_wrapperIN6hipcub16HIPCUB_304000_NS8EqualityEEESF_JS6_EEE10hipError_tPvRmT3_T4_T5_T6_T7_T9_mT8_P12ihipStream_tbDpT10_ENKUlT_T0_E_clISt17integral_constantIbLb0EES16_EEDaS11_S12_EUlS11_E_NS1_11comp_targetILNS1_3genE0ELNS1_11target_archE4294967295ELNS1_3gpuE0ELNS1_3repE0EEENS1_30default_config_static_selectorELNS0_4arch9wavefront6targetE0EEEvT1_,"axG",@progbits,_ZN7rocprim17ROCPRIM_400000_NS6detail17trampoline_kernelINS0_14default_configENS1_25partition_config_selectorILNS1_17partition_subalgoE8ElNS0_10empty_typeEbEEZZNS1_14partition_implILS5_8ELb0ES3_jPKlPS6_PKS6_NS0_5tupleIJPlS6_EEENSE_IJSB_SB_EEENS0_18inequality_wrapperIN6hipcub16HIPCUB_304000_NS8EqualityEEESF_JS6_EEE10hipError_tPvRmT3_T4_T5_T6_T7_T9_mT8_P12ihipStream_tbDpT10_ENKUlT_T0_E_clISt17integral_constantIbLb0EES16_EEDaS11_S12_EUlS11_E_NS1_11comp_targetILNS1_3genE0ELNS1_11target_archE4294967295ELNS1_3gpuE0ELNS1_3repE0EEENS1_30default_config_static_selectorELNS0_4arch9wavefront6targetE0EEEvT1_,comdat
.Lfunc_end226:
	.size	_ZN7rocprim17ROCPRIM_400000_NS6detail17trampoline_kernelINS0_14default_configENS1_25partition_config_selectorILNS1_17partition_subalgoE8ElNS0_10empty_typeEbEEZZNS1_14partition_implILS5_8ELb0ES3_jPKlPS6_PKS6_NS0_5tupleIJPlS6_EEENSE_IJSB_SB_EEENS0_18inequality_wrapperIN6hipcub16HIPCUB_304000_NS8EqualityEEESF_JS6_EEE10hipError_tPvRmT3_T4_T5_T6_T7_T9_mT8_P12ihipStream_tbDpT10_ENKUlT_T0_E_clISt17integral_constantIbLb0EES16_EEDaS11_S12_EUlS11_E_NS1_11comp_targetILNS1_3genE0ELNS1_11target_archE4294967295ELNS1_3gpuE0ELNS1_3repE0EEENS1_30default_config_static_selectorELNS0_4arch9wavefront6targetE0EEEvT1_, .Lfunc_end226-_ZN7rocprim17ROCPRIM_400000_NS6detail17trampoline_kernelINS0_14default_configENS1_25partition_config_selectorILNS1_17partition_subalgoE8ElNS0_10empty_typeEbEEZZNS1_14partition_implILS5_8ELb0ES3_jPKlPS6_PKS6_NS0_5tupleIJPlS6_EEENSE_IJSB_SB_EEENS0_18inequality_wrapperIN6hipcub16HIPCUB_304000_NS8EqualityEEESF_JS6_EEE10hipError_tPvRmT3_T4_T5_T6_T7_T9_mT8_P12ihipStream_tbDpT10_ENKUlT_T0_E_clISt17integral_constantIbLb0EES16_EEDaS11_S12_EUlS11_E_NS1_11comp_targetILNS1_3genE0ELNS1_11target_archE4294967295ELNS1_3gpuE0ELNS1_3repE0EEENS1_30default_config_static_selectorELNS0_4arch9wavefront6targetE0EEEvT1_
                                        ; -- End function
	.set _ZN7rocprim17ROCPRIM_400000_NS6detail17trampoline_kernelINS0_14default_configENS1_25partition_config_selectorILNS1_17partition_subalgoE8ElNS0_10empty_typeEbEEZZNS1_14partition_implILS5_8ELb0ES3_jPKlPS6_PKS6_NS0_5tupleIJPlS6_EEENSE_IJSB_SB_EEENS0_18inequality_wrapperIN6hipcub16HIPCUB_304000_NS8EqualityEEESF_JS6_EEE10hipError_tPvRmT3_T4_T5_T6_T7_T9_mT8_P12ihipStream_tbDpT10_ENKUlT_T0_E_clISt17integral_constantIbLb0EES16_EEDaS11_S12_EUlS11_E_NS1_11comp_targetILNS1_3genE0ELNS1_11target_archE4294967295ELNS1_3gpuE0ELNS1_3repE0EEENS1_30default_config_static_selectorELNS0_4arch9wavefront6targetE0EEEvT1_.num_vgpr, 55
	.set _ZN7rocprim17ROCPRIM_400000_NS6detail17trampoline_kernelINS0_14default_configENS1_25partition_config_selectorILNS1_17partition_subalgoE8ElNS0_10empty_typeEbEEZZNS1_14partition_implILS5_8ELb0ES3_jPKlPS6_PKS6_NS0_5tupleIJPlS6_EEENSE_IJSB_SB_EEENS0_18inequality_wrapperIN6hipcub16HIPCUB_304000_NS8EqualityEEESF_JS6_EEE10hipError_tPvRmT3_T4_T5_T6_T7_T9_mT8_P12ihipStream_tbDpT10_ENKUlT_T0_E_clISt17integral_constantIbLb0EES16_EEDaS11_S12_EUlS11_E_NS1_11comp_targetILNS1_3genE0ELNS1_11target_archE4294967295ELNS1_3gpuE0ELNS1_3repE0EEENS1_30default_config_static_selectorELNS0_4arch9wavefront6targetE0EEEvT1_.num_agpr, 0
	.set _ZN7rocprim17ROCPRIM_400000_NS6detail17trampoline_kernelINS0_14default_configENS1_25partition_config_selectorILNS1_17partition_subalgoE8ElNS0_10empty_typeEbEEZZNS1_14partition_implILS5_8ELb0ES3_jPKlPS6_PKS6_NS0_5tupleIJPlS6_EEENSE_IJSB_SB_EEENS0_18inequality_wrapperIN6hipcub16HIPCUB_304000_NS8EqualityEEESF_JS6_EEE10hipError_tPvRmT3_T4_T5_T6_T7_T9_mT8_P12ihipStream_tbDpT10_ENKUlT_T0_E_clISt17integral_constantIbLb0EES16_EEDaS11_S12_EUlS11_E_NS1_11comp_targetILNS1_3genE0ELNS1_11target_archE4294967295ELNS1_3gpuE0ELNS1_3repE0EEENS1_30default_config_static_selectorELNS0_4arch9wavefront6targetE0EEEvT1_.numbered_sgpr, 24
	.set _ZN7rocprim17ROCPRIM_400000_NS6detail17trampoline_kernelINS0_14default_configENS1_25partition_config_selectorILNS1_17partition_subalgoE8ElNS0_10empty_typeEbEEZZNS1_14partition_implILS5_8ELb0ES3_jPKlPS6_PKS6_NS0_5tupleIJPlS6_EEENSE_IJSB_SB_EEENS0_18inequality_wrapperIN6hipcub16HIPCUB_304000_NS8EqualityEEESF_JS6_EEE10hipError_tPvRmT3_T4_T5_T6_T7_T9_mT8_P12ihipStream_tbDpT10_ENKUlT_T0_E_clISt17integral_constantIbLb0EES16_EEDaS11_S12_EUlS11_E_NS1_11comp_targetILNS1_3genE0ELNS1_11target_archE4294967295ELNS1_3gpuE0ELNS1_3repE0EEENS1_30default_config_static_selectorELNS0_4arch9wavefront6targetE0EEEvT1_.num_named_barrier, 0
	.set _ZN7rocprim17ROCPRIM_400000_NS6detail17trampoline_kernelINS0_14default_configENS1_25partition_config_selectorILNS1_17partition_subalgoE8ElNS0_10empty_typeEbEEZZNS1_14partition_implILS5_8ELb0ES3_jPKlPS6_PKS6_NS0_5tupleIJPlS6_EEENSE_IJSB_SB_EEENS0_18inequality_wrapperIN6hipcub16HIPCUB_304000_NS8EqualityEEESF_JS6_EEE10hipError_tPvRmT3_T4_T5_T6_T7_T9_mT8_P12ihipStream_tbDpT10_ENKUlT_T0_E_clISt17integral_constantIbLb0EES16_EEDaS11_S12_EUlS11_E_NS1_11comp_targetILNS1_3genE0ELNS1_11target_archE4294967295ELNS1_3gpuE0ELNS1_3repE0EEENS1_30default_config_static_selectorELNS0_4arch9wavefront6targetE0EEEvT1_.private_seg_size, 0
	.set _ZN7rocprim17ROCPRIM_400000_NS6detail17trampoline_kernelINS0_14default_configENS1_25partition_config_selectorILNS1_17partition_subalgoE8ElNS0_10empty_typeEbEEZZNS1_14partition_implILS5_8ELb0ES3_jPKlPS6_PKS6_NS0_5tupleIJPlS6_EEENSE_IJSB_SB_EEENS0_18inequality_wrapperIN6hipcub16HIPCUB_304000_NS8EqualityEEESF_JS6_EEE10hipError_tPvRmT3_T4_T5_T6_T7_T9_mT8_P12ihipStream_tbDpT10_ENKUlT_T0_E_clISt17integral_constantIbLb0EES16_EEDaS11_S12_EUlS11_E_NS1_11comp_targetILNS1_3genE0ELNS1_11target_archE4294967295ELNS1_3gpuE0ELNS1_3repE0EEENS1_30default_config_static_selectorELNS0_4arch9wavefront6targetE0EEEvT1_.uses_vcc, 1
	.set _ZN7rocprim17ROCPRIM_400000_NS6detail17trampoline_kernelINS0_14default_configENS1_25partition_config_selectorILNS1_17partition_subalgoE8ElNS0_10empty_typeEbEEZZNS1_14partition_implILS5_8ELb0ES3_jPKlPS6_PKS6_NS0_5tupleIJPlS6_EEENSE_IJSB_SB_EEENS0_18inequality_wrapperIN6hipcub16HIPCUB_304000_NS8EqualityEEESF_JS6_EEE10hipError_tPvRmT3_T4_T5_T6_T7_T9_mT8_P12ihipStream_tbDpT10_ENKUlT_T0_E_clISt17integral_constantIbLb0EES16_EEDaS11_S12_EUlS11_E_NS1_11comp_targetILNS1_3genE0ELNS1_11target_archE4294967295ELNS1_3gpuE0ELNS1_3repE0EEENS1_30default_config_static_selectorELNS0_4arch9wavefront6targetE0EEEvT1_.uses_flat_scratch, 0
	.set _ZN7rocprim17ROCPRIM_400000_NS6detail17trampoline_kernelINS0_14default_configENS1_25partition_config_selectorILNS1_17partition_subalgoE8ElNS0_10empty_typeEbEEZZNS1_14partition_implILS5_8ELb0ES3_jPKlPS6_PKS6_NS0_5tupleIJPlS6_EEENSE_IJSB_SB_EEENS0_18inequality_wrapperIN6hipcub16HIPCUB_304000_NS8EqualityEEESF_JS6_EEE10hipError_tPvRmT3_T4_T5_T6_T7_T9_mT8_P12ihipStream_tbDpT10_ENKUlT_T0_E_clISt17integral_constantIbLb0EES16_EEDaS11_S12_EUlS11_E_NS1_11comp_targetILNS1_3genE0ELNS1_11target_archE4294967295ELNS1_3gpuE0ELNS1_3repE0EEENS1_30default_config_static_selectorELNS0_4arch9wavefront6targetE0EEEvT1_.has_dyn_sized_stack, 0
	.set _ZN7rocprim17ROCPRIM_400000_NS6detail17trampoline_kernelINS0_14default_configENS1_25partition_config_selectorILNS1_17partition_subalgoE8ElNS0_10empty_typeEbEEZZNS1_14partition_implILS5_8ELb0ES3_jPKlPS6_PKS6_NS0_5tupleIJPlS6_EEENSE_IJSB_SB_EEENS0_18inequality_wrapperIN6hipcub16HIPCUB_304000_NS8EqualityEEESF_JS6_EEE10hipError_tPvRmT3_T4_T5_T6_T7_T9_mT8_P12ihipStream_tbDpT10_ENKUlT_T0_E_clISt17integral_constantIbLb0EES16_EEDaS11_S12_EUlS11_E_NS1_11comp_targetILNS1_3genE0ELNS1_11target_archE4294967295ELNS1_3gpuE0ELNS1_3repE0EEENS1_30default_config_static_selectorELNS0_4arch9wavefront6targetE0EEEvT1_.has_recursion, 0
	.set _ZN7rocprim17ROCPRIM_400000_NS6detail17trampoline_kernelINS0_14default_configENS1_25partition_config_selectorILNS1_17partition_subalgoE8ElNS0_10empty_typeEbEEZZNS1_14partition_implILS5_8ELb0ES3_jPKlPS6_PKS6_NS0_5tupleIJPlS6_EEENSE_IJSB_SB_EEENS0_18inequality_wrapperIN6hipcub16HIPCUB_304000_NS8EqualityEEESF_JS6_EEE10hipError_tPvRmT3_T4_T5_T6_T7_T9_mT8_P12ihipStream_tbDpT10_ENKUlT_T0_E_clISt17integral_constantIbLb0EES16_EEDaS11_S12_EUlS11_E_NS1_11comp_targetILNS1_3genE0ELNS1_11target_archE4294967295ELNS1_3gpuE0ELNS1_3repE0EEENS1_30default_config_static_selectorELNS0_4arch9wavefront6targetE0EEEvT1_.has_indirect_call, 0
	.section	.AMDGPU.csdata,"",@progbits
; Kernel info:
; codeLenInByte = 5820
; TotalNumSgprs: 26
; NumVgprs: 55
; ScratchSize: 0
; MemoryBound: 0
; FloatMode: 240
; IeeeMode: 1
; LDSByteSize: 28680 bytes/workgroup (compile time only)
; SGPRBlocks: 0
; VGPRBlocks: 3
; NumSGPRsForWavesPerEU: 26
; NumVGPRsForWavesPerEU: 55
; NamedBarCnt: 0
; Occupancy: 16
; WaveLimiterHint : 1
; COMPUTE_PGM_RSRC2:SCRATCH_EN: 0
; COMPUTE_PGM_RSRC2:USER_SGPR: 2
; COMPUTE_PGM_RSRC2:TRAP_HANDLER: 0
; COMPUTE_PGM_RSRC2:TGID_X_EN: 1
; COMPUTE_PGM_RSRC2:TGID_Y_EN: 0
; COMPUTE_PGM_RSRC2:TGID_Z_EN: 0
; COMPUTE_PGM_RSRC2:TIDIG_COMP_CNT: 0
	.section	.text._ZN7rocprim17ROCPRIM_400000_NS6detail17trampoline_kernelINS0_14default_configENS1_25partition_config_selectorILNS1_17partition_subalgoE8ElNS0_10empty_typeEbEEZZNS1_14partition_implILS5_8ELb0ES3_jPKlPS6_PKS6_NS0_5tupleIJPlS6_EEENSE_IJSB_SB_EEENS0_18inequality_wrapperIN6hipcub16HIPCUB_304000_NS8EqualityEEESF_JS6_EEE10hipError_tPvRmT3_T4_T5_T6_T7_T9_mT8_P12ihipStream_tbDpT10_ENKUlT_T0_E_clISt17integral_constantIbLb0EES16_EEDaS11_S12_EUlS11_E_NS1_11comp_targetILNS1_3genE5ELNS1_11target_archE942ELNS1_3gpuE9ELNS1_3repE0EEENS1_30default_config_static_selectorELNS0_4arch9wavefront6targetE0EEEvT1_,"axG",@progbits,_ZN7rocprim17ROCPRIM_400000_NS6detail17trampoline_kernelINS0_14default_configENS1_25partition_config_selectorILNS1_17partition_subalgoE8ElNS0_10empty_typeEbEEZZNS1_14partition_implILS5_8ELb0ES3_jPKlPS6_PKS6_NS0_5tupleIJPlS6_EEENSE_IJSB_SB_EEENS0_18inequality_wrapperIN6hipcub16HIPCUB_304000_NS8EqualityEEESF_JS6_EEE10hipError_tPvRmT3_T4_T5_T6_T7_T9_mT8_P12ihipStream_tbDpT10_ENKUlT_T0_E_clISt17integral_constantIbLb0EES16_EEDaS11_S12_EUlS11_E_NS1_11comp_targetILNS1_3genE5ELNS1_11target_archE942ELNS1_3gpuE9ELNS1_3repE0EEENS1_30default_config_static_selectorELNS0_4arch9wavefront6targetE0EEEvT1_,comdat
	.protected	_ZN7rocprim17ROCPRIM_400000_NS6detail17trampoline_kernelINS0_14default_configENS1_25partition_config_selectorILNS1_17partition_subalgoE8ElNS0_10empty_typeEbEEZZNS1_14partition_implILS5_8ELb0ES3_jPKlPS6_PKS6_NS0_5tupleIJPlS6_EEENSE_IJSB_SB_EEENS0_18inequality_wrapperIN6hipcub16HIPCUB_304000_NS8EqualityEEESF_JS6_EEE10hipError_tPvRmT3_T4_T5_T6_T7_T9_mT8_P12ihipStream_tbDpT10_ENKUlT_T0_E_clISt17integral_constantIbLb0EES16_EEDaS11_S12_EUlS11_E_NS1_11comp_targetILNS1_3genE5ELNS1_11target_archE942ELNS1_3gpuE9ELNS1_3repE0EEENS1_30default_config_static_selectorELNS0_4arch9wavefront6targetE0EEEvT1_ ; -- Begin function _ZN7rocprim17ROCPRIM_400000_NS6detail17trampoline_kernelINS0_14default_configENS1_25partition_config_selectorILNS1_17partition_subalgoE8ElNS0_10empty_typeEbEEZZNS1_14partition_implILS5_8ELb0ES3_jPKlPS6_PKS6_NS0_5tupleIJPlS6_EEENSE_IJSB_SB_EEENS0_18inequality_wrapperIN6hipcub16HIPCUB_304000_NS8EqualityEEESF_JS6_EEE10hipError_tPvRmT3_T4_T5_T6_T7_T9_mT8_P12ihipStream_tbDpT10_ENKUlT_T0_E_clISt17integral_constantIbLb0EES16_EEDaS11_S12_EUlS11_E_NS1_11comp_targetILNS1_3genE5ELNS1_11target_archE942ELNS1_3gpuE9ELNS1_3repE0EEENS1_30default_config_static_selectorELNS0_4arch9wavefront6targetE0EEEvT1_
	.globl	_ZN7rocprim17ROCPRIM_400000_NS6detail17trampoline_kernelINS0_14default_configENS1_25partition_config_selectorILNS1_17partition_subalgoE8ElNS0_10empty_typeEbEEZZNS1_14partition_implILS5_8ELb0ES3_jPKlPS6_PKS6_NS0_5tupleIJPlS6_EEENSE_IJSB_SB_EEENS0_18inequality_wrapperIN6hipcub16HIPCUB_304000_NS8EqualityEEESF_JS6_EEE10hipError_tPvRmT3_T4_T5_T6_T7_T9_mT8_P12ihipStream_tbDpT10_ENKUlT_T0_E_clISt17integral_constantIbLb0EES16_EEDaS11_S12_EUlS11_E_NS1_11comp_targetILNS1_3genE5ELNS1_11target_archE942ELNS1_3gpuE9ELNS1_3repE0EEENS1_30default_config_static_selectorELNS0_4arch9wavefront6targetE0EEEvT1_
	.p2align	8
	.type	_ZN7rocprim17ROCPRIM_400000_NS6detail17trampoline_kernelINS0_14default_configENS1_25partition_config_selectorILNS1_17partition_subalgoE8ElNS0_10empty_typeEbEEZZNS1_14partition_implILS5_8ELb0ES3_jPKlPS6_PKS6_NS0_5tupleIJPlS6_EEENSE_IJSB_SB_EEENS0_18inequality_wrapperIN6hipcub16HIPCUB_304000_NS8EqualityEEESF_JS6_EEE10hipError_tPvRmT3_T4_T5_T6_T7_T9_mT8_P12ihipStream_tbDpT10_ENKUlT_T0_E_clISt17integral_constantIbLb0EES16_EEDaS11_S12_EUlS11_E_NS1_11comp_targetILNS1_3genE5ELNS1_11target_archE942ELNS1_3gpuE9ELNS1_3repE0EEENS1_30default_config_static_selectorELNS0_4arch9wavefront6targetE0EEEvT1_,@function
_ZN7rocprim17ROCPRIM_400000_NS6detail17trampoline_kernelINS0_14default_configENS1_25partition_config_selectorILNS1_17partition_subalgoE8ElNS0_10empty_typeEbEEZZNS1_14partition_implILS5_8ELb0ES3_jPKlPS6_PKS6_NS0_5tupleIJPlS6_EEENSE_IJSB_SB_EEENS0_18inequality_wrapperIN6hipcub16HIPCUB_304000_NS8EqualityEEESF_JS6_EEE10hipError_tPvRmT3_T4_T5_T6_T7_T9_mT8_P12ihipStream_tbDpT10_ENKUlT_T0_E_clISt17integral_constantIbLb0EES16_EEDaS11_S12_EUlS11_E_NS1_11comp_targetILNS1_3genE5ELNS1_11target_archE942ELNS1_3gpuE9ELNS1_3repE0EEENS1_30default_config_static_selectorELNS0_4arch9wavefront6targetE0EEEvT1_: ; @_ZN7rocprim17ROCPRIM_400000_NS6detail17trampoline_kernelINS0_14default_configENS1_25partition_config_selectorILNS1_17partition_subalgoE8ElNS0_10empty_typeEbEEZZNS1_14partition_implILS5_8ELb0ES3_jPKlPS6_PKS6_NS0_5tupleIJPlS6_EEENSE_IJSB_SB_EEENS0_18inequality_wrapperIN6hipcub16HIPCUB_304000_NS8EqualityEEESF_JS6_EEE10hipError_tPvRmT3_T4_T5_T6_T7_T9_mT8_P12ihipStream_tbDpT10_ENKUlT_T0_E_clISt17integral_constantIbLb0EES16_EEDaS11_S12_EUlS11_E_NS1_11comp_targetILNS1_3genE5ELNS1_11target_archE942ELNS1_3gpuE9ELNS1_3repE0EEENS1_30default_config_static_selectorELNS0_4arch9wavefront6targetE0EEEvT1_
; %bb.0:
	.section	.rodata,"a",@progbits
	.p2align	6, 0x0
	.amdhsa_kernel _ZN7rocprim17ROCPRIM_400000_NS6detail17trampoline_kernelINS0_14default_configENS1_25partition_config_selectorILNS1_17partition_subalgoE8ElNS0_10empty_typeEbEEZZNS1_14partition_implILS5_8ELb0ES3_jPKlPS6_PKS6_NS0_5tupleIJPlS6_EEENSE_IJSB_SB_EEENS0_18inequality_wrapperIN6hipcub16HIPCUB_304000_NS8EqualityEEESF_JS6_EEE10hipError_tPvRmT3_T4_T5_T6_T7_T9_mT8_P12ihipStream_tbDpT10_ENKUlT_T0_E_clISt17integral_constantIbLb0EES16_EEDaS11_S12_EUlS11_E_NS1_11comp_targetILNS1_3genE5ELNS1_11target_archE942ELNS1_3gpuE9ELNS1_3repE0EEENS1_30default_config_static_selectorELNS0_4arch9wavefront6targetE0EEEvT1_
		.amdhsa_group_segment_fixed_size 0
		.amdhsa_private_segment_fixed_size 0
		.amdhsa_kernarg_size 112
		.amdhsa_user_sgpr_count 2
		.amdhsa_user_sgpr_dispatch_ptr 0
		.amdhsa_user_sgpr_queue_ptr 0
		.amdhsa_user_sgpr_kernarg_segment_ptr 1
		.amdhsa_user_sgpr_dispatch_id 0
		.amdhsa_user_sgpr_kernarg_preload_length 0
		.amdhsa_user_sgpr_kernarg_preload_offset 0
		.amdhsa_user_sgpr_private_segment_size 0
		.amdhsa_wavefront_size32 1
		.amdhsa_uses_dynamic_stack 0
		.amdhsa_enable_private_segment 0
		.amdhsa_system_sgpr_workgroup_id_x 1
		.amdhsa_system_sgpr_workgroup_id_y 0
		.amdhsa_system_sgpr_workgroup_id_z 0
		.amdhsa_system_sgpr_workgroup_info 0
		.amdhsa_system_vgpr_workitem_id 0
		.amdhsa_next_free_vgpr 1
		.amdhsa_next_free_sgpr 1
		.amdhsa_named_barrier_count 0
		.amdhsa_reserve_vcc 0
		.amdhsa_float_round_mode_32 0
		.amdhsa_float_round_mode_16_64 0
		.amdhsa_float_denorm_mode_32 3
		.amdhsa_float_denorm_mode_16_64 3
		.amdhsa_fp16_overflow 0
		.amdhsa_memory_ordered 1
		.amdhsa_forward_progress 1
		.amdhsa_inst_pref_size 0
		.amdhsa_round_robin_scheduling 0
		.amdhsa_exception_fp_ieee_invalid_op 0
		.amdhsa_exception_fp_denorm_src 0
		.amdhsa_exception_fp_ieee_div_zero 0
		.amdhsa_exception_fp_ieee_overflow 0
		.amdhsa_exception_fp_ieee_underflow 0
		.amdhsa_exception_fp_ieee_inexact 0
		.amdhsa_exception_int_div_zero 0
	.end_amdhsa_kernel
	.section	.text._ZN7rocprim17ROCPRIM_400000_NS6detail17trampoline_kernelINS0_14default_configENS1_25partition_config_selectorILNS1_17partition_subalgoE8ElNS0_10empty_typeEbEEZZNS1_14partition_implILS5_8ELb0ES3_jPKlPS6_PKS6_NS0_5tupleIJPlS6_EEENSE_IJSB_SB_EEENS0_18inequality_wrapperIN6hipcub16HIPCUB_304000_NS8EqualityEEESF_JS6_EEE10hipError_tPvRmT3_T4_T5_T6_T7_T9_mT8_P12ihipStream_tbDpT10_ENKUlT_T0_E_clISt17integral_constantIbLb0EES16_EEDaS11_S12_EUlS11_E_NS1_11comp_targetILNS1_3genE5ELNS1_11target_archE942ELNS1_3gpuE9ELNS1_3repE0EEENS1_30default_config_static_selectorELNS0_4arch9wavefront6targetE0EEEvT1_,"axG",@progbits,_ZN7rocprim17ROCPRIM_400000_NS6detail17trampoline_kernelINS0_14default_configENS1_25partition_config_selectorILNS1_17partition_subalgoE8ElNS0_10empty_typeEbEEZZNS1_14partition_implILS5_8ELb0ES3_jPKlPS6_PKS6_NS0_5tupleIJPlS6_EEENSE_IJSB_SB_EEENS0_18inequality_wrapperIN6hipcub16HIPCUB_304000_NS8EqualityEEESF_JS6_EEE10hipError_tPvRmT3_T4_T5_T6_T7_T9_mT8_P12ihipStream_tbDpT10_ENKUlT_T0_E_clISt17integral_constantIbLb0EES16_EEDaS11_S12_EUlS11_E_NS1_11comp_targetILNS1_3genE5ELNS1_11target_archE942ELNS1_3gpuE9ELNS1_3repE0EEENS1_30default_config_static_selectorELNS0_4arch9wavefront6targetE0EEEvT1_,comdat
.Lfunc_end227:
	.size	_ZN7rocprim17ROCPRIM_400000_NS6detail17trampoline_kernelINS0_14default_configENS1_25partition_config_selectorILNS1_17partition_subalgoE8ElNS0_10empty_typeEbEEZZNS1_14partition_implILS5_8ELb0ES3_jPKlPS6_PKS6_NS0_5tupleIJPlS6_EEENSE_IJSB_SB_EEENS0_18inequality_wrapperIN6hipcub16HIPCUB_304000_NS8EqualityEEESF_JS6_EEE10hipError_tPvRmT3_T4_T5_T6_T7_T9_mT8_P12ihipStream_tbDpT10_ENKUlT_T0_E_clISt17integral_constantIbLb0EES16_EEDaS11_S12_EUlS11_E_NS1_11comp_targetILNS1_3genE5ELNS1_11target_archE942ELNS1_3gpuE9ELNS1_3repE0EEENS1_30default_config_static_selectorELNS0_4arch9wavefront6targetE0EEEvT1_, .Lfunc_end227-_ZN7rocprim17ROCPRIM_400000_NS6detail17trampoline_kernelINS0_14default_configENS1_25partition_config_selectorILNS1_17partition_subalgoE8ElNS0_10empty_typeEbEEZZNS1_14partition_implILS5_8ELb0ES3_jPKlPS6_PKS6_NS0_5tupleIJPlS6_EEENSE_IJSB_SB_EEENS0_18inequality_wrapperIN6hipcub16HIPCUB_304000_NS8EqualityEEESF_JS6_EEE10hipError_tPvRmT3_T4_T5_T6_T7_T9_mT8_P12ihipStream_tbDpT10_ENKUlT_T0_E_clISt17integral_constantIbLb0EES16_EEDaS11_S12_EUlS11_E_NS1_11comp_targetILNS1_3genE5ELNS1_11target_archE942ELNS1_3gpuE9ELNS1_3repE0EEENS1_30default_config_static_selectorELNS0_4arch9wavefront6targetE0EEEvT1_
                                        ; -- End function
	.set _ZN7rocprim17ROCPRIM_400000_NS6detail17trampoline_kernelINS0_14default_configENS1_25partition_config_selectorILNS1_17partition_subalgoE8ElNS0_10empty_typeEbEEZZNS1_14partition_implILS5_8ELb0ES3_jPKlPS6_PKS6_NS0_5tupleIJPlS6_EEENSE_IJSB_SB_EEENS0_18inequality_wrapperIN6hipcub16HIPCUB_304000_NS8EqualityEEESF_JS6_EEE10hipError_tPvRmT3_T4_T5_T6_T7_T9_mT8_P12ihipStream_tbDpT10_ENKUlT_T0_E_clISt17integral_constantIbLb0EES16_EEDaS11_S12_EUlS11_E_NS1_11comp_targetILNS1_3genE5ELNS1_11target_archE942ELNS1_3gpuE9ELNS1_3repE0EEENS1_30default_config_static_selectorELNS0_4arch9wavefront6targetE0EEEvT1_.num_vgpr, 0
	.set _ZN7rocprim17ROCPRIM_400000_NS6detail17trampoline_kernelINS0_14default_configENS1_25partition_config_selectorILNS1_17partition_subalgoE8ElNS0_10empty_typeEbEEZZNS1_14partition_implILS5_8ELb0ES3_jPKlPS6_PKS6_NS0_5tupleIJPlS6_EEENSE_IJSB_SB_EEENS0_18inequality_wrapperIN6hipcub16HIPCUB_304000_NS8EqualityEEESF_JS6_EEE10hipError_tPvRmT3_T4_T5_T6_T7_T9_mT8_P12ihipStream_tbDpT10_ENKUlT_T0_E_clISt17integral_constantIbLb0EES16_EEDaS11_S12_EUlS11_E_NS1_11comp_targetILNS1_3genE5ELNS1_11target_archE942ELNS1_3gpuE9ELNS1_3repE0EEENS1_30default_config_static_selectorELNS0_4arch9wavefront6targetE0EEEvT1_.num_agpr, 0
	.set _ZN7rocprim17ROCPRIM_400000_NS6detail17trampoline_kernelINS0_14default_configENS1_25partition_config_selectorILNS1_17partition_subalgoE8ElNS0_10empty_typeEbEEZZNS1_14partition_implILS5_8ELb0ES3_jPKlPS6_PKS6_NS0_5tupleIJPlS6_EEENSE_IJSB_SB_EEENS0_18inequality_wrapperIN6hipcub16HIPCUB_304000_NS8EqualityEEESF_JS6_EEE10hipError_tPvRmT3_T4_T5_T6_T7_T9_mT8_P12ihipStream_tbDpT10_ENKUlT_T0_E_clISt17integral_constantIbLb0EES16_EEDaS11_S12_EUlS11_E_NS1_11comp_targetILNS1_3genE5ELNS1_11target_archE942ELNS1_3gpuE9ELNS1_3repE0EEENS1_30default_config_static_selectorELNS0_4arch9wavefront6targetE0EEEvT1_.numbered_sgpr, 0
	.set _ZN7rocprim17ROCPRIM_400000_NS6detail17trampoline_kernelINS0_14default_configENS1_25partition_config_selectorILNS1_17partition_subalgoE8ElNS0_10empty_typeEbEEZZNS1_14partition_implILS5_8ELb0ES3_jPKlPS6_PKS6_NS0_5tupleIJPlS6_EEENSE_IJSB_SB_EEENS0_18inequality_wrapperIN6hipcub16HIPCUB_304000_NS8EqualityEEESF_JS6_EEE10hipError_tPvRmT3_T4_T5_T6_T7_T9_mT8_P12ihipStream_tbDpT10_ENKUlT_T0_E_clISt17integral_constantIbLb0EES16_EEDaS11_S12_EUlS11_E_NS1_11comp_targetILNS1_3genE5ELNS1_11target_archE942ELNS1_3gpuE9ELNS1_3repE0EEENS1_30default_config_static_selectorELNS0_4arch9wavefront6targetE0EEEvT1_.num_named_barrier, 0
	.set _ZN7rocprim17ROCPRIM_400000_NS6detail17trampoline_kernelINS0_14default_configENS1_25partition_config_selectorILNS1_17partition_subalgoE8ElNS0_10empty_typeEbEEZZNS1_14partition_implILS5_8ELb0ES3_jPKlPS6_PKS6_NS0_5tupleIJPlS6_EEENSE_IJSB_SB_EEENS0_18inequality_wrapperIN6hipcub16HIPCUB_304000_NS8EqualityEEESF_JS6_EEE10hipError_tPvRmT3_T4_T5_T6_T7_T9_mT8_P12ihipStream_tbDpT10_ENKUlT_T0_E_clISt17integral_constantIbLb0EES16_EEDaS11_S12_EUlS11_E_NS1_11comp_targetILNS1_3genE5ELNS1_11target_archE942ELNS1_3gpuE9ELNS1_3repE0EEENS1_30default_config_static_selectorELNS0_4arch9wavefront6targetE0EEEvT1_.private_seg_size, 0
	.set _ZN7rocprim17ROCPRIM_400000_NS6detail17trampoline_kernelINS0_14default_configENS1_25partition_config_selectorILNS1_17partition_subalgoE8ElNS0_10empty_typeEbEEZZNS1_14partition_implILS5_8ELb0ES3_jPKlPS6_PKS6_NS0_5tupleIJPlS6_EEENSE_IJSB_SB_EEENS0_18inequality_wrapperIN6hipcub16HIPCUB_304000_NS8EqualityEEESF_JS6_EEE10hipError_tPvRmT3_T4_T5_T6_T7_T9_mT8_P12ihipStream_tbDpT10_ENKUlT_T0_E_clISt17integral_constantIbLb0EES16_EEDaS11_S12_EUlS11_E_NS1_11comp_targetILNS1_3genE5ELNS1_11target_archE942ELNS1_3gpuE9ELNS1_3repE0EEENS1_30default_config_static_selectorELNS0_4arch9wavefront6targetE0EEEvT1_.uses_vcc, 0
	.set _ZN7rocprim17ROCPRIM_400000_NS6detail17trampoline_kernelINS0_14default_configENS1_25partition_config_selectorILNS1_17partition_subalgoE8ElNS0_10empty_typeEbEEZZNS1_14partition_implILS5_8ELb0ES3_jPKlPS6_PKS6_NS0_5tupleIJPlS6_EEENSE_IJSB_SB_EEENS0_18inequality_wrapperIN6hipcub16HIPCUB_304000_NS8EqualityEEESF_JS6_EEE10hipError_tPvRmT3_T4_T5_T6_T7_T9_mT8_P12ihipStream_tbDpT10_ENKUlT_T0_E_clISt17integral_constantIbLb0EES16_EEDaS11_S12_EUlS11_E_NS1_11comp_targetILNS1_3genE5ELNS1_11target_archE942ELNS1_3gpuE9ELNS1_3repE0EEENS1_30default_config_static_selectorELNS0_4arch9wavefront6targetE0EEEvT1_.uses_flat_scratch, 0
	.set _ZN7rocprim17ROCPRIM_400000_NS6detail17trampoline_kernelINS0_14default_configENS1_25partition_config_selectorILNS1_17partition_subalgoE8ElNS0_10empty_typeEbEEZZNS1_14partition_implILS5_8ELb0ES3_jPKlPS6_PKS6_NS0_5tupleIJPlS6_EEENSE_IJSB_SB_EEENS0_18inequality_wrapperIN6hipcub16HIPCUB_304000_NS8EqualityEEESF_JS6_EEE10hipError_tPvRmT3_T4_T5_T6_T7_T9_mT8_P12ihipStream_tbDpT10_ENKUlT_T0_E_clISt17integral_constantIbLb0EES16_EEDaS11_S12_EUlS11_E_NS1_11comp_targetILNS1_3genE5ELNS1_11target_archE942ELNS1_3gpuE9ELNS1_3repE0EEENS1_30default_config_static_selectorELNS0_4arch9wavefront6targetE0EEEvT1_.has_dyn_sized_stack, 0
	.set _ZN7rocprim17ROCPRIM_400000_NS6detail17trampoline_kernelINS0_14default_configENS1_25partition_config_selectorILNS1_17partition_subalgoE8ElNS0_10empty_typeEbEEZZNS1_14partition_implILS5_8ELb0ES3_jPKlPS6_PKS6_NS0_5tupleIJPlS6_EEENSE_IJSB_SB_EEENS0_18inequality_wrapperIN6hipcub16HIPCUB_304000_NS8EqualityEEESF_JS6_EEE10hipError_tPvRmT3_T4_T5_T6_T7_T9_mT8_P12ihipStream_tbDpT10_ENKUlT_T0_E_clISt17integral_constantIbLb0EES16_EEDaS11_S12_EUlS11_E_NS1_11comp_targetILNS1_3genE5ELNS1_11target_archE942ELNS1_3gpuE9ELNS1_3repE0EEENS1_30default_config_static_selectorELNS0_4arch9wavefront6targetE0EEEvT1_.has_recursion, 0
	.set _ZN7rocprim17ROCPRIM_400000_NS6detail17trampoline_kernelINS0_14default_configENS1_25partition_config_selectorILNS1_17partition_subalgoE8ElNS0_10empty_typeEbEEZZNS1_14partition_implILS5_8ELb0ES3_jPKlPS6_PKS6_NS0_5tupleIJPlS6_EEENSE_IJSB_SB_EEENS0_18inequality_wrapperIN6hipcub16HIPCUB_304000_NS8EqualityEEESF_JS6_EEE10hipError_tPvRmT3_T4_T5_T6_T7_T9_mT8_P12ihipStream_tbDpT10_ENKUlT_T0_E_clISt17integral_constantIbLb0EES16_EEDaS11_S12_EUlS11_E_NS1_11comp_targetILNS1_3genE5ELNS1_11target_archE942ELNS1_3gpuE9ELNS1_3repE0EEENS1_30default_config_static_selectorELNS0_4arch9wavefront6targetE0EEEvT1_.has_indirect_call, 0
	.section	.AMDGPU.csdata,"",@progbits
; Kernel info:
; codeLenInByte = 0
; TotalNumSgprs: 0
; NumVgprs: 0
; ScratchSize: 0
; MemoryBound: 0
; FloatMode: 240
; IeeeMode: 1
; LDSByteSize: 0 bytes/workgroup (compile time only)
; SGPRBlocks: 0
; VGPRBlocks: 0
; NumSGPRsForWavesPerEU: 1
; NumVGPRsForWavesPerEU: 1
; NamedBarCnt: 0
; Occupancy: 16
; WaveLimiterHint : 0
; COMPUTE_PGM_RSRC2:SCRATCH_EN: 0
; COMPUTE_PGM_RSRC2:USER_SGPR: 2
; COMPUTE_PGM_RSRC2:TRAP_HANDLER: 0
; COMPUTE_PGM_RSRC2:TGID_X_EN: 1
; COMPUTE_PGM_RSRC2:TGID_Y_EN: 0
; COMPUTE_PGM_RSRC2:TGID_Z_EN: 0
; COMPUTE_PGM_RSRC2:TIDIG_COMP_CNT: 0
	.section	.text._ZN7rocprim17ROCPRIM_400000_NS6detail17trampoline_kernelINS0_14default_configENS1_25partition_config_selectorILNS1_17partition_subalgoE8ElNS0_10empty_typeEbEEZZNS1_14partition_implILS5_8ELb0ES3_jPKlPS6_PKS6_NS0_5tupleIJPlS6_EEENSE_IJSB_SB_EEENS0_18inequality_wrapperIN6hipcub16HIPCUB_304000_NS8EqualityEEESF_JS6_EEE10hipError_tPvRmT3_T4_T5_T6_T7_T9_mT8_P12ihipStream_tbDpT10_ENKUlT_T0_E_clISt17integral_constantIbLb0EES16_EEDaS11_S12_EUlS11_E_NS1_11comp_targetILNS1_3genE4ELNS1_11target_archE910ELNS1_3gpuE8ELNS1_3repE0EEENS1_30default_config_static_selectorELNS0_4arch9wavefront6targetE0EEEvT1_,"axG",@progbits,_ZN7rocprim17ROCPRIM_400000_NS6detail17trampoline_kernelINS0_14default_configENS1_25partition_config_selectorILNS1_17partition_subalgoE8ElNS0_10empty_typeEbEEZZNS1_14partition_implILS5_8ELb0ES3_jPKlPS6_PKS6_NS0_5tupleIJPlS6_EEENSE_IJSB_SB_EEENS0_18inequality_wrapperIN6hipcub16HIPCUB_304000_NS8EqualityEEESF_JS6_EEE10hipError_tPvRmT3_T4_T5_T6_T7_T9_mT8_P12ihipStream_tbDpT10_ENKUlT_T0_E_clISt17integral_constantIbLb0EES16_EEDaS11_S12_EUlS11_E_NS1_11comp_targetILNS1_3genE4ELNS1_11target_archE910ELNS1_3gpuE8ELNS1_3repE0EEENS1_30default_config_static_selectorELNS0_4arch9wavefront6targetE0EEEvT1_,comdat
	.protected	_ZN7rocprim17ROCPRIM_400000_NS6detail17trampoline_kernelINS0_14default_configENS1_25partition_config_selectorILNS1_17partition_subalgoE8ElNS0_10empty_typeEbEEZZNS1_14partition_implILS5_8ELb0ES3_jPKlPS6_PKS6_NS0_5tupleIJPlS6_EEENSE_IJSB_SB_EEENS0_18inequality_wrapperIN6hipcub16HIPCUB_304000_NS8EqualityEEESF_JS6_EEE10hipError_tPvRmT3_T4_T5_T6_T7_T9_mT8_P12ihipStream_tbDpT10_ENKUlT_T0_E_clISt17integral_constantIbLb0EES16_EEDaS11_S12_EUlS11_E_NS1_11comp_targetILNS1_3genE4ELNS1_11target_archE910ELNS1_3gpuE8ELNS1_3repE0EEENS1_30default_config_static_selectorELNS0_4arch9wavefront6targetE0EEEvT1_ ; -- Begin function _ZN7rocprim17ROCPRIM_400000_NS6detail17trampoline_kernelINS0_14default_configENS1_25partition_config_selectorILNS1_17partition_subalgoE8ElNS0_10empty_typeEbEEZZNS1_14partition_implILS5_8ELb0ES3_jPKlPS6_PKS6_NS0_5tupleIJPlS6_EEENSE_IJSB_SB_EEENS0_18inequality_wrapperIN6hipcub16HIPCUB_304000_NS8EqualityEEESF_JS6_EEE10hipError_tPvRmT3_T4_T5_T6_T7_T9_mT8_P12ihipStream_tbDpT10_ENKUlT_T0_E_clISt17integral_constantIbLb0EES16_EEDaS11_S12_EUlS11_E_NS1_11comp_targetILNS1_3genE4ELNS1_11target_archE910ELNS1_3gpuE8ELNS1_3repE0EEENS1_30default_config_static_selectorELNS0_4arch9wavefront6targetE0EEEvT1_
	.globl	_ZN7rocprim17ROCPRIM_400000_NS6detail17trampoline_kernelINS0_14default_configENS1_25partition_config_selectorILNS1_17partition_subalgoE8ElNS0_10empty_typeEbEEZZNS1_14partition_implILS5_8ELb0ES3_jPKlPS6_PKS6_NS0_5tupleIJPlS6_EEENSE_IJSB_SB_EEENS0_18inequality_wrapperIN6hipcub16HIPCUB_304000_NS8EqualityEEESF_JS6_EEE10hipError_tPvRmT3_T4_T5_T6_T7_T9_mT8_P12ihipStream_tbDpT10_ENKUlT_T0_E_clISt17integral_constantIbLb0EES16_EEDaS11_S12_EUlS11_E_NS1_11comp_targetILNS1_3genE4ELNS1_11target_archE910ELNS1_3gpuE8ELNS1_3repE0EEENS1_30default_config_static_selectorELNS0_4arch9wavefront6targetE0EEEvT1_
	.p2align	8
	.type	_ZN7rocprim17ROCPRIM_400000_NS6detail17trampoline_kernelINS0_14default_configENS1_25partition_config_selectorILNS1_17partition_subalgoE8ElNS0_10empty_typeEbEEZZNS1_14partition_implILS5_8ELb0ES3_jPKlPS6_PKS6_NS0_5tupleIJPlS6_EEENSE_IJSB_SB_EEENS0_18inequality_wrapperIN6hipcub16HIPCUB_304000_NS8EqualityEEESF_JS6_EEE10hipError_tPvRmT3_T4_T5_T6_T7_T9_mT8_P12ihipStream_tbDpT10_ENKUlT_T0_E_clISt17integral_constantIbLb0EES16_EEDaS11_S12_EUlS11_E_NS1_11comp_targetILNS1_3genE4ELNS1_11target_archE910ELNS1_3gpuE8ELNS1_3repE0EEENS1_30default_config_static_selectorELNS0_4arch9wavefront6targetE0EEEvT1_,@function
_ZN7rocprim17ROCPRIM_400000_NS6detail17trampoline_kernelINS0_14default_configENS1_25partition_config_selectorILNS1_17partition_subalgoE8ElNS0_10empty_typeEbEEZZNS1_14partition_implILS5_8ELb0ES3_jPKlPS6_PKS6_NS0_5tupleIJPlS6_EEENSE_IJSB_SB_EEENS0_18inequality_wrapperIN6hipcub16HIPCUB_304000_NS8EqualityEEESF_JS6_EEE10hipError_tPvRmT3_T4_T5_T6_T7_T9_mT8_P12ihipStream_tbDpT10_ENKUlT_T0_E_clISt17integral_constantIbLb0EES16_EEDaS11_S12_EUlS11_E_NS1_11comp_targetILNS1_3genE4ELNS1_11target_archE910ELNS1_3gpuE8ELNS1_3repE0EEENS1_30default_config_static_selectorELNS0_4arch9wavefront6targetE0EEEvT1_: ; @_ZN7rocprim17ROCPRIM_400000_NS6detail17trampoline_kernelINS0_14default_configENS1_25partition_config_selectorILNS1_17partition_subalgoE8ElNS0_10empty_typeEbEEZZNS1_14partition_implILS5_8ELb0ES3_jPKlPS6_PKS6_NS0_5tupleIJPlS6_EEENSE_IJSB_SB_EEENS0_18inequality_wrapperIN6hipcub16HIPCUB_304000_NS8EqualityEEESF_JS6_EEE10hipError_tPvRmT3_T4_T5_T6_T7_T9_mT8_P12ihipStream_tbDpT10_ENKUlT_T0_E_clISt17integral_constantIbLb0EES16_EEDaS11_S12_EUlS11_E_NS1_11comp_targetILNS1_3genE4ELNS1_11target_archE910ELNS1_3gpuE8ELNS1_3repE0EEENS1_30default_config_static_selectorELNS0_4arch9wavefront6targetE0EEEvT1_
; %bb.0:
	.section	.rodata,"a",@progbits
	.p2align	6, 0x0
	.amdhsa_kernel _ZN7rocprim17ROCPRIM_400000_NS6detail17trampoline_kernelINS0_14default_configENS1_25partition_config_selectorILNS1_17partition_subalgoE8ElNS0_10empty_typeEbEEZZNS1_14partition_implILS5_8ELb0ES3_jPKlPS6_PKS6_NS0_5tupleIJPlS6_EEENSE_IJSB_SB_EEENS0_18inequality_wrapperIN6hipcub16HIPCUB_304000_NS8EqualityEEESF_JS6_EEE10hipError_tPvRmT3_T4_T5_T6_T7_T9_mT8_P12ihipStream_tbDpT10_ENKUlT_T0_E_clISt17integral_constantIbLb0EES16_EEDaS11_S12_EUlS11_E_NS1_11comp_targetILNS1_3genE4ELNS1_11target_archE910ELNS1_3gpuE8ELNS1_3repE0EEENS1_30default_config_static_selectorELNS0_4arch9wavefront6targetE0EEEvT1_
		.amdhsa_group_segment_fixed_size 0
		.amdhsa_private_segment_fixed_size 0
		.amdhsa_kernarg_size 112
		.amdhsa_user_sgpr_count 2
		.amdhsa_user_sgpr_dispatch_ptr 0
		.amdhsa_user_sgpr_queue_ptr 0
		.amdhsa_user_sgpr_kernarg_segment_ptr 1
		.amdhsa_user_sgpr_dispatch_id 0
		.amdhsa_user_sgpr_kernarg_preload_length 0
		.amdhsa_user_sgpr_kernarg_preload_offset 0
		.amdhsa_user_sgpr_private_segment_size 0
		.amdhsa_wavefront_size32 1
		.amdhsa_uses_dynamic_stack 0
		.amdhsa_enable_private_segment 0
		.amdhsa_system_sgpr_workgroup_id_x 1
		.amdhsa_system_sgpr_workgroup_id_y 0
		.amdhsa_system_sgpr_workgroup_id_z 0
		.amdhsa_system_sgpr_workgroup_info 0
		.amdhsa_system_vgpr_workitem_id 0
		.amdhsa_next_free_vgpr 1
		.amdhsa_next_free_sgpr 1
		.amdhsa_named_barrier_count 0
		.amdhsa_reserve_vcc 0
		.amdhsa_float_round_mode_32 0
		.amdhsa_float_round_mode_16_64 0
		.amdhsa_float_denorm_mode_32 3
		.amdhsa_float_denorm_mode_16_64 3
		.amdhsa_fp16_overflow 0
		.amdhsa_memory_ordered 1
		.amdhsa_forward_progress 1
		.amdhsa_inst_pref_size 0
		.amdhsa_round_robin_scheduling 0
		.amdhsa_exception_fp_ieee_invalid_op 0
		.amdhsa_exception_fp_denorm_src 0
		.amdhsa_exception_fp_ieee_div_zero 0
		.amdhsa_exception_fp_ieee_overflow 0
		.amdhsa_exception_fp_ieee_underflow 0
		.amdhsa_exception_fp_ieee_inexact 0
		.amdhsa_exception_int_div_zero 0
	.end_amdhsa_kernel
	.section	.text._ZN7rocprim17ROCPRIM_400000_NS6detail17trampoline_kernelINS0_14default_configENS1_25partition_config_selectorILNS1_17partition_subalgoE8ElNS0_10empty_typeEbEEZZNS1_14partition_implILS5_8ELb0ES3_jPKlPS6_PKS6_NS0_5tupleIJPlS6_EEENSE_IJSB_SB_EEENS0_18inequality_wrapperIN6hipcub16HIPCUB_304000_NS8EqualityEEESF_JS6_EEE10hipError_tPvRmT3_T4_T5_T6_T7_T9_mT8_P12ihipStream_tbDpT10_ENKUlT_T0_E_clISt17integral_constantIbLb0EES16_EEDaS11_S12_EUlS11_E_NS1_11comp_targetILNS1_3genE4ELNS1_11target_archE910ELNS1_3gpuE8ELNS1_3repE0EEENS1_30default_config_static_selectorELNS0_4arch9wavefront6targetE0EEEvT1_,"axG",@progbits,_ZN7rocprim17ROCPRIM_400000_NS6detail17trampoline_kernelINS0_14default_configENS1_25partition_config_selectorILNS1_17partition_subalgoE8ElNS0_10empty_typeEbEEZZNS1_14partition_implILS5_8ELb0ES3_jPKlPS6_PKS6_NS0_5tupleIJPlS6_EEENSE_IJSB_SB_EEENS0_18inequality_wrapperIN6hipcub16HIPCUB_304000_NS8EqualityEEESF_JS6_EEE10hipError_tPvRmT3_T4_T5_T6_T7_T9_mT8_P12ihipStream_tbDpT10_ENKUlT_T0_E_clISt17integral_constantIbLb0EES16_EEDaS11_S12_EUlS11_E_NS1_11comp_targetILNS1_3genE4ELNS1_11target_archE910ELNS1_3gpuE8ELNS1_3repE0EEENS1_30default_config_static_selectorELNS0_4arch9wavefront6targetE0EEEvT1_,comdat
.Lfunc_end228:
	.size	_ZN7rocprim17ROCPRIM_400000_NS6detail17trampoline_kernelINS0_14default_configENS1_25partition_config_selectorILNS1_17partition_subalgoE8ElNS0_10empty_typeEbEEZZNS1_14partition_implILS5_8ELb0ES3_jPKlPS6_PKS6_NS0_5tupleIJPlS6_EEENSE_IJSB_SB_EEENS0_18inequality_wrapperIN6hipcub16HIPCUB_304000_NS8EqualityEEESF_JS6_EEE10hipError_tPvRmT3_T4_T5_T6_T7_T9_mT8_P12ihipStream_tbDpT10_ENKUlT_T0_E_clISt17integral_constantIbLb0EES16_EEDaS11_S12_EUlS11_E_NS1_11comp_targetILNS1_3genE4ELNS1_11target_archE910ELNS1_3gpuE8ELNS1_3repE0EEENS1_30default_config_static_selectorELNS0_4arch9wavefront6targetE0EEEvT1_, .Lfunc_end228-_ZN7rocprim17ROCPRIM_400000_NS6detail17trampoline_kernelINS0_14default_configENS1_25partition_config_selectorILNS1_17partition_subalgoE8ElNS0_10empty_typeEbEEZZNS1_14partition_implILS5_8ELb0ES3_jPKlPS6_PKS6_NS0_5tupleIJPlS6_EEENSE_IJSB_SB_EEENS0_18inequality_wrapperIN6hipcub16HIPCUB_304000_NS8EqualityEEESF_JS6_EEE10hipError_tPvRmT3_T4_T5_T6_T7_T9_mT8_P12ihipStream_tbDpT10_ENKUlT_T0_E_clISt17integral_constantIbLb0EES16_EEDaS11_S12_EUlS11_E_NS1_11comp_targetILNS1_3genE4ELNS1_11target_archE910ELNS1_3gpuE8ELNS1_3repE0EEENS1_30default_config_static_selectorELNS0_4arch9wavefront6targetE0EEEvT1_
                                        ; -- End function
	.set _ZN7rocprim17ROCPRIM_400000_NS6detail17trampoline_kernelINS0_14default_configENS1_25partition_config_selectorILNS1_17partition_subalgoE8ElNS0_10empty_typeEbEEZZNS1_14partition_implILS5_8ELb0ES3_jPKlPS6_PKS6_NS0_5tupleIJPlS6_EEENSE_IJSB_SB_EEENS0_18inequality_wrapperIN6hipcub16HIPCUB_304000_NS8EqualityEEESF_JS6_EEE10hipError_tPvRmT3_T4_T5_T6_T7_T9_mT8_P12ihipStream_tbDpT10_ENKUlT_T0_E_clISt17integral_constantIbLb0EES16_EEDaS11_S12_EUlS11_E_NS1_11comp_targetILNS1_3genE4ELNS1_11target_archE910ELNS1_3gpuE8ELNS1_3repE0EEENS1_30default_config_static_selectorELNS0_4arch9wavefront6targetE0EEEvT1_.num_vgpr, 0
	.set _ZN7rocprim17ROCPRIM_400000_NS6detail17trampoline_kernelINS0_14default_configENS1_25partition_config_selectorILNS1_17partition_subalgoE8ElNS0_10empty_typeEbEEZZNS1_14partition_implILS5_8ELb0ES3_jPKlPS6_PKS6_NS0_5tupleIJPlS6_EEENSE_IJSB_SB_EEENS0_18inequality_wrapperIN6hipcub16HIPCUB_304000_NS8EqualityEEESF_JS6_EEE10hipError_tPvRmT3_T4_T5_T6_T7_T9_mT8_P12ihipStream_tbDpT10_ENKUlT_T0_E_clISt17integral_constantIbLb0EES16_EEDaS11_S12_EUlS11_E_NS1_11comp_targetILNS1_3genE4ELNS1_11target_archE910ELNS1_3gpuE8ELNS1_3repE0EEENS1_30default_config_static_selectorELNS0_4arch9wavefront6targetE0EEEvT1_.num_agpr, 0
	.set _ZN7rocprim17ROCPRIM_400000_NS6detail17trampoline_kernelINS0_14default_configENS1_25partition_config_selectorILNS1_17partition_subalgoE8ElNS0_10empty_typeEbEEZZNS1_14partition_implILS5_8ELb0ES3_jPKlPS6_PKS6_NS0_5tupleIJPlS6_EEENSE_IJSB_SB_EEENS0_18inequality_wrapperIN6hipcub16HIPCUB_304000_NS8EqualityEEESF_JS6_EEE10hipError_tPvRmT3_T4_T5_T6_T7_T9_mT8_P12ihipStream_tbDpT10_ENKUlT_T0_E_clISt17integral_constantIbLb0EES16_EEDaS11_S12_EUlS11_E_NS1_11comp_targetILNS1_3genE4ELNS1_11target_archE910ELNS1_3gpuE8ELNS1_3repE0EEENS1_30default_config_static_selectorELNS0_4arch9wavefront6targetE0EEEvT1_.numbered_sgpr, 0
	.set _ZN7rocprim17ROCPRIM_400000_NS6detail17trampoline_kernelINS0_14default_configENS1_25partition_config_selectorILNS1_17partition_subalgoE8ElNS0_10empty_typeEbEEZZNS1_14partition_implILS5_8ELb0ES3_jPKlPS6_PKS6_NS0_5tupleIJPlS6_EEENSE_IJSB_SB_EEENS0_18inequality_wrapperIN6hipcub16HIPCUB_304000_NS8EqualityEEESF_JS6_EEE10hipError_tPvRmT3_T4_T5_T6_T7_T9_mT8_P12ihipStream_tbDpT10_ENKUlT_T0_E_clISt17integral_constantIbLb0EES16_EEDaS11_S12_EUlS11_E_NS1_11comp_targetILNS1_3genE4ELNS1_11target_archE910ELNS1_3gpuE8ELNS1_3repE0EEENS1_30default_config_static_selectorELNS0_4arch9wavefront6targetE0EEEvT1_.num_named_barrier, 0
	.set _ZN7rocprim17ROCPRIM_400000_NS6detail17trampoline_kernelINS0_14default_configENS1_25partition_config_selectorILNS1_17partition_subalgoE8ElNS0_10empty_typeEbEEZZNS1_14partition_implILS5_8ELb0ES3_jPKlPS6_PKS6_NS0_5tupleIJPlS6_EEENSE_IJSB_SB_EEENS0_18inequality_wrapperIN6hipcub16HIPCUB_304000_NS8EqualityEEESF_JS6_EEE10hipError_tPvRmT3_T4_T5_T6_T7_T9_mT8_P12ihipStream_tbDpT10_ENKUlT_T0_E_clISt17integral_constantIbLb0EES16_EEDaS11_S12_EUlS11_E_NS1_11comp_targetILNS1_3genE4ELNS1_11target_archE910ELNS1_3gpuE8ELNS1_3repE0EEENS1_30default_config_static_selectorELNS0_4arch9wavefront6targetE0EEEvT1_.private_seg_size, 0
	.set _ZN7rocprim17ROCPRIM_400000_NS6detail17trampoline_kernelINS0_14default_configENS1_25partition_config_selectorILNS1_17partition_subalgoE8ElNS0_10empty_typeEbEEZZNS1_14partition_implILS5_8ELb0ES3_jPKlPS6_PKS6_NS0_5tupleIJPlS6_EEENSE_IJSB_SB_EEENS0_18inequality_wrapperIN6hipcub16HIPCUB_304000_NS8EqualityEEESF_JS6_EEE10hipError_tPvRmT3_T4_T5_T6_T7_T9_mT8_P12ihipStream_tbDpT10_ENKUlT_T0_E_clISt17integral_constantIbLb0EES16_EEDaS11_S12_EUlS11_E_NS1_11comp_targetILNS1_3genE4ELNS1_11target_archE910ELNS1_3gpuE8ELNS1_3repE0EEENS1_30default_config_static_selectorELNS0_4arch9wavefront6targetE0EEEvT1_.uses_vcc, 0
	.set _ZN7rocprim17ROCPRIM_400000_NS6detail17trampoline_kernelINS0_14default_configENS1_25partition_config_selectorILNS1_17partition_subalgoE8ElNS0_10empty_typeEbEEZZNS1_14partition_implILS5_8ELb0ES3_jPKlPS6_PKS6_NS0_5tupleIJPlS6_EEENSE_IJSB_SB_EEENS0_18inequality_wrapperIN6hipcub16HIPCUB_304000_NS8EqualityEEESF_JS6_EEE10hipError_tPvRmT3_T4_T5_T6_T7_T9_mT8_P12ihipStream_tbDpT10_ENKUlT_T0_E_clISt17integral_constantIbLb0EES16_EEDaS11_S12_EUlS11_E_NS1_11comp_targetILNS1_3genE4ELNS1_11target_archE910ELNS1_3gpuE8ELNS1_3repE0EEENS1_30default_config_static_selectorELNS0_4arch9wavefront6targetE0EEEvT1_.uses_flat_scratch, 0
	.set _ZN7rocprim17ROCPRIM_400000_NS6detail17trampoline_kernelINS0_14default_configENS1_25partition_config_selectorILNS1_17partition_subalgoE8ElNS0_10empty_typeEbEEZZNS1_14partition_implILS5_8ELb0ES3_jPKlPS6_PKS6_NS0_5tupleIJPlS6_EEENSE_IJSB_SB_EEENS0_18inequality_wrapperIN6hipcub16HIPCUB_304000_NS8EqualityEEESF_JS6_EEE10hipError_tPvRmT3_T4_T5_T6_T7_T9_mT8_P12ihipStream_tbDpT10_ENKUlT_T0_E_clISt17integral_constantIbLb0EES16_EEDaS11_S12_EUlS11_E_NS1_11comp_targetILNS1_3genE4ELNS1_11target_archE910ELNS1_3gpuE8ELNS1_3repE0EEENS1_30default_config_static_selectorELNS0_4arch9wavefront6targetE0EEEvT1_.has_dyn_sized_stack, 0
	.set _ZN7rocprim17ROCPRIM_400000_NS6detail17trampoline_kernelINS0_14default_configENS1_25partition_config_selectorILNS1_17partition_subalgoE8ElNS0_10empty_typeEbEEZZNS1_14partition_implILS5_8ELb0ES3_jPKlPS6_PKS6_NS0_5tupleIJPlS6_EEENSE_IJSB_SB_EEENS0_18inequality_wrapperIN6hipcub16HIPCUB_304000_NS8EqualityEEESF_JS6_EEE10hipError_tPvRmT3_T4_T5_T6_T7_T9_mT8_P12ihipStream_tbDpT10_ENKUlT_T0_E_clISt17integral_constantIbLb0EES16_EEDaS11_S12_EUlS11_E_NS1_11comp_targetILNS1_3genE4ELNS1_11target_archE910ELNS1_3gpuE8ELNS1_3repE0EEENS1_30default_config_static_selectorELNS0_4arch9wavefront6targetE0EEEvT1_.has_recursion, 0
	.set _ZN7rocprim17ROCPRIM_400000_NS6detail17trampoline_kernelINS0_14default_configENS1_25partition_config_selectorILNS1_17partition_subalgoE8ElNS0_10empty_typeEbEEZZNS1_14partition_implILS5_8ELb0ES3_jPKlPS6_PKS6_NS0_5tupleIJPlS6_EEENSE_IJSB_SB_EEENS0_18inequality_wrapperIN6hipcub16HIPCUB_304000_NS8EqualityEEESF_JS6_EEE10hipError_tPvRmT3_T4_T5_T6_T7_T9_mT8_P12ihipStream_tbDpT10_ENKUlT_T0_E_clISt17integral_constantIbLb0EES16_EEDaS11_S12_EUlS11_E_NS1_11comp_targetILNS1_3genE4ELNS1_11target_archE910ELNS1_3gpuE8ELNS1_3repE0EEENS1_30default_config_static_selectorELNS0_4arch9wavefront6targetE0EEEvT1_.has_indirect_call, 0
	.section	.AMDGPU.csdata,"",@progbits
; Kernel info:
; codeLenInByte = 0
; TotalNumSgprs: 0
; NumVgprs: 0
; ScratchSize: 0
; MemoryBound: 0
; FloatMode: 240
; IeeeMode: 1
; LDSByteSize: 0 bytes/workgroup (compile time only)
; SGPRBlocks: 0
; VGPRBlocks: 0
; NumSGPRsForWavesPerEU: 1
; NumVGPRsForWavesPerEU: 1
; NamedBarCnt: 0
; Occupancy: 16
; WaveLimiterHint : 0
; COMPUTE_PGM_RSRC2:SCRATCH_EN: 0
; COMPUTE_PGM_RSRC2:USER_SGPR: 2
; COMPUTE_PGM_RSRC2:TRAP_HANDLER: 0
; COMPUTE_PGM_RSRC2:TGID_X_EN: 1
; COMPUTE_PGM_RSRC2:TGID_Y_EN: 0
; COMPUTE_PGM_RSRC2:TGID_Z_EN: 0
; COMPUTE_PGM_RSRC2:TIDIG_COMP_CNT: 0
	.section	.text._ZN7rocprim17ROCPRIM_400000_NS6detail17trampoline_kernelINS0_14default_configENS1_25partition_config_selectorILNS1_17partition_subalgoE8ElNS0_10empty_typeEbEEZZNS1_14partition_implILS5_8ELb0ES3_jPKlPS6_PKS6_NS0_5tupleIJPlS6_EEENSE_IJSB_SB_EEENS0_18inequality_wrapperIN6hipcub16HIPCUB_304000_NS8EqualityEEESF_JS6_EEE10hipError_tPvRmT3_T4_T5_T6_T7_T9_mT8_P12ihipStream_tbDpT10_ENKUlT_T0_E_clISt17integral_constantIbLb0EES16_EEDaS11_S12_EUlS11_E_NS1_11comp_targetILNS1_3genE3ELNS1_11target_archE908ELNS1_3gpuE7ELNS1_3repE0EEENS1_30default_config_static_selectorELNS0_4arch9wavefront6targetE0EEEvT1_,"axG",@progbits,_ZN7rocprim17ROCPRIM_400000_NS6detail17trampoline_kernelINS0_14default_configENS1_25partition_config_selectorILNS1_17partition_subalgoE8ElNS0_10empty_typeEbEEZZNS1_14partition_implILS5_8ELb0ES3_jPKlPS6_PKS6_NS0_5tupleIJPlS6_EEENSE_IJSB_SB_EEENS0_18inequality_wrapperIN6hipcub16HIPCUB_304000_NS8EqualityEEESF_JS6_EEE10hipError_tPvRmT3_T4_T5_T6_T7_T9_mT8_P12ihipStream_tbDpT10_ENKUlT_T0_E_clISt17integral_constantIbLb0EES16_EEDaS11_S12_EUlS11_E_NS1_11comp_targetILNS1_3genE3ELNS1_11target_archE908ELNS1_3gpuE7ELNS1_3repE0EEENS1_30default_config_static_selectorELNS0_4arch9wavefront6targetE0EEEvT1_,comdat
	.protected	_ZN7rocprim17ROCPRIM_400000_NS6detail17trampoline_kernelINS0_14default_configENS1_25partition_config_selectorILNS1_17partition_subalgoE8ElNS0_10empty_typeEbEEZZNS1_14partition_implILS5_8ELb0ES3_jPKlPS6_PKS6_NS0_5tupleIJPlS6_EEENSE_IJSB_SB_EEENS0_18inequality_wrapperIN6hipcub16HIPCUB_304000_NS8EqualityEEESF_JS6_EEE10hipError_tPvRmT3_T4_T5_T6_T7_T9_mT8_P12ihipStream_tbDpT10_ENKUlT_T0_E_clISt17integral_constantIbLb0EES16_EEDaS11_S12_EUlS11_E_NS1_11comp_targetILNS1_3genE3ELNS1_11target_archE908ELNS1_3gpuE7ELNS1_3repE0EEENS1_30default_config_static_selectorELNS0_4arch9wavefront6targetE0EEEvT1_ ; -- Begin function _ZN7rocprim17ROCPRIM_400000_NS6detail17trampoline_kernelINS0_14default_configENS1_25partition_config_selectorILNS1_17partition_subalgoE8ElNS0_10empty_typeEbEEZZNS1_14partition_implILS5_8ELb0ES3_jPKlPS6_PKS6_NS0_5tupleIJPlS6_EEENSE_IJSB_SB_EEENS0_18inequality_wrapperIN6hipcub16HIPCUB_304000_NS8EqualityEEESF_JS6_EEE10hipError_tPvRmT3_T4_T5_T6_T7_T9_mT8_P12ihipStream_tbDpT10_ENKUlT_T0_E_clISt17integral_constantIbLb0EES16_EEDaS11_S12_EUlS11_E_NS1_11comp_targetILNS1_3genE3ELNS1_11target_archE908ELNS1_3gpuE7ELNS1_3repE0EEENS1_30default_config_static_selectorELNS0_4arch9wavefront6targetE0EEEvT1_
	.globl	_ZN7rocprim17ROCPRIM_400000_NS6detail17trampoline_kernelINS0_14default_configENS1_25partition_config_selectorILNS1_17partition_subalgoE8ElNS0_10empty_typeEbEEZZNS1_14partition_implILS5_8ELb0ES3_jPKlPS6_PKS6_NS0_5tupleIJPlS6_EEENSE_IJSB_SB_EEENS0_18inequality_wrapperIN6hipcub16HIPCUB_304000_NS8EqualityEEESF_JS6_EEE10hipError_tPvRmT3_T4_T5_T6_T7_T9_mT8_P12ihipStream_tbDpT10_ENKUlT_T0_E_clISt17integral_constantIbLb0EES16_EEDaS11_S12_EUlS11_E_NS1_11comp_targetILNS1_3genE3ELNS1_11target_archE908ELNS1_3gpuE7ELNS1_3repE0EEENS1_30default_config_static_selectorELNS0_4arch9wavefront6targetE0EEEvT1_
	.p2align	8
	.type	_ZN7rocprim17ROCPRIM_400000_NS6detail17trampoline_kernelINS0_14default_configENS1_25partition_config_selectorILNS1_17partition_subalgoE8ElNS0_10empty_typeEbEEZZNS1_14partition_implILS5_8ELb0ES3_jPKlPS6_PKS6_NS0_5tupleIJPlS6_EEENSE_IJSB_SB_EEENS0_18inequality_wrapperIN6hipcub16HIPCUB_304000_NS8EqualityEEESF_JS6_EEE10hipError_tPvRmT3_T4_T5_T6_T7_T9_mT8_P12ihipStream_tbDpT10_ENKUlT_T0_E_clISt17integral_constantIbLb0EES16_EEDaS11_S12_EUlS11_E_NS1_11comp_targetILNS1_3genE3ELNS1_11target_archE908ELNS1_3gpuE7ELNS1_3repE0EEENS1_30default_config_static_selectorELNS0_4arch9wavefront6targetE0EEEvT1_,@function
_ZN7rocprim17ROCPRIM_400000_NS6detail17trampoline_kernelINS0_14default_configENS1_25partition_config_selectorILNS1_17partition_subalgoE8ElNS0_10empty_typeEbEEZZNS1_14partition_implILS5_8ELb0ES3_jPKlPS6_PKS6_NS0_5tupleIJPlS6_EEENSE_IJSB_SB_EEENS0_18inequality_wrapperIN6hipcub16HIPCUB_304000_NS8EqualityEEESF_JS6_EEE10hipError_tPvRmT3_T4_T5_T6_T7_T9_mT8_P12ihipStream_tbDpT10_ENKUlT_T0_E_clISt17integral_constantIbLb0EES16_EEDaS11_S12_EUlS11_E_NS1_11comp_targetILNS1_3genE3ELNS1_11target_archE908ELNS1_3gpuE7ELNS1_3repE0EEENS1_30default_config_static_selectorELNS0_4arch9wavefront6targetE0EEEvT1_: ; @_ZN7rocprim17ROCPRIM_400000_NS6detail17trampoline_kernelINS0_14default_configENS1_25partition_config_selectorILNS1_17partition_subalgoE8ElNS0_10empty_typeEbEEZZNS1_14partition_implILS5_8ELb0ES3_jPKlPS6_PKS6_NS0_5tupleIJPlS6_EEENSE_IJSB_SB_EEENS0_18inequality_wrapperIN6hipcub16HIPCUB_304000_NS8EqualityEEESF_JS6_EEE10hipError_tPvRmT3_T4_T5_T6_T7_T9_mT8_P12ihipStream_tbDpT10_ENKUlT_T0_E_clISt17integral_constantIbLb0EES16_EEDaS11_S12_EUlS11_E_NS1_11comp_targetILNS1_3genE3ELNS1_11target_archE908ELNS1_3gpuE7ELNS1_3repE0EEENS1_30default_config_static_selectorELNS0_4arch9wavefront6targetE0EEEvT1_
; %bb.0:
	.section	.rodata,"a",@progbits
	.p2align	6, 0x0
	.amdhsa_kernel _ZN7rocprim17ROCPRIM_400000_NS6detail17trampoline_kernelINS0_14default_configENS1_25partition_config_selectorILNS1_17partition_subalgoE8ElNS0_10empty_typeEbEEZZNS1_14partition_implILS5_8ELb0ES3_jPKlPS6_PKS6_NS0_5tupleIJPlS6_EEENSE_IJSB_SB_EEENS0_18inequality_wrapperIN6hipcub16HIPCUB_304000_NS8EqualityEEESF_JS6_EEE10hipError_tPvRmT3_T4_T5_T6_T7_T9_mT8_P12ihipStream_tbDpT10_ENKUlT_T0_E_clISt17integral_constantIbLb0EES16_EEDaS11_S12_EUlS11_E_NS1_11comp_targetILNS1_3genE3ELNS1_11target_archE908ELNS1_3gpuE7ELNS1_3repE0EEENS1_30default_config_static_selectorELNS0_4arch9wavefront6targetE0EEEvT1_
		.amdhsa_group_segment_fixed_size 0
		.amdhsa_private_segment_fixed_size 0
		.amdhsa_kernarg_size 112
		.amdhsa_user_sgpr_count 2
		.amdhsa_user_sgpr_dispatch_ptr 0
		.amdhsa_user_sgpr_queue_ptr 0
		.amdhsa_user_sgpr_kernarg_segment_ptr 1
		.amdhsa_user_sgpr_dispatch_id 0
		.amdhsa_user_sgpr_kernarg_preload_length 0
		.amdhsa_user_sgpr_kernarg_preload_offset 0
		.amdhsa_user_sgpr_private_segment_size 0
		.amdhsa_wavefront_size32 1
		.amdhsa_uses_dynamic_stack 0
		.amdhsa_enable_private_segment 0
		.amdhsa_system_sgpr_workgroup_id_x 1
		.amdhsa_system_sgpr_workgroup_id_y 0
		.amdhsa_system_sgpr_workgroup_id_z 0
		.amdhsa_system_sgpr_workgroup_info 0
		.amdhsa_system_vgpr_workitem_id 0
		.amdhsa_next_free_vgpr 1
		.amdhsa_next_free_sgpr 1
		.amdhsa_named_barrier_count 0
		.amdhsa_reserve_vcc 0
		.amdhsa_float_round_mode_32 0
		.amdhsa_float_round_mode_16_64 0
		.amdhsa_float_denorm_mode_32 3
		.amdhsa_float_denorm_mode_16_64 3
		.amdhsa_fp16_overflow 0
		.amdhsa_memory_ordered 1
		.amdhsa_forward_progress 1
		.amdhsa_inst_pref_size 0
		.amdhsa_round_robin_scheduling 0
		.amdhsa_exception_fp_ieee_invalid_op 0
		.amdhsa_exception_fp_denorm_src 0
		.amdhsa_exception_fp_ieee_div_zero 0
		.amdhsa_exception_fp_ieee_overflow 0
		.amdhsa_exception_fp_ieee_underflow 0
		.amdhsa_exception_fp_ieee_inexact 0
		.amdhsa_exception_int_div_zero 0
	.end_amdhsa_kernel
	.section	.text._ZN7rocprim17ROCPRIM_400000_NS6detail17trampoline_kernelINS0_14default_configENS1_25partition_config_selectorILNS1_17partition_subalgoE8ElNS0_10empty_typeEbEEZZNS1_14partition_implILS5_8ELb0ES3_jPKlPS6_PKS6_NS0_5tupleIJPlS6_EEENSE_IJSB_SB_EEENS0_18inequality_wrapperIN6hipcub16HIPCUB_304000_NS8EqualityEEESF_JS6_EEE10hipError_tPvRmT3_T4_T5_T6_T7_T9_mT8_P12ihipStream_tbDpT10_ENKUlT_T0_E_clISt17integral_constantIbLb0EES16_EEDaS11_S12_EUlS11_E_NS1_11comp_targetILNS1_3genE3ELNS1_11target_archE908ELNS1_3gpuE7ELNS1_3repE0EEENS1_30default_config_static_selectorELNS0_4arch9wavefront6targetE0EEEvT1_,"axG",@progbits,_ZN7rocprim17ROCPRIM_400000_NS6detail17trampoline_kernelINS0_14default_configENS1_25partition_config_selectorILNS1_17partition_subalgoE8ElNS0_10empty_typeEbEEZZNS1_14partition_implILS5_8ELb0ES3_jPKlPS6_PKS6_NS0_5tupleIJPlS6_EEENSE_IJSB_SB_EEENS0_18inequality_wrapperIN6hipcub16HIPCUB_304000_NS8EqualityEEESF_JS6_EEE10hipError_tPvRmT3_T4_T5_T6_T7_T9_mT8_P12ihipStream_tbDpT10_ENKUlT_T0_E_clISt17integral_constantIbLb0EES16_EEDaS11_S12_EUlS11_E_NS1_11comp_targetILNS1_3genE3ELNS1_11target_archE908ELNS1_3gpuE7ELNS1_3repE0EEENS1_30default_config_static_selectorELNS0_4arch9wavefront6targetE0EEEvT1_,comdat
.Lfunc_end229:
	.size	_ZN7rocprim17ROCPRIM_400000_NS6detail17trampoline_kernelINS0_14default_configENS1_25partition_config_selectorILNS1_17partition_subalgoE8ElNS0_10empty_typeEbEEZZNS1_14partition_implILS5_8ELb0ES3_jPKlPS6_PKS6_NS0_5tupleIJPlS6_EEENSE_IJSB_SB_EEENS0_18inequality_wrapperIN6hipcub16HIPCUB_304000_NS8EqualityEEESF_JS6_EEE10hipError_tPvRmT3_T4_T5_T6_T7_T9_mT8_P12ihipStream_tbDpT10_ENKUlT_T0_E_clISt17integral_constantIbLb0EES16_EEDaS11_S12_EUlS11_E_NS1_11comp_targetILNS1_3genE3ELNS1_11target_archE908ELNS1_3gpuE7ELNS1_3repE0EEENS1_30default_config_static_selectorELNS0_4arch9wavefront6targetE0EEEvT1_, .Lfunc_end229-_ZN7rocprim17ROCPRIM_400000_NS6detail17trampoline_kernelINS0_14default_configENS1_25partition_config_selectorILNS1_17partition_subalgoE8ElNS0_10empty_typeEbEEZZNS1_14partition_implILS5_8ELb0ES3_jPKlPS6_PKS6_NS0_5tupleIJPlS6_EEENSE_IJSB_SB_EEENS0_18inequality_wrapperIN6hipcub16HIPCUB_304000_NS8EqualityEEESF_JS6_EEE10hipError_tPvRmT3_T4_T5_T6_T7_T9_mT8_P12ihipStream_tbDpT10_ENKUlT_T0_E_clISt17integral_constantIbLb0EES16_EEDaS11_S12_EUlS11_E_NS1_11comp_targetILNS1_3genE3ELNS1_11target_archE908ELNS1_3gpuE7ELNS1_3repE0EEENS1_30default_config_static_selectorELNS0_4arch9wavefront6targetE0EEEvT1_
                                        ; -- End function
	.set _ZN7rocprim17ROCPRIM_400000_NS6detail17trampoline_kernelINS0_14default_configENS1_25partition_config_selectorILNS1_17partition_subalgoE8ElNS0_10empty_typeEbEEZZNS1_14partition_implILS5_8ELb0ES3_jPKlPS6_PKS6_NS0_5tupleIJPlS6_EEENSE_IJSB_SB_EEENS0_18inequality_wrapperIN6hipcub16HIPCUB_304000_NS8EqualityEEESF_JS6_EEE10hipError_tPvRmT3_T4_T5_T6_T7_T9_mT8_P12ihipStream_tbDpT10_ENKUlT_T0_E_clISt17integral_constantIbLb0EES16_EEDaS11_S12_EUlS11_E_NS1_11comp_targetILNS1_3genE3ELNS1_11target_archE908ELNS1_3gpuE7ELNS1_3repE0EEENS1_30default_config_static_selectorELNS0_4arch9wavefront6targetE0EEEvT1_.num_vgpr, 0
	.set _ZN7rocprim17ROCPRIM_400000_NS6detail17trampoline_kernelINS0_14default_configENS1_25partition_config_selectorILNS1_17partition_subalgoE8ElNS0_10empty_typeEbEEZZNS1_14partition_implILS5_8ELb0ES3_jPKlPS6_PKS6_NS0_5tupleIJPlS6_EEENSE_IJSB_SB_EEENS0_18inequality_wrapperIN6hipcub16HIPCUB_304000_NS8EqualityEEESF_JS6_EEE10hipError_tPvRmT3_T4_T5_T6_T7_T9_mT8_P12ihipStream_tbDpT10_ENKUlT_T0_E_clISt17integral_constantIbLb0EES16_EEDaS11_S12_EUlS11_E_NS1_11comp_targetILNS1_3genE3ELNS1_11target_archE908ELNS1_3gpuE7ELNS1_3repE0EEENS1_30default_config_static_selectorELNS0_4arch9wavefront6targetE0EEEvT1_.num_agpr, 0
	.set _ZN7rocprim17ROCPRIM_400000_NS6detail17trampoline_kernelINS0_14default_configENS1_25partition_config_selectorILNS1_17partition_subalgoE8ElNS0_10empty_typeEbEEZZNS1_14partition_implILS5_8ELb0ES3_jPKlPS6_PKS6_NS0_5tupleIJPlS6_EEENSE_IJSB_SB_EEENS0_18inequality_wrapperIN6hipcub16HIPCUB_304000_NS8EqualityEEESF_JS6_EEE10hipError_tPvRmT3_T4_T5_T6_T7_T9_mT8_P12ihipStream_tbDpT10_ENKUlT_T0_E_clISt17integral_constantIbLb0EES16_EEDaS11_S12_EUlS11_E_NS1_11comp_targetILNS1_3genE3ELNS1_11target_archE908ELNS1_3gpuE7ELNS1_3repE0EEENS1_30default_config_static_selectorELNS0_4arch9wavefront6targetE0EEEvT1_.numbered_sgpr, 0
	.set _ZN7rocprim17ROCPRIM_400000_NS6detail17trampoline_kernelINS0_14default_configENS1_25partition_config_selectorILNS1_17partition_subalgoE8ElNS0_10empty_typeEbEEZZNS1_14partition_implILS5_8ELb0ES3_jPKlPS6_PKS6_NS0_5tupleIJPlS6_EEENSE_IJSB_SB_EEENS0_18inequality_wrapperIN6hipcub16HIPCUB_304000_NS8EqualityEEESF_JS6_EEE10hipError_tPvRmT3_T4_T5_T6_T7_T9_mT8_P12ihipStream_tbDpT10_ENKUlT_T0_E_clISt17integral_constantIbLb0EES16_EEDaS11_S12_EUlS11_E_NS1_11comp_targetILNS1_3genE3ELNS1_11target_archE908ELNS1_3gpuE7ELNS1_3repE0EEENS1_30default_config_static_selectorELNS0_4arch9wavefront6targetE0EEEvT1_.num_named_barrier, 0
	.set _ZN7rocprim17ROCPRIM_400000_NS6detail17trampoline_kernelINS0_14default_configENS1_25partition_config_selectorILNS1_17partition_subalgoE8ElNS0_10empty_typeEbEEZZNS1_14partition_implILS5_8ELb0ES3_jPKlPS6_PKS6_NS0_5tupleIJPlS6_EEENSE_IJSB_SB_EEENS0_18inequality_wrapperIN6hipcub16HIPCUB_304000_NS8EqualityEEESF_JS6_EEE10hipError_tPvRmT3_T4_T5_T6_T7_T9_mT8_P12ihipStream_tbDpT10_ENKUlT_T0_E_clISt17integral_constantIbLb0EES16_EEDaS11_S12_EUlS11_E_NS1_11comp_targetILNS1_3genE3ELNS1_11target_archE908ELNS1_3gpuE7ELNS1_3repE0EEENS1_30default_config_static_selectorELNS0_4arch9wavefront6targetE0EEEvT1_.private_seg_size, 0
	.set _ZN7rocprim17ROCPRIM_400000_NS6detail17trampoline_kernelINS0_14default_configENS1_25partition_config_selectorILNS1_17partition_subalgoE8ElNS0_10empty_typeEbEEZZNS1_14partition_implILS5_8ELb0ES3_jPKlPS6_PKS6_NS0_5tupleIJPlS6_EEENSE_IJSB_SB_EEENS0_18inequality_wrapperIN6hipcub16HIPCUB_304000_NS8EqualityEEESF_JS6_EEE10hipError_tPvRmT3_T4_T5_T6_T7_T9_mT8_P12ihipStream_tbDpT10_ENKUlT_T0_E_clISt17integral_constantIbLb0EES16_EEDaS11_S12_EUlS11_E_NS1_11comp_targetILNS1_3genE3ELNS1_11target_archE908ELNS1_3gpuE7ELNS1_3repE0EEENS1_30default_config_static_selectorELNS0_4arch9wavefront6targetE0EEEvT1_.uses_vcc, 0
	.set _ZN7rocprim17ROCPRIM_400000_NS6detail17trampoline_kernelINS0_14default_configENS1_25partition_config_selectorILNS1_17partition_subalgoE8ElNS0_10empty_typeEbEEZZNS1_14partition_implILS5_8ELb0ES3_jPKlPS6_PKS6_NS0_5tupleIJPlS6_EEENSE_IJSB_SB_EEENS0_18inequality_wrapperIN6hipcub16HIPCUB_304000_NS8EqualityEEESF_JS6_EEE10hipError_tPvRmT3_T4_T5_T6_T7_T9_mT8_P12ihipStream_tbDpT10_ENKUlT_T0_E_clISt17integral_constantIbLb0EES16_EEDaS11_S12_EUlS11_E_NS1_11comp_targetILNS1_3genE3ELNS1_11target_archE908ELNS1_3gpuE7ELNS1_3repE0EEENS1_30default_config_static_selectorELNS0_4arch9wavefront6targetE0EEEvT1_.uses_flat_scratch, 0
	.set _ZN7rocprim17ROCPRIM_400000_NS6detail17trampoline_kernelINS0_14default_configENS1_25partition_config_selectorILNS1_17partition_subalgoE8ElNS0_10empty_typeEbEEZZNS1_14partition_implILS5_8ELb0ES3_jPKlPS6_PKS6_NS0_5tupleIJPlS6_EEENSE_IJSB_SB_EEENS0_18inequality_wrapperIN6hipcub16HIPCUB_304000_NS8EqualityEEESF_JS6_EEE10hipError_tPvRmT3_T4_T5_T6_T7_T9_mT8_P12ihipStream_tbDpT10_ENKUlT_T0_E_clISt17integral_constantIbLb0EES16_EEDaS11_S12_EUlS11_E_NS1_11comp_targetILNS1_3genE3ELNS1_11target_archE908ELNS1_3gpuE7ELNS1_3repE0EEENS1_30default_config_static_selectorELNS0_4arch9wavefront6targetE0EEEvT1_.has_dyn_sized_stack, 0
	.set _ZN7rocprim17ROCPRIM_400000_NS6detail17trampoline_kernelINS0_14default_configENS1_25partition_config_selectorILNS1_17partition_subalgoE8ElNS0_10empty_typeEbEEZZNS1_14partition_implILS5_8ELb0ES3_jPKlPS6_PKS6_NS0_5tupleIJPlS6_EEENSE_IJSB_SB_EEENS0_18inequality_wrapperIN6hipcub16HIPCUB_304000_NS8EqualityEEESF_JS6_EEE10hipError_tPvRmT3_T4_T5_T6_T7_T9_mT8_P12ihipStream_tbDpT10_ENKUlT_T0_E_clISt17integral_constantIbLb0EES16_EEDaS11_S12_EUlS11_E_NS1_11comp_targetILNS1_3genE3ELNS1_11target_archE908ELNS1_3gpuE7ELNS1_3repE0EEENS1_30default_config_static_selectorELNS0_4arch9wavefront6targetE0EEEvT1_.has_recursion, 0
	.set _ZN7rocprim17ROCPRIM_400000_NS6detail17trampoline_kernelINS0_14default_configENS1_25partition_config_selectorILNS1_17partition_subalgoE8ElNS0_10empty_typeEbEEZZNS1_14partition_implILS5_8ELb0ES3_jPKlPS6_PKS6_NS0_5tupleIJPlS6_EEENSE_IJSB_SB_EEENS0_18inequality_wrapperIN6hipcub16HIPCUB_304000_NS8EqualityEEESF_JS6_EEE10hipError_tPvRmT3_T4_T5_T6_T7_T9_mT8_P12ihipStream_tbDpT10_ENKUlT_T0_E_clISt17integral_constantIbLb0EES16_EEDaS11_S12_EUlS11_E_NS1_11comp_targetILNS1_3genE3ELNS1_11target_archE908ELNS1_3gpuE7ELNS1_3repE0EEENS1_30default_config_static_selectorELNS0_4arch9wavefront6targetE0EEEvT1_.has_indirect_call, 0
	.section	.AMDGPU.csdata,"",@progbits
; Kernel info:
; codeLenInByte = 0
; TotalNumSgprs: 0
; NumVgprs: 0
; ScratchSize: 0
; MemoryBound: 0
; FloatMode: 240
; IeeeMode: 1
; LDSByteSize: 0 bytes/workgroup (compile time only)
; SGPRBlocks: 0
; VGPRBlocks: 0
; NumSGPRsForWavesPerEU: 1
; NumVGPRsForWavesPerEU: 1
; NamedBarCnt: 0
; Occupancy: 16
; WaveLimiterHint : 0
; COMPUTE_PGM_RSRC2:SCRATCH_EN: 0
; COMPUTE_PGM_RSRC2:USER_SGPR: 2
; COMPUTE_PGM_RSRC2:TRAP_HANDLER: 0
; COMPUTE_PGM_RSRC2:TGID_X_EN: 1
; COMPUTE_PGM_RSRC2:TGID_Y_EN: 0
; COMPUTE_PGM_RSRC2:TGID_Z_EN: 0
; COMPUTE_PGM_RSRC2:TIDIG_COMP_CNT: 0
	.section	.text._ZN7rocprim17ROCPRIM_400000_NS6detail17trampoline_kernelINS0_14default_configENS1_25partition_config_selectorILNS1_17partition_subalgoE8ElNS0_10empty_typeEbEEZZNS1_14partition_implILS5_8ELb0ES3_jPKlPS6_PKS6_NS0_5tupleIJPlS6_EEENSE_IJSB_SB_EEENS0_18inequality_wrapperIN6hipcub16HIPCUB_304000_NS8EqualityEEESF_JS6_EEE10hipError_tPvRmT3_T4_T5_T6_T7_T9_mT8_P12ihipStream_tbDpT10_ENKUlT_T0_E_clISt17integral_constantIbLb0EES16_EEDaS11_S12_EUlS11_E_NS1_11comp_targetILNS1_3genE2ELNS1_11target_archE906ELNS1_3gpuE6ELNS1_3repE0EEENS1_30default_config_static_selectorELNS0_4arch9wavefront6targetE0EEEvT1_,"axG",@progbits,_ZN7rocprim17ROCPRIM_400000_NS6detail17trampoline_kernelINS0_14default_configENS1_25partition_config_selectorILNS1_17partition_subalgoE8ElNS0_10empty_typeEbEEZZNS1_14partition_implILS5_8ELb0ES3_jPKlPS6_PKS6_NS0_5tupleIJPlS6_EEENSE_IJSB_SB_EEENS0_18inequality_wrapperIN6hipcub16HIPCUB_304000_NS8EqualityEEESF_JS6_EEE10hipError_tPvRmT3_T4_T5_T6_T7_T9_mT8_P12ihipStream_tbDpT10_ENKUlT_T0_E_clISt17integral_constantIbLb0EES16_EEDaS11_S12_EUlS11_E_NS1_11comp_targetILNS1_3genE2ELNS1_11target_archE906ELNS1_3gpuE6ELNS1_3repE0EEENS1_30default_config_static_selectorELNS0_4arch9wavefront6targetE0EEEvT1_,comdat
	.protected	_ZN7rocprim17ROCPRIM_400000_NS6detail17trampoline_kernelINS0_14default_configENS1_25partition_config_selectorILNS1_17partition_subalgoE8ElNS0_10empty_typeEbEEZZNS1_14partition_implILS5_8ELb0ES3_jPKlPS6_PKS6_NS0_5tupleIJPlS6_EEENSE_IJSB_SB_EEENS0_18inequality_wrapperIN6hipcub16HIPCUB_304000_NS8EqualityEEESF_JS6_EEE10hipError_tPvRmT3_T4_T5_T6_T7_T9_mT8_P12ihipStream_tbDpT10_ENKUlT_T0_E_clISt17integral_constantIbLb0EES16_EEDaS11_S12_EUlS11_E_NS1_11comp_targetILNS1_3genE2ELNS1_11target_archE906ELNS1_3gpuE6ELNS1_3repE0EEENS1_30default_config_static_selectorELNS0_4arch9wavefront6targetE0EEEvT1_ ; -- Begin function _ZN7rocprim17ROCPRIM_400000_NS6detail17trampoline_kernelINS0_14default_configENS1_25partition_config_selectorILNS1_17partition_subalgoE8ElNS0_10empty_typeEbEEZZNS1_14partition_implILS5_8ELb0ES3_jPKlPS6_PKS6_NS0_5tupleIJPlS6_EEENSE_IJSB_SB_EEENS0_18inequality_wrapperIN6hipcub16HIPCUB_304000_NS8EqualityEEESF_JS6_EEE10hipError_tPvRmT3_T4_T5_T6_T7_T9_mT8_P12ihipStream_tbDpT10_ENKUlT_T0_E_clISt17integral_constantIbLb0EES16_EEDaS11_S12_EUlS11_E_NS1_11comp_targetILNS1_3genE2ELNS1_11target_archE906ELNS1_3gpuE6ELNS1_3repE0EEENS1_30default_config_static_selectorELNS0_4arch9wavefront6targetE0EEEvT1_
	.globl	_ZN7rocprim17ROCPRIM_400000_NS6detail17trampoline_kernelINS0_14default_configENS1_25partition_config_selectorILNS1_17partition_subalgoE8ElNS0_10empty_typeEbEEZZNS1_14partition_implILS5_8ELb0ES3_jPKlPS6_PKS6_NS0_5tupleIJPlS6_EEENSE_IJSB_SB_EEENS0_18inequality_wrapperIN6hipcub16HIPCUB_304000_NS8EqualityEEESF_JS6_EEE10hipError_tPvRmT3_T4_T5_T6_T7_T9_mT8_P12ihipStream_tbDpT10_ENKUlT_T0_E_clISt17integral_constantIbLb0EES16_EEDaS11_S12_EUlS11_E_NS1_11comp_targetILNS1_3genE2ELNS1_11target_archE906ELNS1_3gpuE6ELNS1_3repE0EEENS1_30default_config_static_selectorELNS0_4arch9wavefront6targetE0EEEvT1_
	.p2align	8
	.type	_ZN7rocprim17ROCPRIM_400000_NS6detail17trampoline_kernelINS0_14default_configENS1_25partition_config_selectorILNS1_17partition_subalgoE8ElNS0_10empty_typeEbEEZZNS1_14partition_implILS5_8ELb0ES3_jPKlPS6_PKS6_NS0_5tupleIJPlS6_EEENSE_IJSB_SB_EEENS0_18inequality_wrapperIN6hipcub16HIPCUB_304000_NS8EqualityEEESF_JS6_EEE10hipError_tPvRmT3_T4_T5_T6_T7_T9_mT8_P12ihipStream_tbDpT10_ENKUlT_T0_E_clISt17integral_constantIbLb0EES16_EEDaS11_S12_EUlS11_E_NS1_11comp_targetILNS1_3genE2ELNS1_11target_archE906ELNS1_3gpuE6ELNS1_3repE0EEENS1_30default_config_static_selectorELNS0_4arch9wavefront6targetE0EEEvT1_,@function
_ZN7rocprim17ROCPRIM_400000_NS6detail17trampoline_kernelINS0_14default_configENS1_25partition_config_selectorILNS1_17partition_subalgoE8ElNS0_10empty_typeEbEEZZNS1_14partition_implILS5_8ELb0ES3_jPKlPS6_PKS6_NS0_5tupleIJPlS6_EEENSE_IJSB_SB_EEENS0_18inequality_wrapperIN6hipcub16HIPCUB_304000_NS8EqualityEEESF_JS6_EEE10hipError_tPvRmT3_T4_T5_T6_T7_T9_mT8_P12ihipStream_tbDpT10_ENKUlT_T0_E_clISt17integral_constantIbLb0EES16_EEDaS11_S12_EUlS11_E_NS1_11comp_targetILNS1_3genE2ELNS1_11target_archE906ELNS1_3gpuE6ELNS1_3repE0EEENS1_30default_config_static_selectorELNS0_4arch9wavefront6targetE0EEEvT1_: ; @_ZN7rocprim17ROCPRIM_400000_NS6detail17trampoline_kernelINS0_14default_configENS1_25partition_config_selectorILNS1_17partition_subalgoE8ElNS0_10empty_typeEbEEZZNS1_14partition_implILS5_8ELb0ES3_jPKlPS6_PKS6_NS0_5tupleIJPlS6_EEENSE_IJSB_SB_EEENS0_18inequality_wrapperIN6hipcub16HIPCUB_304000_NS8EqualityEEESF_JS6_EEE10hipError_tPvRmT3_T4_T5_T6_T7_T9_mT8_P12ihipStream_tbDpT10_ENKUlT_T0_E_clISt17integral_constantIbLb0EES16_EEDaS11_S12_EUlS11_E_NS1_11comp_targetILNS1_3genE2ELNS1_11target_archE906ELNS1_3gpuE6ELNS1_3repE0EEENS1_30default_config_static_selectorELNS0_4arch9wavefront6targetE0EEEvT1_
; %bb.0:
	.section	.rodata,"a",@progbits
	.p2align	6, 0x0
	.amdhsa_kernel _ZN7rocprim17ROCPRIM_400000_NS6detail17trampoline_kernelINS0_14default_configENS1_25partition_config_selectorILNS1_17partition_subalgoE8ElNS0_10empty_typeEbEEZZNS1_14partition_implILS5_8ELb0ES3_jPKlPS6_PKS6_NS0_5tupleIJPlS6_EEENSE_IJSB_SB_EEENS0_18inequality_wrapperIN6hipcub16HIPCUB_304000_NS8EqualityEEESF_JS6_EEE10hipError_tPvRmT3_T4_T5_T6_T7_T9_mT8_P12ihipStream_tbDpT10_ENKUlT_T0_E_clISt17integral_constantIbLb0EES16_EEDaS11_S12_EUlS11_E_NS1_11comp_targetILNS1_3genE2ELNS1_11target_archE906ELNS1_3gpuE6ELNS1_3repE0EEENS1_30default_config_static_selectorELNS0_4arch9wavefront6targetE0EEEvT1_
		.amdhsa_group_segment_fixed_size 0
		.amdhsa_private_segment_fixed_size 0
		.amdhsa_kernarg_size 112
		.amdhsa_user_sgpr_count 2
		.amdhsa_user_sgpr_dispatch_ptr 0
		.amdhsa_user_sgpr_queue_ptr 0
		.amdhsa_user_sgpr_kernarg_segment_ptr 1
		.amdhsa_user_sgpr_dispatch_id 0
		.amdhsa_user_sgpr_kernarg_preload_length 0
		.amdhsa_user_sgpr_kernarg_preload_offset 0
		.amdhsa_user_sgpr_private_segment_size 0
		.amdhsa_wavefront_size32 1
		.amdhsa_uses_dynamic_stack 0
		.amdhsa_enable_private_segment 0
		.amdhsa_system_sgpr_workgroup_id_x 1
		.amdhsa_system_sgpr_workgroup_id_y 0
		.amdhsa_system_sgpr_workgroup_id_z 0
		.amdhsa_system_sgpr_workgroup_info 0
		.amdhsa_system_vgpr_workitem_id 0
		.amdhsa_next_free_vgpr 1
		.amdhsa_next_free_sgpr 1
		.amdhsa_named_barrier_count 0
		.amdhsa_reserve_vcc 0
		.amdhsa_float_round_mode_32 0
		.amdhsa_float_round_mode_16_64 0
		.amdhsa_float_denorm_mode_32 3
		.amdhsa_float_denorm_mode_16_64 3
		.amdhsa_fp16_overflow 0
		.amdhsa_memory_ordered 1
		.amdhsa_forward_progress 1
		.amdhsa_inst_pref_size 0
		.amdhsa_round_robin_scheduling 0
		.amdhsa_exception_fp_ieee_invalid_op 0
		.amdhsa_exception_fp_denorm_src 0
		.amdhsa_exception_fp_ieee_div_zero 0
		.amdhsa_exception_fp_ieee_overflow 0
		.amdhsa_exception_fp_ieee_underflow 0
		.amdhsa_exception_fp_ieee_inexact 0
		.amdhsa_exception_int_div_zero 0
	.end_amdhsa_kernel
	.section	.text._ZN7rocprim17ROCPRIM_400000_NS6detail17trampoline_kernelINS0_14default_configENS1_25partition_config_selectorILNS1_17partition_subalgoE8ElNS0_10empty_typeEbEEZZNS1_14partition_implILS5_8ELb0ES3_jPKlPS6_PKS6_NS0_5tupleIJPlS6_EEENSE_IJSB_SB_EEENS0_18inequality_wrapperIN6hipcub16HIPCUB_304000_NS8EqualityEEESF_JS6_EEE10hipError_tPvRmT3_T4_T5_T6_T7_T9_mT8_P12ihipStream_tbDpT10_ENKUlT_T0_E_clISt17integral_constantIbLb0EES16_EEDaS11_S12_EUlS11_E_NS1_11comp_targetILNS1_3genE2ELNS1_11target_archE906ELNS1_3gpuE6ELNS1_3repE0EEENS1_30default_config_static_selectorELNS0_4arch9wavefront6targetE0EEEvT1_,"axG",@progbits,_ZN7rocprim17ROCPRIM_400000_NS6detail17trampoline_kernelINS0_14default_configENS1_25partition_config_selectorILNS1_17partition_subalgoE8ElNS0_10empty_typeEbEEZZNS1_14partition_implILS5_8ELb0ES3_jPKlPS6_PKS6_NS0_5tupleIJPlS6_EEENSE_IJSB_SB_EEENS0_18inequality_wrapperIN6hipcub16HIPCUB_304000_NS8EqualityEEESF_JS6_EEE10hipError_tPvRmT3_T4_T5_T6_T7_T9_mT8_P12ihipStream_tbDpT10_ENKUlT_T0_E_clISt17integral_constantIbLb0EES16_EEDaS11_S12_EUlS11_E_NS1_11comp_targetILNS1_3genE2ELNS1_11target_archE906ELNS1_3gpuE6ELNS1_3repE0EEENS1_30default_config_static_selectorELNS0_4arch9wavefront6targetE0EEEvT1_,comdat
.Lfunc_end230:
	.size	_ZN7rocprim17ROCPRIM_400000_NS6detail17trampoline_kernelINS0_14default_configENS1_25partition_config_selectorILNS1_17partition_subalgoE8ElNS0_10empty_typeEbEEZZNS1_14partition_implILS5_8ELb0ES3_jPKlPS6_PKS6_NS0_5tupleIJPlS6_EEENSE_IJSB_SB_EEENS0_18inequality_wrapperIN6hipcub16HIPCUB_304000_NS8EqualityEEESF_JS6_EEE10hipError_tPvRmT3_T4_T5_T6_T7_T9_mT8_P12ihipStream_tbDpT10_ENKUlT_T0_E_clISt17integral_constantIbLb0EES16_EEDaS11_S12_EUlS11_E_NS1_11comp_targetILNS1_3genE2ELNS1_11target_archE906ELNS1_3gpuE6ELNS1_3repE0EEENS1_30default_config_static_selectorELNS0_4arch9wavefront6targetE0EEEvT1_, .Lfunc_end230-_ZN7rocprim17ROCPRIM_400000_NS6detail17trampoline_kernelINS0_14default_configENS1_25partition_config_selectorILNS1_17partition_subalgoE8ElNS0_10empty_typeEbEEZZNS1_14partition_implILS5_8ELb0ES3_jPKlPS6_PKS6_NS0_5tupleIJPlS6_EEENSE_IJSB_SB_EEENS0_18inequality_wrapperIN6hipcub16HIPCUB_304000_NS8EqualityEEESF_JS6_EEE10hipError_tPvRmT3_T4_T5_T6_T7_T9_mT8_P12ihipStream_tbDpT10_ENKUlT_T0_E_clISt17integral_constantIbLb0EES16_EEDaS11_S12_EUlS11_E_NS1_11comp_targetILNS1_3genE2ELNS1_11target_archE906ELNS1_3gpuE6ELNS1_3repE0EEENS1_30default_config_static_selectorELNS0_4arch9wavefront6targetE0EEEvT1_
                                        ; -- End function
	.set _ZN7rocprim17ROCPRIM_400000_NS6detail17trampoline_kernelINS0_14default_configENS1_25partition_config_selectorILNS1_17partition_subalgoE8ElNS0_10empty_typeEbEEZZNS1_14partition_implILS5_8ELb0ES3_jPKlPS6_PKS6_NS0_5tupleIJPlS6_EEENSE_IJSB_SB_EEENS0_18inequality_wrapperIN6hipcub16HIPCUB_304000_NS8EqualityEEESF_JS6_EEE10hipError_tPvRmT3_T4_T5_T6_T7_T9_mT8_P12ihipStream_tbDpT10_ENKUlT_T0_E_clISt17integral_constantIbLb0EES16_EEDaS11_S12_EUlS11_E_NS1_11comp_targetILNS1_3genE2ELNS1_11target_archE906ELNS1_3gpuE6ELNS1_3repE0EEENS1_30default_config_static_selectorELNS0_4arch9wavefront6targetE0EEEvT1_.num_vgpr, 0
	.set _ZN7rocprim17ROCPRIM_400000_NS6detail17trampoline_kernelINS0_14default_configENS1_25partition_config_selectorILNS1_17partition_subalgoE8ElNS0_10empty_typeEbEEZZNS1_14partition_implILS5_8ELb0ES3_jPKlPS6_PKS6_NS0_5tupleIJPlS6_EEENSE_IJSB_SB_EEENS0_18inequality_wrapperIN6hipcub16HIPCUB_304000_NS8EqualityEEESF_JS6_EEE10hipError_tPvRmT3_T4_T5_T6_T7_T9_mT8_P12ihipStream_tbDpT10_ENKUlT_T0_E_clISt17integral_constantIbLb0EES16_EEDaS11_S12_EUlS11_E_NS1_11comp_targetILNS1_3genE2ELNS1_11target_archE906ELNS1_3gpuE6ELNS1_3repE0EEENS1_30default_config_static_selectorELNS0_4arch9wavefront6targetE0EEEvT1_.num_agpr, 0
	.set _ZN7rocprim17ROCPRIM_400000_NS6detail17trampoline_kernelINS0_14default_configENS1_25partition_config_selectorILNS1_17partition_subalgoE8ElNS0_10empty_typeEbEEZZNS1_14partition_implILS5_8ELb0ES3_jPKlPS6_PKS6_NS0_5tupleIJPlS6_EEENSE_IJSB_SB_EEENS0_18inequality_wrapperIN6hipcub16HIPCUB_304000_NS8EqualityEEESF_JS6_EEE10hipError_tPvRmT3_T4_T5_T6_T7_T9_mT8_P12ihipStream_tbDpT10_ENKUlT_T0_E_clISt17integral_constantIbLb0EES16_EEDaS11_S12_EUlS11_E_NS1_11comp_targetILNS1_3genE2ELNS1_11target_archE906ELNS1_3gpuE6ELNS1_3repE0EEENS1_30default_config_static_selectorELNS0_4arch9wavefront6targetE0EEEvT1_.numbered_sgpr, 0
	.set _ZN7rocprim17ROCPRIM_400000_NS6detail17trampoline_kernelINS0_14default_configENS1_25partition_config_selectorILNS1_17partition_subalgoE8ElNS0_10empty_typeEbEEZZNS1_14partition_implILS5_8ELb0ES3_jPKlPS6_PKS6_NS0_5tupleIJPlS6_EEENSE_IJSB_SB_EEENS0_18inequality_wrapperIN6hipcub16HIPCUB_304000_NS8EqualityEEESF_JS6_EEE10hipError_tPvRmT3_T4_T5_T6_T7_T9_mT8_P12ihipStream_tbDpT10_ENKUlT_T0_E_clISt17integral_constantIbLb0EES16_EEDaS11_S12_EUlS11_E_NS1_11comp_targetILNS1_3genE2ELNS1_11target_archE906ELNS1_3gpuE6ELNS1_3repE0EEENS1_30default_config_static_selectorELNS0_4arch9wavefront6targetE0EEEvT1_.num_named_barrier, 0
	.set _ZN7rocprim17ROCPRIM_400000_NS6detail17trampoline_kernelINS0_14default_configENS1_25partition_config_selectorILNS1_17partition_subalgoE8ElNS0_10empty_typeEbEEZZNS1_14partition_implILS5_8ELb0ES3_jPKlPS6_PKS6_NS0_5tupleIJPlS6_EEENSE_IJSB_SB_EEENS0_18inequality_wrapperIN6hipcub16HIPCUB_304000_NS8EqualityEEESF_JS6_EEE10hipError_tPvRmT3_T4_T5_T6_T7_T9_mT8_P12ihipStream_tbDpT10_ENKUlT_T0_E_clISt17integral_constantIbLb0EES16_EEDaS11_S12_EUlS11_E_NS1_11comp_targetILNS1_3genE2ELNS1_11target_archE906ELNS1_3gpuE6ELNS1_3repE0EEENS1_30default_config_static_selectorELNS0_4arch9wavefront6targetE0EEEvT1_.private_seg_size, 0
	.set _ZN7rocprim17ROCPRIM_400000_NS6detail17trampoline_kernelINS0_14default_configENS1_25partition_config_selectorILNS1_17partition_subalgoE8ElNS0_10empty_typeEbEEZZNS1_14partition_implILS5_8ELb0ES3_jPKlPS6_PKS6_NS0_5tupleIJPlS6_EEENSE_IJSB_SB_EEENS0_18inequality_wrapperIN6hipcub16HIPCUB_304000_NS8EqualityEEESF_JS6_EEE10hipError_tPvRmT3_T4_T5_T6_T7_T9_mT8_P12ihipStream_tbDpT10_ENKUlT_T0_E_clISt17integral_constantIbLb0EES16_EEDaS11_S12_EUlS11_E_NS1_11comp_targetILNS1_3genE2ELNS1_11target_archE906ELNS1_3gpuE6ELNS1_3repE0EEENS1_30default_config_static_selectorELNS0_4arch9wavefront6targetE0EEEvT1_.uses_vcc, 0
	.set _ZN7rocprim17ROCPRIM_400000_NS6detail17trampoline_kernelINS0_14default_configENS1_25partition_config_selectorILNS1_17partition_subalgoE8ElNS0_10empty_typeEbEEZZNS1_14partition_implILS5_8ELb0ES3_jPKlPS6_PKS6_NS0_5tupleIJPlS6_EEENSE_IJSB_SB_EEENS0_18inequality_wrapperIN6hipcub16HIPCUB_304000_NS8EqualityEEESF_JS6_EEE10hipError_tPvRmT3_T4_T5_T6_T7_T9_mT8_P12ihipStream_tbDpT10_ENKUlT_T0_E_clISt17integral_constantIbLb0EES16_EEDaS11_S12_EUlS11_E_NS1_11comp_targetILNS1_3genE2ELNS1_11target_archE906ELNS1_3gpuE6ELNS1_3repE0EEENS1_30default_config_static_selectorELNS0_4arch9wavefront6targetE0EEEvT1_.uses_flat_scratch, 0
	.set _ZN7rocprim17ROCPRIM_400000_NS6detail17trampoline_kernelINS0_14default_configENS1_25partition_config_selectorILNS1_17partition_subalgoE8ElNS0_10empty_typeEbEEZZNS1_14partition_implILS5_8ELb0ES3_jPKlPS6_PKS6_NS0_5tupleIJPlS6_EEENSE_IJSB_SB_EEENS0_18inequality_wrapperIN6hipcub16HIPCUB_304000_NS8EqualityEEESF_JS6_EEE10hipError_tPvRmT3_T4_T5_T6_T7_T9_mT8_P12ihipStream_tbDpT10_ENKUlT_T0_E_clISt17integral_constantIbLb0EES16_EEDaS11_S12_EUlS11_E_NS1_11comp_targetILNS1_3genE2ELNS1_11target_archE906ELNS1_3gpuE6ELNS1_3repE0EEENS1_30default_config_static_selectorELNS0_4arch9wavefront6targetE0EEEvT1_.has_dyn_sized_stack, 0
	.set _ZN7rocprim17ROCPRIM_400000_NS6detail17trampoline_kernelINS0_14default_configENS1_25partition_config_selectorILNS1_17partition_subalgoE8ElNS0_10empty_typeEbEEZZNS1_14partition_implILS5_8ELb0ES3_jPKlPS6_PKS6_NS0_5tupleIJPlS6_EEENSE_IJSB_SB_EEENS0_18inequality_wrapperIN6hipcub16HIPCUB_304000_NS8EqualityEEESF_JS6_EEE10hipError_tPvRmT3_T4_T5_T6_T7_T9_mT8_P12ihipStream_tbDpT10_ENKUlT_T0_E_clISt17integral_constantIbLb0EES16_EEDaS11_S12_EUlS11_E_NS1_11comp_targetILNS1_3genE2ELNS1_11target_archE906ELNS1_3gpuE6ELNS1_3repE0EEENS1_30default_config_static_selectorELNS0_4arch9wavefront6targetE0EEEvT1_.has_recursion, 0
	.set _ZN7rocprim17ROCPRIM_400000_NS6detail17trampoline_kernelINS0_14default_configENS1_25partition_config_selectorILNS1_17partition_subalgoE8ElNS0_10empty_typeEbEEZZNS1_14partition_implILS5_8ELb0ES3_jPKlPS6_PKS6_NS0_5tupleIJPlS6_EEENSE_IJSB_SB_EEENS0_18inequality_wrapperIN6hipcub16HIPCUB_304000_NS8EqualityEEESF_JS6_EEE10hipError_tPvRmT3_T4_T5_T6_T7_T9_mT8_P12ihipStream_tbDpT10_ENKUlT_T0_E_clISt17integral_constantIbLb0EES16_EEDaS11_S12_EUlS11_E_NS1_11comp_targetILNS1_3genE2ELNS1_11target_archE906ELNS1_3gpuE6ELNS1_3repE0EEENS1_30default_config_static_selectorELNS0_4arch9wavefront6targetE0EEEvT1_.has_indirect_call, 0
	.section	.AMDGPU.csdata,"",@progbits
; Kernel info:
; codeLenInByte = 0
; TotalNumSgprs: 0
; NumVgprs: 0
; ScratchSize: 0
; MemoryBound: 0
; FloatMode: 240
; IeeeMode: 1
; LDSByteSize: 0 bytes/workgroup (compile time only)
; SGPRBlocks: 0
; VGPRBlocks: 0
; NumSGPRsForWavesPerEU: 1
; NumVGPRsForWavesPerEU: 1
; NamedBarCnt: 0
; Occupancy: 16
; WaveLimiterHint : 0
; COMPUTE_PGM_RSRC2:SCRATCH_EN: 0
; COMPUTE_PGM_RSRC2:USER_SGPR: 2
; COMPUTE_PGM_RSRC2:TRAP_HANDLER: 0
; COMPUTE_PGM_RSRC2:TGID_X_EN: 1
; COMPUTE_PGM_RSRC2:TGID_Y_EN: 0
; COMPUTE_PGM_RSRC2:TGID_Z_EN: 0
; COMPUTE_PGM_RSRC2:TIDIG_COMP_CNT: 0
	.section	.text._ZN7rocprim17ROCPRIM_400000_NS6detail17trampoline_kernelINS0_14default_configENS1_25partition_config_selectorILNS1_17partition_subalgoE8ElNS0_10empty_typeEbEEZZNS1_14partition_implILS5_8ELb0ES3_jPKlPS6_PKS6_NS0_5tupleIJPlS6_EEENSE_IJSB_SB_EEENS0_18inequality_wrapperIN6hipcub16HIPCUB_304000_NS8EqualityEEESF_JS6_EEE10hipError_tPvRmT3_T4_T5_T6_T7_T9_mT8_P12ihipStream_tbDpT10_ENKUlT_T0_E_clISt17integral_constantIbLb0EES16_EEDaS11_S12_EUlS11_E_NS1_11comp_targetILNS1_3genE10ELNS1_11target_archE1200ELNS1_3gpuE4ELNS1_3repE0EEENS1_30default_config_static_selectorELNS0_4arch9wavefront6targetE0EEEvT1_,"axG",@progbits,_ZN7rocprim17ROCPRIM_400000_NS6detail17trampoline_kernelINS0_14default_configENS1_25partition_config_selectorILNS1_17partition_subalgoE8ElNS0_10empty_typeEbEEZZNS1_14partition_implILS5_8ELb0ES3_jPKlPS6_PKS6_NS0_5tupleIJPlS6_EEENSE_IJSB_SB_EEENS0_18inequality_wrapperIN6hipcub16HIPCUB_304000_NS8EqualityEEESF_JS6_EEE10hipError_tPvRmT3_T4_T5_T6_T7_T9_mT8_P12ihipStream_tbDpT10_ENKUlT_T0_E_clISt17integral_constantIbLb0EES16_EEDaS11_S12_EUlS11_E_NS1_11comp_targetILNS1_3genE10ELNS1_11target_archE1200ELNS1_3gpuE4ELNS1_3repE0EEENS1_30default_config_static_selectorELNS0_4arch9wavefront6targetE0EEEvT1_,comdat
	.protected	_ZN7rocprim17ROCPRIM_400000_NS6detail17trampoline_kernelINS0_14default_configENS1_25partition_config_selectorILNS1_17partition_subalgoE8ElNS0_10empty_typeEbEEZZNS1_14partition_implILS5_8ELb0ES3_jPKlPS6_PKS6_NS0_5tupleIJPlS6_EEENSE_IJSB_SB_EEENS0_18inequality_wrapperIN6hipcub16HIPCUB_304000_NS8EqualityEEESF_JS6_EEE10hipError_tPvRmT3_T4_T5_T6_T7_T9_mT8_P12ihipStream_tbDpT10_ENKUlT_T0_E_clISt17integral_constantIbLb0EES16_EEDaS11_S12_EUlS11_E_NS1_11comp_targetILNS1_3genE10ELNS1_11target_archE1200ELNS1_3gpuE4ELNS1_3repE0EEENS1_30default_config_static_selectorELNS0_4arch9wavefront6targetE0EEEvT1_ ; -- Begin function _ZN7rocprim17ROCPRIM_400000_NS6detail17trampoline_kernelINS0_14default_configENS1_25partition_config_selectorILNS1_17partition_subalgoE8ElNS0_10empty_typeEbEEZZNS1_14partition_implILS5_8ELb0ES3_jPKlPS6_PKS6_NS0_5tupleIJPlS6_EEENSE_IJSB_SB_EEENS0_18inequality_wrapperIN6hipcub16HIPCUB_304000_NS8EqualityEEESF_JS6_EEE10hipError_tPvRmT3_T4_T5_T6_T7_T9_mT8_P12ihipStream_tbDpT10_ENKUlT_T0_E_clISt17integral_constantIbLb0EES16_EEDaS11_S12_EUlS11_E_NS1_11comp_targetILNS1_3genE10ELNS1_11target_archE1200ELNS1_3gpuE4ELNS1_3repE0EEENS1_30default_config_static_selectorELNS0_4arch9wavefront6targetE0EEEvT1_
	.globl	_ZN7rocprim17ROCPRIM_400000_NS6detail17trampoline_kernelINS0_14default_configENS1_25partition_config_selectorILNS1_17partition_subalgoE8ElNS0_10empty_typeEbEEZZNS1_14partition_implILS5_8ELb0ES3_jPKlPS6_PKS6_NS0_5tupleIJPlS6_EEENSE_IJSB_SB_EEENS0_18inequality_wrapperIN6hipcub16HIPCUB_304000_NS8EqualityEEESF_JS6_EEE10hipError_tPvRmT3_T4_T5_T6_T7_T9_mT8_P12ihipStream_tbDpT10_ENKUlT_T0_E_clISt17integral_constantIbLb0EES16_EEDaS11_S12_EUlS11_E_NS1_11comp_targetILNS1_3genE10ELNS1_11target_archE1200ELNS1_3gpuE4ELNS1_3repE0EEENS1_30default_config_static_selectorELNS0_4arch9wavefront6targetE0EEEvT1_
	.p2align	8
	.type	_ZN7rocprim17ROCPRIM_400000_NS6detail17trampoline_kernelINS0_14default_configENS1_25partition_config_selectorILNS1_17partition_subalgoE8ElNS0_10empty_typeEbEEZZNS1_14partition_implILS5_8ELb0ES3_jPKlPS6_PKS6_NS0_5tupleIJPlS6_EEENSE_IJSB_SB_EEENS0_18inequality_wrapperIN6hipcub16HIPCUB_304000_NS8EqualityEEESF_JS6_EEE10hipError_tPvRmT3_T4_T5_T6_T7_T9_mT8_P12ihipStream_tbDpT10_ENKUlT_T0_E_clISt17integral_constantIbLb0EES16_EEDaS11_S12_EUlS11_E_NS1_11comp_targetILNS1_3genE10ELNS1_11target_archE1200ELNS1_3gpuE4ELNS1_3repE0EEENS1_30default_config_static_selectorELNS0_4arch9wavefront6targetE0EEEvT1_,@function
_ZN7rocprim17ROCPRIM_400000_NS6detail17trampoline_kernelINS0_14default_configENS1_25partition_config_selectorILNS1_17partition_subalgoE8ElNS0_10empty_typeEbEEZZNS1_14partition_implILS5_8ELb0ES3_jPKlPS6_PKS6_NS0_5tupleIJPlS6_EEENSE_IJSB_SB_EEENS0_18inequality_wrapperIN6hipcub16HIPCUB_304000_NS8EqualityEEESF_JS6_EEE10hipError_tPvRmT3_T4_T5_T6_T7_T9_mT8_P12ihipStream_tbDpT10_ENKUlT_T0_E_clISt17integral_constantIbLb0EES16_EEDaS11_S12_EUlS11_E_NS1_11comp_targetILNS1_3genE10ELNS1_11target_archE1200ELNS1_3gpuE4ELNS1_3repE0EEENS1_30default_config_static_selectorELNS0_4arch9wavefront6targetE0EEEvT1_: ; @_ZN7rocprim17ROCPRIM_400000_NS6detail17trampoline_kernelINS0_14default_configENS1_25partition_config_selectorILNS1_17partition_subalgoE8ElNS0_10empty_typeEbEEZZNS1_14partition_implILS5_8ELb0ES3_jPKlPS6_PKS6_NS0_5tupleIJPlS6_EEENSE_IJSB_SB_EEENS0_18inequality_wrapperIN6hipcub16HIPCUB_304000_NS8EqualityEEESF_JS6_EEE10hipError_tPvRmT3_T4_T5_T6_T7_T9_mT8_P12ihipStream_tbDpT10_ENKUlT_T0_E_clISt17integral_constantIbLb0EES16_EEDaS11_S12_EUlS11_E_NS1_11comp_targetILNS1_3genE10ELNS1_11target_archE1200ELNS1_3gpuE4ELNS1_3repE0EEENS1_30default_config_static_selectorELNS0_4arch9wavefront6targetE0EEEvT1_
; %bb.0:
	.section	.rodata,"a",@progbits
	.p2align	6, 0x0
	.amdhsa_kernel _ZN7rocprim17ROCPRIM_400000_NS6detail17trampoline_kernelINS0_14default_configENS1_25partition_config_selectorILNS1_17partition_subalgoE8ElNS0_10empty_typeEbEEZZNS1_14partition_implILS5_8ELb0ES3_jPKlPS6_PKS6_NS0_5tupleIJPlS6_EEENSE_IJSB_SB_EEENS0_18inequality_wrapperIN6hipcub16HIPCUB_304000_NS8EqualityEEESF_JS6_EEE10hipError_tPvRmT3_T4_T5_T6_T7_T9_mT8_P12ihipStream_tbDpT10_ENKUlT_T0_E_clISt17integral_constantIbLb0EES16_EEDaS11_S12_EUlS11_E_NS1_11comp_targetILNS1_3genE10ELNS1_11target_archE1200ELNS1_3gpuE4ELNS1_3repE0EEENS1_30default_config_static_selectorELNS0_4arch9wavefront6targetE0EEEvT1_
		.amdhsa_group_segment_fixed_size 0
		.amdhsa_private_segment_fixed_size 0
		.amdhsa_kernarg_size 112
		.amdhsa_user_sgpr_count 2
		.amdhsa_user_sgpr_dispatch_ptr 0
		.amdhsa_user_sgpr_queue_ptr 0
		.amdhsa_user_sgpr_kernarg_segment_ptr 1
		.amdhsa_user_sgpr_dispatch_id 0
		.amdhsa_user_sgpr_kernarg_preload_length 0
		.amdhsa_user_sgpr_kernarg_preload_offset 0
		.amdhsa_user_sgpr_private_segment_size 0
		.amdhsa_wavefront_size32 1
		.amdhsa_uses_dynamic_stack 0
		.amdhsa_enable_private_segment 0
		.amdhsa_system_sgpr_workgroup_id_x 1
		.amdhsa_system_sgpr_workgroup_id_y 0
		.amdhsa_system_sgpr_workgroup_id_z 0
		.amdhsa_system_sgpr_workgroup_info 0
		.amdhsa_system_vgpr_workitem_id 0
		.amdhsa_next_free_vgpr 1
		.amdhsa_next_free_sgpr 1
		.amdhsa_named_barrier_count 0
		.amdhsa_reserve_vcc 0
		.amdhsa_float_round_mode_32 0
		.amdhsa_float_round_mode_16_64 0
		.amdhsa_float_denorm_mode_32 3
		.amdhsa_float_denorm_mode_16_64 3
		.amdhsa_fp16_overflow 0
		.amdhsa_memory_ordered 1
		.amdhsa_forward_progress 1
		.amdhsa_inst_pref_size 0
		.amdhsa_round_robin_scheduling 0
		.amdhsa_exception_fp_ieee_invalid_op 0
		.amdhsa_exception_fp_denorm_src 0
		.amdhsa_exception_fp_ieee_div_zero 0
		.amdhsa_exception_fp_ieee_overflow 0
		.amdhsa_exception_fp_ieee_underflow 0
		.amdhsa_exception_fp_ieee_inexact 0
		.amdhsa_exception_int_div_zero 0
	.end_amdhsa_kernel
	.section	.text._ZN7rocprim17ROCPRIM_400000_NS6detail17trampoline_kernelINS0_14default_configENS1_25partition_config_selectorILNS1_17partition_subalgoE8ElNS0_10empty_typeEbEEZZNS1_14partition_implILS5_8ELb0ES3_jPKlPS6_PKS6_NS0_5tupleIJPlS6_EEENSE_IJSB_SB_EEENS0_18inequality_wrapperIN6hipcub16HIPCUB_304000_NS8EqualityEEESF_JS6_EEE10hipError_tPvRmT3_T4_T5_T6_T7_T9_mT8_P12ihipStream_tbDpT10_ENKUlT_T0_E_clISt17integral_constantIbLb0EES16_EEDaS11_S12_EUlS11_E_NS1_11comp_targetILNS1_3genE10ELNS1_11target_archE1200ELNS1_3gpuE4ELNS1_3repE0EEENS1_30default_config_static_selectorELNS0_4arch9wavefront6targetE0EEEvT1_,"axG",@progbits,_ZN7rocprim17ROCPRIM_400000_NS6detail17trampoline_kernelINS0_14default_configENS1_25partition_config_selectorILNS1_17partition_subalgoE8ElNS0_10empty_typeEbEEZZNS1_14partition_implILS5_8ELb0ES3_jPKlPS6_PKS6_NS0_5tupleIJPlS6_EEENSE_IJSB_SB_EEENS0_18inequality_wrapperIN6hipcub16HIPCUB_304000_NS8EqualityEEESF_JS6_EEE10hipError_tPvRmT3_T4_T5_T6_T7_T9_mT8_P12ihipStream_tbDpT10_ENKUlT_T0_E_clISt17integral_constantIbLb0EES16_EEDaS11_S12_EUlS11_E_NS1_11comp_targetILNS1_3genE10ELNS1_11target_archE1200ELNS1_3gpuE4ELNS1_3repE0EEENS1_30default_config_static_selectorELNS0_4arch9wavefront6targetE0EEEvT1_,comdat
.Lfunc_end231:
	.size	_ZN7rocprim17ROCPRIM_400000_NS6detail17trampoline_kernelINS0_14default_configENS1_25partition_config_selectorILNS1_17partition_subalgoE8ElNS0_10empty_typeEbEEZZNS1_14partition_implILS5_8ELb0ES3_jPKlPS6_PKS6_NS0_5tupleIJPlS6_EEENSE_IJSB_SB_EEENS0_18inequality_wrapperIN6hipcub16HIPCUB_304000_NS8EqualityEEESF_JS6_EEE10hipError_tPvRmT3_T4_T5_T6_T7_T9_mT8_P12ihipStream_tbDpT10_ENKUlT_T0_E_clISt17integral_constantIbLb0EES16_EEDaS11_S12_EUlS11_E_NS1_11comp_targetILNS1_3genE10ELNS1_11target_archE1200ELNS1_3gpuE4ELNS1_3repE0EEENS1_30default_config_static_selectorELNS0_4arch9wavefront6targetE0EEEvT1_, .Lfunc_end231-_ZN7rocprim17ROCPRIM_400000_NS6detail17trampoline_kernelINS0_14default_configENS1_25partition_config_selectorILNS1_17partition_subalgoE8ElNS0_10empty_typeEbEEZZNS1_14partition_implILS5_8ELb0ES3_jPKlPS6_PKS6_NS0_5tupleIJPlS6_EEENSE_IJSB_SB_EEENS0_18inequality_wrapperIN6hipcub16HIPCUB_304000_NS8EqualityEEESF_JS6_EEE10hipError_tPvRmT3_T4_T5_T6_T7_T9_mT8_P12ihipStream_tbDpT10_ENKUlT_T0_E_clISt17integral_constantIbLb0EES16_EEDaS11_S12_EUlS11_E_NS1_11comp_targetILNS1_3genE10ELNS1_11target_archE1200ELNS1_3gpuE4ELNS1_3repE0EEENS1_30default_config_static_selectorELNS0_4arch9wavefront6targetE0EEEvT1_
                                        ; -- End function
	.set _ZN7rocprim17ROCPRIM_400000_NS6detail17trampoline_kernelINS0_14default_configENS1_25partition_config_selectorILNS1_17partition_subalgoE8ElNS0_10empty_typeEbEEZZNS1_14partition_implILS5_8ELb0ES3_jPKlPS6_PKS6_NS0_5tupleIJPlS6_EEENSE_IJSB_SB_EEENS0_18inequality_wrapperIN6hipcub16HIPCUB_304000_NS8EqualityEEESF_JS6_EEE10hipError_tPvRmT3_T4_T5_T6_T7_T9_mT8_P12ihipStream_tbDpT10_ENKUlT_T0_E_clISt17integral_constantIbLb0EES16_EEDaS11_S12_EUlS11_E_NS1_11comp_targetILNS1_3genE10ELNS1_11target_archE1200ELNS1_3gpuE4ELNS1_3repE0EEENS1_30default_config_static_selectorELNS0_4arch9wavefront6targetE0EEEvT1_.num_vgpr, 0
	.set _ZN7rocprim17ROCPRIM_400000_NS6detail17trampoline_kernelINS0_14default_configENS1_25partition_config_selectorILNS1_17partition_subalgoE8ElNS0_10empty_typeEbEEZZNS1_14partition_implILS5_8ELb0ES3_jPKlPS6_PKS6_NS0_5tupleIJPlS6_EEENSE_IJSB_SB_EEENS0_18inequality_wrapperIN6hipcub16HIPCUB_304000_NS8EqualityEEESF_JS6_EEE10hipError_tPvRmT3_T4_T5_T6_T7_T9_mT8_P12ihipStream_tbDpT10_ENKUlT_T0_E_clISt17integral_constantIbLb0EES16_EEDaS11_S12_EUlS11_E_NS1_11comp_targetILNS1_3genE10ELNS1_11target_archE1200ELNS1_3gpuE4ELNS1_3repE0EEENS1_30default_config_static_selectorELNS0_4arch9wavefront6targetE0EEEvT1_.num_agpr, 0
	.set _ZN7rocprim17ROCPRIM_400000_NS6detail17trampoline_kernelINS0_14default_configENS1_25partition_config_selectorILNS1_17partition_subalgoE8ElNS0_10empty_typeEbEEZZNS1_14partition_implILS5_8ELb0ES3_jPKlPS6_PKS6_NS0_5tupleIJPlS6_EEENSE_IJSB_SB_EEENS0_18inequality_wrapperIN6hipcub16HIPCUB_304000_NS8EqualityEEESF_JS6_EEE10hipError_tPvRmT3_T4_T5_T6_T7_T9_mT8_P12ihipStream_tbDpT10_ENKUlT_T0_E_clISt17integral_constantIbLb0EES16_EEDaS11_S12_EUlS11_E_NS1_11comp_targetILNS1_3genE10ELNS1_11target_archE1200ELNS1_3gpuE4ELNS1_3repE0EEENS1_30default_config_static_selectorELNS0_4arch9wavefront6targetE0EEEvT1_.numbered_sgpr, 0
	.set _ZN7rocprim17ROCPRIM_400000_NS6detail17trampoline_kernelINS0_14default_configENS1_25partition_config_selectorILNS1_17partition_subalgoE8ElNS0_10empty_typeEbEEZZNS1_14partition_implILS5_8ELb0ES3_jPKlPS6_PKS6_NS0_5tupleIJPlS6_EEENSE_IJSB_SB_EEENS0_18inequality_wrapperIN6hipcub16HIPCUB_304000_NS8EqualityEEESF_JS6_EEE10hipError_tPvRmT3_T4_T5_T6_T7_T9_mT8_P12ihipStream_tbDpT10_ENKUlT_T0_E_clISt17integral_constantIbLb0EES16_EEDaS11_S12_EUlS11_E_NS1_11comp_targetILNS1_3genE10ELNS1_11target_archE1200ELNS1_3gpuE4ELNS1_3repE0EEENS1_30default_config_static_selectorELNS0_4arch9wavefront6targetE0EEEvT1_.num_named_barrier, 0
	.set _ZN7rocprim17ROCPRIM_400000_NS6detail17trampoline_kernelINS0_14default_configENS1_25partition_config_selectorILNS1_17partition_subalgoE8ElNS0_10empty_typeEbEEZZNS1_14partition_implILS5_8ELb0ES3_jPKlPS6_PKS6_NS0_5tupleIJPlS6_EEENSE_IJSB_SB_EEENS0_18inequality_wrapperIN6hipcub16HIPCUB_304000_NS8EqualityEEESF_JS6_EEE10hipError_tPvRmT3_T4_T5_T6_T7_T9_mT8_P12ihipStream_tbDpT10_ENKUlT_T0_E_clISt17integral_constantIbLb0EES16_EEDaS11_S12_EUlS11_E_NS1_11comp_targetILNS1_3genE10ELNS1_11target_archE1200ELNS1_3gpuE4ELNS1_3repE0EEENS1_30default_config_static_selectorELNS0_4arch9wavefront6targetE0EEEvT1_.private_seg_size, 0
	.set _ZN7rocprim17ROCPRIM_400000_NS6detail17trampoline_kernelINS0_14default_configENS1_25partition_config_selectorILNS1_17partition_subalgoE8ElNS0_10empty_typeEbEEZZNS1_14partition_implILS5_8ELb0ES3_jPKlPS6_PKS6_NS0_5tupleIJPlS6_EEENSE_IJSB_SB_EEENS0_18inequality_wrapperIN6hipcub16HIPCUB_304000_NS8EqualityEEESF_JS6_EEE10hipError_tPvRmT3_T4_T5_T6_T7_T9_mT8_P12ihipStream_tbDpT10_ENKUlT_T0_E_clISt17integral_constantIbLb0EES16_EEDaS11_S12_EUlS11_E_NS1_11comp_targetILNS1_3genE10ELNS1_11target_archE1200ELNS1_3gpuE4ELNS1_3repE0EEENS1_30default_config_static_selectorELNS0_4arch9wavefront6targetE0EEEvT1_.uses_vcc, 0
	.set _ZN7rocprim17ROCPRIM_400000_NS6detail17trampoline_kernelINS0_14default_configENS1_25partition_config_selectorILNS1_17partition_subalgoE8ElNS0_10empty_typeEbEEZZNS1_14partition_implILS5_8ELb0ES3_jPKlPS6_PKS6_NS0_5tupleIJPlS6_EEENSE_IJSB_SB_EEENS0_18inequality_wrapperIN6hipcub16HIPCUB_304000_NS8EqualityEEESF_JS6_EEE10hipError_tPvRmT3_T4_T5_T6_T7_T9_mT8_P12ihipStream_tbDpT10_ENKUlT_T0_E_clISt17integral_constantIbLb0EES16_EEDaS11_S12_EUlS11_E_NS1_11comp_targetILNS1_3genE10ELNS1_11target_archE1200ELNS1_3gpuE4ELNS1_3repE0EEENS1_30default_config_static_selectorELNS0_4arch9wavefront6targetE0EEEvT1_.uses_flat_scratch, 0
	.set _ZN7rocprim17ROCPRIM_400000_NS6detail17trampoline_kernelINS0_14default_configENS1_25partition_config_selectorILNS1_17partition_subalgoE8ElNS0_10empty_typeEbEEZZNS1_14partition_implILS5_8ELb0ES3_jPKlPS6_PKS6_NS0_5tupleIJPlS6_EEENSE_IJSB_SB_EEENS0_18inequality_wrapperIN6hipcub16HIPCUB_304000_NS8EqualityEEESF_JS6_EEE10hipError_tPvRmT3_T4_T5_T6_T7_T9_mT8_P12ihipStream_tbDpT10_ENKUlT_T0_E_clISt17integral_constantIbLb0EES16_EEDaS11_S12_EUlS11_E_NS1_11comp_targetILNS1_3genE10ELNS1_11target_archE1200ELNS1_3gpuE4ELNS1_3repE0EEENS1_30default_config_static_selectorELNS0_4arch9wavefront6targetE0EEEvT1_.has_dyn_sized_stack, 0
	.set _ZN7rocprim17ROCPRIM_400000_NS6detail17trampoline_kernelINS0_14default_configENS1_25partition_config_selectorILNS1_17partition_subalgoE8ElNS0_10empty_typeEbEEZZNS1_14partition_implILS5_8ELb0ES3_jPKlPS6_PKS6_NS0_5tupleIJPlS6_EEENSE_IJSB_SB_EEENS0_18inequality_wrapperIN6hipcub16HIPCUB_304000_NS8EqualityEEESF_JS6_EEE10hipError_tPvRmT3_T4_T5_T6_T7_T9_mT8_P12ihipStream_tbDpT10_ENKUlT_T0_E_clISt17integral_constantIbLb0EES16_EEDaS11_S12_EUlS11_E_NS1_11comp_targetILNS1_3genE10ELNS1_11target_archE1200ELNS1_3gpuE4ELNS1_3repE0EEENS1_30default_config_static_selectorELNS0_4arch9wavefront6targetE0EEEvT1_.has_recursion, 0
	.set _ZN7rocprim17ROCPRIM_400000_NS6detail17trampoline_kernelINS0_14default_configENS1_25partition_config_selectorILNS1_17partition_subalgoE8ElNS0_10empty_typeEbEEZZNS1_14partition_implILS5_8ELb0ES3_jPKlPS6_PKS6_NS0_5tupleIJPlS6_EEENSE_IJSB_SB_EEENS0_18inequality_wrapperIN6hipcub16HIPCUB_304000_NS8EqualityEEESF_JS6_EEE10hipError_tPvRmT3_T4_T5_T6_T7_T9_mT8_P12ihipStream_tbDpT10_ENKUlT_T0_E_clISt17integral_constantIbLb0EES16_EEDaS11_S12_EUlS11_E_NS1_11comp_targetILNS1_3genE10ELNS1_11target_archE1200ELNS1_3gpuE4ELNS1_3repE0EEENS1_30default_config_static_selectorELNS0_4arch9wavefront6targetE0EEEvT1_.has_indirect_call, 0
	.section	.AMDGPU.csdata,"",@progbits
; Kernel info:
; codeLenInByte = 0
; TotalNumSgprs: 0
; NumVgprs: 0
; ScratchSize: 0
; MemoryBound: 0
; FloatMode: 240
; IeeeMode: 1
; LDSByteSize: 0 bytes/workgroup (compile time only)
; SGPRBlocks: 0
; VGPRBlocks: 0
; NumSGPRsForWavesPerEU: 1
; NumVGPRsForWavesPerEU: 1
; NamedBarCnt: 0
; Occupancy: 16
; WaveLimiterHint : 0
; COMPUTE_PGM_RSRC2:SCRATCH_EN: 0
; COMPUTE_PGM_RSRC2:USER_SGPR: 2
; COMPUTE_PGM_RSRC2:TRAP_HANDLER: 0
; COMPUTE_PGM_RSRC2:TGID_X_EN: 1
; COMPUTE_PGM_RSRC2:TGID_Y_EN: 0
; COMPUTE_PGM_RSRC2:TGID_Z_EN: 0
; COMPUTE_PGM_RSRC2:TIDIG_COMP_CNT: 0
	.section	.text._ZN7rocprim17ROCPRIM_400000_NS6detail17trampoline_kernelINS0_14default_configENS1_25partition_config_selectorILNS1_17partition_subalgoE8ElNS0_10empty_typeEbEEZZNS1_14partition_implILS5_8ELb0ES3_jPKlPS6_PKS6_NS0_5tupleIJPlS6_EEENSE_IJSB_SB_EEENS0_18inequality_wrapperIN6hipcub16HIPCUB_304000_NS8EqualityEEESF_JS6_EEE10hipError_tPvRmT3_T4_T5_T6_T7_T9_mT8_P12ihipStream_tbDpT10_ENKUlT_T0_E_clISt17integral_constantIbLb0EES16_EEDaS11_S12_EUlS11_E_NS1_11comp_targetILNS1_3genE9ELNS1_11target_archE1100ELNS1_3gpuE3ELNS1_3repE0EEENS1_30default_config_static_selectorELNS0_4arch9wavefront6targetE0EEEvT1_,"axG",@progbits,_ZN7rocprim17ROCPRIM_400000_NS6detail17trampoline_kernelINS0_14default_configENS1_25partition_config_selectorILNS1_17partition_subalgoE8ElNS0_10empty_typeEbEEZZNS1_14partition_implILS5_8ELb0ES3_jPKlPS6_PKS6_NS0_5tupleIJPlS6_EEENSE_IJSB_SB_EEENS0_18inequality_wrapperIN6hipcub16HIPCUB_304000_NS8EqualityEEESF_JS6_EEE10hipError_tPvRmT3_T4_T5_T6_T7_T9_mT8_P12ihipStream_tbDpT10_ENKUlT_T0_E_clISt17integral_constantIbLb0EES16_EEDaS11_S12_EUlS11_E_NS1_11comp_targetILNS1_3genE9ELNS1_11target_archE1100ELNS1_3gpuE3ELNS1_3repE0EEENS1_30default_config_static_selectorELNS0_4arch9wavefront6targetE0EEEvT1_,comdat
	.protected	_ZN7rocprim17ROCPRIM_400000_NS6detail17trampoline_kernelINS0_14default_configENS1_25partition_config_selectorILNS1_17partition_subalgoE8ElNS0_10empty_typeEbEEZZNS1_14partition_implILS5_8ELb0ES3_jPKlPS6_PKS6_NS0_5tupleIJPlS6_EEENSE_IJSB_SB_EEENS0_18inequality_wrapperIN6hipcub16HIPCUB_304000_NS8EqualityEEESF_JS6_EEE10hipError_tPvRmT3_T4_T5_T6_T7_T9_mT8_P12ihipStream_tbDpT10_ENKUlT_T0_E_clISt17integral_constantIbLb0EES16_EEDaS11_S12_EUlS11_E_NS1_11comp_targetILNS1_3genE9ELNS1_11target_archE1100ELNS1_3gpuE3ELNS1_3repE0EEENS1_30default_config_static_selectorELNS0_4arch9wavefront6targetE0EEEvT1_ ; -- Begin function _ZN7rocprim17ROCPRIM_400000_NS6detail17trampoline_kernelINS0_14default_configENS1_25partition_config_selectorILNS1_17partition_subalgoE8ElNS0_10empty_typeEbEEZZNS1_14partition_implILS5_8ELb0ES3_jPKlPS6_PKS6_NS0_5tupleIJPlS6_EEENSE_IJSB_SB_EEENS0_18inequality_wrapperIN6hipcub16HIPCUB_304000_NS8EqualityEEESF_JS6_EEE10hipError_tPvRmT3_T4_T5_T6_T7_T9_mT8_P12ihipStream_tbDpT10_ENKUlT_T0_E_clISt17integral_constantIbLb0EES16_EEDaS11_S12_EUlS11_E_NS1_11comp_targetILNS1_3genE9ELNS1_11target_archE1100ELNS1_3gpuE3ELNS1_3repE0EEENS1_30default_config_static_selectorELNS0_4arch9wavefront6targetE0EEEvT1_
	.globl	_ZN7rocprim17ROCPRIM_400000_NS6detail17trampoline_kernelINS0_14default_configENS1_25partition_config_selectorILNS1_17partition_subalgoE8ElNS0_10empty_typeEbEEZZNS1_14partition_implILS5_8ELb0ES3_jPKlPS6_PKS6_NS0_5tupleIJPlS6_EEENSE_IJSB_SB_EEENS0_18inequality_wrapperIN6hipcub16HIPCUB_304000_NS8EqualityEEESF_JS6_EEE10hipError_tPvRmT3_T4_T5_T6_T7_T9_mT8_P12ihipStream_tbDpT10_ENKUlT_T0_E_clISt17integral_constantIbLb0EES16_EEDaS11_S12_EUlS11_E_NS1_11comp_targetILNS1_3genE9ELNS1_11target_archE1100ELNS1_3gpuE3ELNS1_3repE0EEENS1_30default_config_static_selectorELNS0_4arch9wavefront6targetE0EEEvT1_
	.p2align	8
	.type	_ZN7rocprim17ROCPRIM_400000_NS6detail17trampoline_kernelINS0_14default_configENS1_25partition_config_selectorILNS1_17partition_subalgoE8ElNS0_10empty_typeEbEEZZNS1_14partition_implILS5_8ELb0ES3_jPKlPS6_PKS6_NS0_5tupleIJPlS6_EEENSE_IJSB_SB_EEENS0_18inequality_wrapperIN6hipcub16HIPCUB_304000_NS8EqualityEEESF_JS6_EEE10hipError_tPvRmT3_T4_T5_T6_T7_T9_mT8_P12ihipStream_tbDpT10_ENKUlT_T0_E_clISt17integral_constantIbLb0EES16_EEDaS11_S12_EUlS11_E_NS1_11comp_targetILNS1_3genE9ELNS1_11target_archE1100ELNS1_3gpuE3ELNS1_3repE0EEENS1_30default_config_static_selectorELNS0_4arch9wavefront6targetE0EEEvT1_,@function
_ZN7rocprim17ROCPRIM_400000_NS6detail17trampoline_kernelINS0_14default_configENS1_25partition_config_selectorILNS1_17partition_subalgoE8ElNS0_10empty_typeEbEEZZNS1_14partition_implILS5_8ELb0ES3_jPKlPS6_PKS6_NS0_5tupleIJPlS6_EEENSE_IJSB_SB_EEENS0_18inequality_wrapperIN6hipcub16HIPCUB_304000_NS8EqualityEEESF_JS6_EEE10hipError_tPvRmT3_T4_T5_T6_T7_T9_mT8_P12ihipStream_tbDpT10_ENKUlT_T0_E_clISt17integral_constantIbLb0EES16_EEDaS11_S12_EUlS11_E_NS1_11comp_targetILNS1_3genE9ELNS1_11target_archE1100ELNS1_3gpuE3ELNS1_3repE0EEENS1_30default_config_static_selectorELNS0_4arch9wavefront6targetE0EEEvT1_: ; @_ZN7rocprim17ROCPRIM_400000_NS6detail17trampoline_kernelINS0_14default_configENS1_25partition_config_selectorILNS1_17partition_subalgoE8ElNS0_10empty_typeEbEEZZNS1_14partition_implILS5_8ELb0ES3_jPKlPS6_PKS6_NS0_5tupleIJPlS6_EEENSE_IJSB_SB_EEENS0_18inequality_wrapperIN6hipcub16HIPCUB_304000_NS8EqualityEEESF_JS6_EEE10hipError_tPvRmT3_T4_T5_T6_T7_T9_mT8_P12ihipStream_tbDpT10_ENKUlT_T0_E_clISt17integral_constantIbLb0EES16_EEDaS11_S12_EUlS11_E_NS1_11comp_targetILNS1_3genE9ELNS1_11target_archE1100ELNS1_3gpuE3ELNS1_3repE0EEENS1_30default_config_static_selectorELNS0_4arch9wavefront6targetE0EEEvT1_
; %bb.0:
	.section	.rodata,"a",@progbits
	.p2align	6, 0x0
	.amdhsa_kernel _ZN7rocprim17ROCPRIM_400000_NS6detail17trampoline_kernelINS0_14default_configENS1_25partition_config_selectorILNS1_17partition_subalgoE8ElNS0_10empty_typeEbEEZZNS1_14partition_implILS5_8ELb0ES3_jPKlPS6_PKS6_NS0_5tupleIJPlS6_EEENSE_IJSB_SB_EEENS0_18inequality_wrapperIN6hipcub16HIPCUB_304000_NS8EqualityEEESF_JS6_EEE10hipError_tPvRmT3_T4_T5_T6_T7_T9_mT8_P12ihipStream_tbDpT10_ENKUlT_T0_E_clISt17integral_constantIbLb0EES16_EEDaS11_S12_EUlS11_E_NS1_11comp_targetILNS1_3genE9ELNS1_11target_archE1100ELNS1_3gpuE3ELNS1_3repE0EEENS1_30default_config_static_selectorELNS0_4arch9wavefront6targetE0EEEvT1_
		.amdhsa_group_segment_fixed_size 0
		.amdhsa_private_segment_fixed_size 0
		.amdhsa_kernarg_size 112
		.amdhsa_user_sgpr_count 2
		.amdhsa_user_sgpr_dispatch_ptr 0
		.amdhsa_user_sgpr_queue_ptr 0
		.amdhsa_user_sgpr_kernarg_segment_ptr 1
		.amdhsa_user_sgpr_dispatch_id 0
		.amdhsa_user_sgpr_kernarg_preload_length 0
		.amdhsa_user_sgpr_kernarg_preload_offset 0
		.amdhsa_user_sgpr_private_segment_size 0
		.amdhsa_wavefront_size32 1
		.amdhsa_uses_dynamic_stack 0
		.amdhsa_enable_private_segment 0
		.amdhsa_system_sgpr_workgroup_id_x 1
		.amdhsa_system_sgpr_workgroup_id_y 0
		.amdhsa_system_sgpr_workgroup_id_z 0
		.amdhsa_system_sgpr_workgroup_info 0
		.amdhsa_system_vgpr_workitem_id 0
		.amdhsa_next_free_vgpr 1
		.amdhsa_next_free_sgpr 1
		.amdhsa_named_barrier_count 0
		.amdhsa_reserve_vcc 0
		.amdhsa_float_round_mode_32 0
		.amdhsa_float_round_mode_16_64 0
		.amdhsa_float_denorm_mode_32 3
		.amdhsa_float_denorm_mode_16_64 3
		.amdhsa_fp16_overflow 0
		.amdhsa_memory_ordered 1
		.amdhsa_forward_progress 1
		.amdhsa_inst_pref_size 0
		.amdhsa_round_robin_scheduling 0
		.amdhsa_exception_fp_ieee_invalid_op 0
		.amdhsa_exception_fp_denorm_src 0
		.amdhsa_exception_fp_ieee_div_zero 0
		.amdhsa_exception_fp_ieee_overflow 0
		.amdhsa_exception_fp_ieee_underflow 0
		.amdhsa_exception_fp_ieee_inexact 0
		.amdhsa_exception_int_div_zero 0
	.end_amdhsa_kernel
	.section	.text._ZN7rocprim17ROCPRIM_400000_NS6detail17trampoline_kernelINS0_14default_configENS1_25partition_config_selectorILNS1_17partition_subalgoE8ElNS0_10empty_typeEbEEZZNS1_14partition_implILS5_8ELb0ES3_jPKlPS6_PKS6_NS0_5tupleIJPlS6_EEENSE_IJSB_SB_EEENS0_18inequality_wrapperIN6hipcub16HIPCUB_304000_NS8EqualityEEESF_JS6_EEE10hipError_tPvRmT3_T4_T5_T6_T7_T9_mT8_P12ihipStream_tbDpT10_ENKUlT_T0_E_clISt17integral_constantIbLb0EES16_EEDaS11_S12_EUlS11_E_NS1_11comp_targetILNS1_3genE9ELNS1_11target_archE1100ELNS1_3gpuE3ELNS1_3repE0EEENS1_30default_config_static_selectorELNS0_4arch9wavefront6targetE0EEEvT1_,"axG",@progbits,_ZN7rocprim17ROCPRIM_400000_NS6detail17trampoline_kernelINS0_14default_configENS1_25partition_config_selectorILNS1_17partition_subalgoE8ElNS0_10empty_typeEbEEZZNS1_14partition_implILS5_8ELb0ES3_jPKlPS6_PKS6_NS0_5tupleIJPlS6_EEENSE_IJSB_SB_EEENS0_18inequality_wrapperIN6hipcub16HIPCUB_304000_NS8EqualityEEESF_JS6_EEE10hipError_tPvRmT3_T4_T5_T6_T7_T9_mT8_P12ihipStream_tbDpT10_ENKUlT_T0_E_clISt17integral_constantIbLb0EES16_EEDaS11_S12_EUlS11_E_NS1_11comp_targetILNS1_3genE9ELNS1_11target_archE1100ELNS1_3gpuE3ELNS1_3repE0EEENS1_30default_config_static_selectorELNS0_4arch9wavefront6targetE0EEEvT1_,comdat
.Lfunc_end232:
	.size	_ZN7rocprim17ROCPRIM_400000_NS6detail17trampoline_kernelINS0_14default_configENS1_25partition_config_selectorILNS1_17partition_subalgoE8ElNS0_10empty_typeEbEEZZNS1_14partition_implILS5_8ELb0ES3_jPKlPS6_PKS6_NS0_5tupleIJPlS6_EEENSE_IJSB_SB_EEENS0_18inequality_wrapperIN6hipcub16HIPCUB_304000_NS8EqualityEEESF_JS6_EEE10hipError_tPvRmT3_T4_T5_T6_T7_T9_mT8_P12ihipStream_tbDpT10_ENKUlT_T0_E_clISt17integral_constantIbLb0EES16_EEDaS11_S12_EUlS11_E_NS1_11comp_targetILNS1_3genE9ELNS1_11target_archE1100ELNS1_3gpuE3ELNS1_3repE0EEENS1_30default_config_static_selectorELNS0_4arch9wavefront6targetE0EEEvT1_, .Lfunc_end232-_ZN7rocprim17ROCPRIM_400000_NS6detail17trampoline_kernelINS0_14default_configENS1_25partition_config_selectorILNS1_17partition_subalgoE8ElNS0_10empty_typeEbEEZZNS1_14partition_implILS5_8ELb0ES3_jPKlPS6_PKS6_NS0_5tupleIJPlS6_EEENSE_IJSB_SB_EEENS0_18inequality_wrapperIN6hipcub16HIPCUB_304000_NS8EqualityEEESF_JS6_EEE10hipError_tPvRmT3_T4_T5_T6_T7_T9_mT8_P12ihipStream_tbDpT10_ENKUlT_T0_E_clISt17integral_constantIbLb0EES16_EEDaS11_S12_EUlS11_E_NS1_11comp_targetILNS1_3genE9ELNS1_11target_archE1100ELNS1_3gpuE3ELNS1_3repE0EEENS1_30default_config_static_selectorELNS0_4arch9wavefront6targetE0EEEvT1_
                                        ; -- End function
	.set _ZN7rocprim17ROCPRIM_400000_NS6detail17trampoline_kernelINS0_14default_configENS1_25partition_config_selectorILNS1_17partition_subalgoE8ElNS0_10empty_typeEbEEZZNS1_14partition_implILS5_8ELb0ES3_jPKlPS6_PKS6_NS0_5tupleIJPlS6_EEENSE_IJSB_SB_EEENS0_18inequality_wrapperIN6hipcub16HIPCUB_304000_NS8EqualityEEESF_JS6_EEE10hipError_tPvRmT3_T4_T5_T6_T7_T9_mT8_P12ihipStream_tbDpT10_ENKUlT_T0_E_clISt17integral_constantIbLb0EES16_EEDaS11_S12_EUlS11_E_NS1_11comp_targetILNS1_3genE9ELNS1_11target_archE1100ELNS1_3gpuE3ELNS1_3repE0EEENS1_30default_config_static_selectorELNS0_4arch9wavefront6targetE0EEEvT1_.num_vgpr, 0
	.set _ZN7rocprim17ROCPRIM_400000_NS6detail17trampoline_kernelINS0_14default_configENS1_25partition_config_selectorILNS1_17partition_subalgoE8ElNS0_10empty_typeEbEEZZNS1_14partition_implILS5_8ELb0ES3_jPKlPS6_PKS6_NS0_5tupleIJPlS6_EEENSE_IJSB_SB_EEENS0_18inequality_wrapperIN6hipcub16HIPCUB_304000_NS8EqualityEEESF_JS6_EEE10hipError_tPvRmT3_T4_T5_T6_T7_T9_mT8_P12ihipStream_tbDpT10_ENKUlT_T0_E_clISt17integral_constantIbLb0EES16_EEDaS11_S12_EUlS11_E_NS1_11comp_targetILNS1_3genE9ELNS1_11target_archE1100ELNS1_3gpuE3ELNS1_3repE0EEENS1_30default_config_static_selectorELNS0_4arch9wavefront6targetE0EEEvT1_.num_agpr, 0
	.set _ZN7rocprim17ROCPRIM_400000_NS6detail17trampoline_kernelINS0_14default_configENS1_25partition_config_selectorILNS1_17partition_subalgoE8ElNS0_10empty_typeEbEEZZNS1_14partition_implILS5_8ELb0ES3_jPKlPS6_PKS6_NS0_5tupleIJPlS6_EEENSE_IJSB_SB_EEENS0_18inequality_wrapperIN6hipcub16HIPCUB_304000_NS8EqualityEEESF_JS6_EEE10hipError_tPvRmT3_T4_T5_T6_T7_T9_mT8_P12ihipStream_tbDpT10_ENKUlT_T0_E_clISt17integral_constantIbLb0EES16_EEDaS11_S12_EUlS11_E_NS1_11comp_targetILNS1_3genE9ELNS1_11target_archE1100ELNS1_3gpuE3ELNS1_3repE0EEENS1_30default_config_static_selectorELNS0_4arch9wavefront6targetE0EEEvT1_.numbered_sgpr, 0
	.set _ZN7rocprim17ROCPRIM_400000_NS6detail17trampoline_kernelINS0_14default_configENS1_25partition_config_selectorILNS1_17partition_subalgoE8ElNS0_10empty_typeEbEEZZNS1_14partition_implILS5_8ELb0ES3_jPKlPS6_PKS6_NS0_5tupleIJPlS6_EEENSE_IJSB_SB_EEENS0_18inequality_wrapperIN6hipcub16HIPCUB_304000_NS8EqualityEEESF_JS6_EEE10hipError_tPvRmT3_T4_T5_T6_T7_T9_mT8_P12ihipStream_tbDpT10_ENKUlT_T0_E_clISt17integral_constantIbLb0EES16_EEDaS11_S12_EUlS11_E_NS1_11comp_targetILNS1_3genE9ELNS1_11target_archE1100ELNS1_3gpuE3ELNS1_3repE0EEENS1_30default_config_static_selectorELNS0_4arch9wavefront6targetE0EEEvT1_.num_named_barrier, 0
	.set _ZN7rocprim17ROCPRIM_400000_NS6detail17trampoline_kernelINS0_14default_configENS1_25partition_config_selectorILNS1_17partition_subalgoE8ElNS0_10empty_typeEbEEZZNS1_14partition_implILS5_8ELb0ES3_jPKlPS6_PKS6_NS0_5tupleIJPlS6_EEENSE_IJSB_SB_EEENS0_18inequality_wrapperIN6hipcub16HIPCUB_304000_NS8EqualityEEESF_JS6_EEE10hipError_tPvRmT3_T4_T5_T6_T7_T9_mT8_P12ihipStream_tbDpT10_ENKUlT_T0_E_clISt17integral_constantIbLb0EES16_EEDaS11_S12_EUlS11_E_NS1_11comp_targetILNS1_3genE9ELNS1_11target_archE1100ELNS1_3gpuE3ELNS1_3repE0EEENS1_30default_config_static_selectorELNS0_4arch9wavefront6targetE0EEEvT1_.private_seg_size, 0
	.set _ZN7rocprim17ROCPRIM_400000_NS6detail17trampoline_kernelINS0_14default_configENS1_25partition_config_selectorILNS1_17partition_subalgoE8ElNS0_10empty_typeEbEEZZNS1_14partition_implILS5_8ELb0ES3_jPKlPS6_PKS6_NS0_5tupleIJPlS6_EEENSE_IJSB_SB_EEENS0_18inequality_wrapperIN6hipcub16HIPCUB_304000_NS8EqualityEEESF_JS6_EEE10hipError_tPvRmT3_T4_T5_T6_T7_T9_mT8_P12ihipStream_tbDpT10_ENKUlT_T0_E_clISt17integral_constantIbLb0EES16_EEDaS11_S12_EUlS11_E_NS1_11comp_targetILNS1_3genE9ELNS1_11target_archE1100ELNS1_3gpuE3ELNS1_3repE0EEENS1_30default_config_static_selectorELNS0_4arch9wavefront6targetE0EEEvT1_.uses_vcc, 0
	.set _ZN7rocprim17ROCPRIM_400000_NS6detail17trampoline_kernelINS0_14default_configENS1_25partition_config_selectorILNS1_17partition_subalgoE8ElNS0_10empty_typeEbEEZZNS1_14partition_implILS5_8ELb0ES3_jPKlPS6_PKS6_NS0_5tupleIJPlS6_EEENSE_IJSB_SB_EEENS0_18inequality_wrapperIN6hipcub16HIPCUB_304000_NS8EqualityEEESF_JS6_EEE10hipError_tPvRmT3_T4_T5_T6_T7_T9_mT8_P12ihipStream_tbDpT10_ENKUlT_T0_E_clISt17integral_constantIbLb0EES16_EEDaS11_S12_EUlS11_E_NS1_11comp_targetILNS1_3genE9ELNS1_11target_archE1100ELNS1_3gpuE3ELNS1_3repE0EEENS1_30default_config_static_selectorELNS0_4arch9wavefront6targetE0EEEvT1_.uses_flat_scratch, 0
	.set _ZN7rocprim17ROCPRIM_400000_NS6detail17trampoline_kernelINS0_14default_configENS1_25partition_config_selectorILNS1_17partition_subalgoE8ElNS0_10empty_typeEbEEZZNS1_14partition_implILS5_8ELb0ES3_jPKlPS6_PKS6_NS0_5tupleIJPlS6_EEENSE_IJSB_SB_EEENS0_18inequality_wrapperIN6hipcub16HIPCUB_304000_NS8EqualityEEESF_JS6_EEE10hipError_tPvRmT3_T4_T5_T6_T7_T9_mT8_P12ihipStream_tbDpT10_ENKUlT_T0_E_clISt17integral_constantIbLb0EES16_EEDaS11_S12_EUlS11_E_NS1_11comp_targetILNS1_3genE9ELNS1_11target_archE1100ELNS1_3gpuE3ELNS1_3repE0EEENS1_30default_config_static_selectorELNS0_4arch9wavefront6targetE0EEEvT1_.has_dyn_sized_stack, 0
	.set _ZN7rocprim17ROCPRIM_400000_NS6detail17trampoline_kernelINS0_14default_configENS1_25partition_config_selectorILNS1_17partition_subalgoE8ElNS0_10empty_typeEbEEZZNS1_14partition_implILS5_8ELb0ES3_jPKlPS6_PKS6_NS0_5tupleIJPlS6_EEENSE_IJSB_SB_EEENS0_18inequality_wrapperIN6hipcub16HIPCUB_304000_NS8EqualityEEESF_JS6_EEE10hipError_tPvRmT3_T4_T5_T6_T7_T9_mT8_P12ihipStream_tbDpT10_ENKUlT_T0_E_clISt17integral_constantIbLb0EES16_EEDaS11_S12_EUlS11_E_NS1_11comp_targetILNS1_3genE9ELNS1_11target_archE1100ELNS1_3gpuE3ELNS1_3repE0EEENS1_30default_config_static_selectorELNS0_4arch9wavefront6targetE0EEEvT1_.has_recursion, 0
	.set _ZN7rocprim17ROCPRIM_400000_NS6detail17trampoline_kernelINS0_14default_configENS1_25partition_config_selectorILNS1_17partition_subalgoE8ElNS0_10empty_typeEbEEZZNS1_14partition_implILS5_8ELb0ES3_jPKlPS6_PKS6_NS0_5tupleIJPlS6_EEENSE_IJSB_SB_EEENS0_18inequality_wrapperIN6hipcub16HIPCUB_304000_NS8EqualityEEESF_JS6_EEE10hipError_tPvRmT3_T4_T5_T6_T7_T9_mT8_P12ihipStream_tbDpT10_ENKUlT_T0_E_clISt17integral_constantIbLb0EES16_EEDaS11_S12_EUlS11_E_NS1_11comp_targetILNS1_3genE9ELNS1_11target_archE1100ELNS1_3gpuE3ELNS1_3repE0EEENS1_30default_config_static_selectorELNS0_4arch9wavefront6targetE0EEEvT1_.has_indirect_call, 0
	.section	.AMDGPU.csdata,"",@progbits
; Kernel info:
; codeLenInByte = 0
; TotalNumSgprs: 0
; NumVgprs: 0
; ScratchSize: 0
; MemoryBound: 0
; FloatMode: 240
; IeeeMode: 1
; LDSByteSize: 0 bytes/workgroup (compile time only)
; SGPRBlocks: 0
; VGPRBlocks: 0
; NumSGPRsForWavesPerEU: 1
; NumVGPRsForWavesPerEU: 1
; NamedBarCnt: 0
; Occupancy: 16
; WaveLimiterHint : 0
; COMPUTE_PGM_RSRC2:SCRATCH_EN: 0
; COMPUTE_PGM_RSRC2:USER_SGPR: 2
; COMPUTE_PGM_RSRC2:TRAP_HANDLER: 0
; COMPUTE_PGM_RSRC2:TGID_X_EN: 1
; COMPUTE_PGM_RSRC2:TGID_Y_EN: 0
; COMPUTE_PGM_RSRC2:TGID_Z_EN: 0
; COMPUTE_PGM_RSRC2:TIDIG_COMP_CNT: 0
	.section	.text._ZN7rocprim17ROCPRIM_400000_NS6detail17trampoline_kernelINS0_14default_configENS1_25partition_config_selectorILNS1_17partition_subalgoE8ElNS0_10empty_typeEbEEZZNS1_14partition_implILS5_8ELb0ES3_jPKlPS6_PKS6_NS0_5tupleIJPlS6_EEENSE_IJSB_SB_EEENS0_18inequality_wrapperIN6hipcub16HIPCUB_304000_NS8EqualityEEESF_JS6_EEE10hipError_tPvRmT3_T4_T5_T6_T7_T9_mT8_P12ihipStream_tbDpT10_ENKUlT_T0_E_clISt17integral_constantIbLb0EES16_EEDaS11_S12_EUlS11_E_NS1_11comp_targetILNS1_3genE8ELNS1_11target_archE1030ELNS1_3gpuE2ELNS1_3repE0EEENS1_30default_config_static_selectorELNS0_4arch9wavefront6targetE0EEEvT1_,"axG",@progbits,_ZN7rocprim17ROCPRIM_400000_NS6detail17trampoline_kernelINS0_14default_configENS1_25partition_config_selectorILNS1_17partition_subalgoE8ElNS0_10empty_typeEbEEZZNS1_14partition_implILS5_8ELb0ES3_jPKlPS6_PKS6_NS0_5tupleIJPlS6_EEENSE_IJSB_SB_EEENS0_18inequality_wrapperIN6hipcub16HIPCUB_304000_NS8EqualityEEESF_JS6_EEE10hipError_tPvRmT3_T4_T5_T6_T7_T9_mT8_P12ihipStream_tbDpT10_ENKUlT_T0_E_clISt17integral_constantIbLb0EES16_EEDaS11_S12_EUlS11_E_NS1_11comp_targetILNS1_3genE8ELNS1_11target_archE1030ELNS1_3gpuE2ELNS1_3repE0EEENS1_30default_config_static_selectorELNS0_4arch9wavefront6targetE0EEEvT1_,comdat
	.protected	_ZN7rocprim17ROCPRIM_400000_NS6detail17trampoline_kernelINS0_14default_configENS1_25partition_config_selectorILNS1_17partition_subalgoE8ElNS0_10empty_typeEbEEZZNS1_14partition_implILS5_8ELb0ES3_jPKlPS6_PKS6_NS0_5tupleIJPlS6_EEENSE_IJSB_SB_EEENS0_18inequality_wrapperIN6hipcub16HIPCUB_304000_NS8EqualityEEESF_JS6_EEE10hipError_tPvRmT3_T4_T5_T6_T7_T9_mT8_P12ihipStream_tbDpT10_ENKUlT_T0_E_clISt17integral_constantIbLb0EES16_EEDaS11_S12_EUlS11_E_NS1_11comp_targetILNS1_3genE8ELNS1_11target_archE1030ELNS1_3gpuE2ELNS1_3repE0EEENS1_30default_config_static_selectorELNS0_4arch9wavefront6targetE0EEEvT1_ ; -- Begin function _ZN7rocprim17ROCPRIM_400000_NS6detail17trampoline_kernelINS0_14default_configENS1_25partition_config_selectorILNS1_17partition_subalgoE8ElNS0_10empty_typeEbEEZZNS1_14partition_implILS5_8ELb0ES3_jPKlPS6_PKS6_NS0_5tupleIJPlS6_EEENSE_IJSB_SB_EEENS0_18inequality_wrapperIN6hipcub16HIPCUB_304000_NS8EqualityEEESF_JS6_EEE10hipError_tPvRmT3_T4_T5_T6_T7_T9_mT8_P12ihipStream_tbDpT10_ENKUlT_T0_E_clISt17integral_constantIbLb0EES16_EEDaS11_S12_EUlS11_E_NS1_11comp_targetILNS1_3genE8ELNS1_11target_archE1030ELNS1_3gpuE2ELNS1_3repE0EEENS1_30default_config_static_selectorELNS0_4arch9wavefront6targetE0EEEvT1_
	.globl	_ZN7rocprim17ROCPRIM_400000_NS6detail17trampoline_kernelINS0_14default_configENS1_25partition_config_selectorILNS1_17partition_subalgoE8ElNS0_10empty_typeEbEEZZNS1_14partition_implILS5_8ELb0ES3_jPKlPS6_PKS6_NS0_5tupleIJPlS6_EEENSE_IJSB_SB_EEENS0_18inequality_wrapperIN6hipcub16HIPCUB_304000_NS8EqualityEEESF_JS6_EEE10hipError_tPvRmT3_T4_T5_T6_T7_T9_mT8_P12ihipStream_tbDpT10_ENKUlT_T0_E_clISt17integral_constantIbLb0EES16_EEDaS11_S12_EUlS11_E_NS1_11comp_targetILNS1_3genE8ELNS1_11target_archE1030ELNS1_3gpuE2ELNS1_3repE0EEENS1_30default_config_static_selectorELNS0_4arch9wavefront6targetE0EEEvT1_
	.p2align	8
	.type	_ZN7rocprim17ROCPRIM_400000_NS6detail17trampoline_kernelINS0_14default_configENS1_25partition_config_selectorILNS1_17partition_subalgoE8ElNS0_10empty_typeEbEEZZNS1_14partition_implILS5_8ELb0ES3_jPKlPS6_PKS6_NS0_5tupleIJPlS6_EEENSE_IJSB_SB_EEENS0_18inequality_wrapperIN6hipcub16HIPCUB_304000_NS8EqualityEEESF_JS6_EEE10hipError_tPvRmT3_T4_T5_T6_T7_T9_mT8_P12ihipStream_tbDpT10_ENKUlT_T0_E_clISt17integral_constantIbLb0EES16_EEDaS11_S12_EUlS11_E_NS1_11comp_targetILNS1_3genE8ELNS1_11target_archE1030ELNS1_3gpuE2ELNS1_3repE0EEENS1_30default_config_static_selectorELNS0_4arch9wavefront6targetE0EEEvT1_,@function
_ZN7rocprim17ROCPRIM_400000_NS6detail17trampoline_kernelINS0_14default_configENS1_25partition_config_selectorILNS1_17partition_subalgoE8ElNS0_10empty_typeEbEEZZNS1_14partition_implILS5_8ELb0ES3_jPKlPS6_PKS6_NS0_5tupleIJPlS6_EEENSE_IJSB_SB_EEENS0_18inequality_wrapperIN6hipcub16HIPCUB_304000_NS8EqualityEEESF_JS6_EEE10hipError_tPvRmT3_T4_T5_T6_T7_T9_mT8_P12ihipStream_tbDpT10_ENKUlT_T0_E_clISt17integral_constantIbLb0EES16_EEDaS11_S12_EUlS11_E_NS1_11comp_targetILNS1_3genE8ELNS1_11target_archE1030ELNS1_3gpuE2ELNS1_3repE0EEENS1_30default_config_static_selectorELNS0_4arch9wavefront6targetE0EEEvT1_: ; @_ZN7rocprim17ROCPRIM_400000_NS6detail17trampoline_kernelINS0_14default_configENS1_25partition_config_selectorILNS1_17partition_subalgoE8ElNS0_10empty_typeEbEEZZNS1_14partition_implILS5_8ELb0ES3_jPKlPS6_PKS6_NS0_5tupleIJPlS6_EEENSE_IJSB_SB_EEENS0_18inequality_wrapperIN6hipcub16HIPCUB_304000_NS8EqualityEEESF_JS6_EEE10hipError_tPvRmT3_T4_T5_T6_T7_T9_mT8_P12ihipStream_tbDpT10_ENKUlT_T0_E_clISt17integral_constantIbLb0EES16_EEDaS11_S12_EUlS11_E_NS1_11comp_targetILNS1_3genE8ELNS1_11target_archE1030ELNS1_3gpuE2ELNS1_3repE0EEENS1_30default_config_static_selectorELNS0_4arch9wavefront6targetE0EEEvT1_
; %bb.0:
	.section	.rodata,"a",@progbits
	.p2align	6, 0x0
	.amdhsa_kernel _ZN7rocprim17ROCPRIM_400000_NS6detail17trampoline_kernelINS0_14default_configENS1_25partition_config_selectorILNS1_17partition_subalgoE8ElNS0_10empty_typeEbEEZZNS1_14partition_implILS5_8ELb0ES3_jPKlPS6_PKS6_NS0_5tupleIJPlS6_EEENSE_IJSB_SB_EEENS0_18inequality_wrapperIN6hipcub16HIPCUB_304000_NS8EqualityEEESF_JS6_EEE10hipError_tPvRmT3_T4_T5_T6_T7_T9_mT8_P12ihipStream_tbDpT10_ENKUlT_T0_E_clISt17integral_constantIbLb0EES16_EEDaS11_S12_EUlS11_E_NS1_11comp_targetILNS1_3genE8ELNS1_11target_archE1030ELNS1_3gpuE2ELNS1_3repE0EEENS1_30default_config_static_selectorELNS0_4arch9wavefront6targetE0EEEvT1_
		.amdhsa_group_segment_fixed_size 0
		.amdhsa_private_segment_fixed_size 0
		.amdhsa_kernarg_size 112
		.amdhsa_user_sgpr_count 2
		.amdhsa_user_sgpr_dispatch_ptr 0
		.amdhsa_user_sgpr_queue_ptr 0
		.amdhsa_user_sgpr_kernarg_segment_ptr 1
		.amdhsa_user_sgpr_dispatch_id 0
		.amdhsa_user_sgpr_kernarg_preload_length 0
		.amdhsa_user_sgpr_kernarg_preload_offset 0
		.amdhsa_user_sgpr_private_segment_size 0
		.amdhsa_wavefront_size32 1
		.amdhsa_uses_dynamic_stack 0
		.amdhsa_enable_private_segment 0
		.amdhsa_system_sgpr_workgroup_id_x 1
		.amdhsa_system_sgpr_workgroup_id_y 0
		.amdhsa_system_sgpr_workgroup_id_z 0
		.amdhsa_system_sgpr_workgroup_info 0
		.amdhsa_system_vgpr_workitem_id 0
		.amdhsa_next_free_vgpr 1
		.amdhsa_next_free_sgpr 1
		.amdhsa_named_barrier_count 0
		.amdhsa_reserve_vcc 0
		.amdhsa_float_round_mode_32 0
		.amdhsa_float_round_mode_16_64 0
		.amdhsa_float_denorm_mode_32 3
		.amdhsa_float_denorm_mode_16_64 3
		.amdhsa_fp16_overflow 0
		.amdhsa_memory_ordered 1
		.amdhsa_forward_progress 1
		.amdhsa_inst_pref_size 0
		.amdhsa_round_robin_scheduling 0
		.amdhsa_exception_fp_ieee_invalid_op 0
		.amdhsa_exception_fp_denorm_src 0
		.amdhsa_exception_fp_ieee_div_zero 0
		.amdhsa_exception_fp_ieee_overflow 0
		.amdhsa_exception_fp_ieee_underflow 0
		.amdhsa_exception_fp_ieee_inexact 0
		.amdhsa_exception_int_div_zero 0
	.end_amdhsa_kernel
	.section	.text._ZN7rocprim17ROCPRIM_400000_NS6detail17trampoline_kernelINS0_14default_configENS1_25partition_config_selectorILNS1_17partition_subalgoE8ElNS0_10empty_typeEbEEZZNS1_14partition_implILS5_8ELb0ES3_jPKlPS6_PKS6_NS0_5tupleIJPlS6_EEENSE_IJSB_SB_EEENS0_18inequality_wrapperIN6hipcub16HIPCUB_304000_NS8EqualityEEESF_JS6_EEE10hipError_tPvRmT3_T4_T5_T6_T7_T9_mT8_P12ihipStream_tbDpT10_ENKUlT_T0_E_clISt17integral_constantIbLb0EES16_EEDaS11_S12_EUlS11_E_NS1_11comp_targetILNS1_3genE8ELNS1_11target_archE1030ELNS1_3gpuE2ELNS1_3repE0EEENS1_30default_config_static_selectorELNS0_4arch9wavefront6targetE0EEEvT1_,"axG",@progbits,_ZN7rocprim17ROCPRIM_400000_NS6detail17trampoline_kernelINS0_14default_configENS1_25partition_config_selectorILNS1_17partition_subalgoE8ElNS0_10empty_typeEbEEZZNS1_14partition_implILS5_8ELb0ES3_jPKlPS6_PKS6_NS0_5tupleIJPlS6_EEENSE_IJSB_SB_EEENS0_18inequality_wrapperIN6hipcub16HIPCUB_304000_NS8EqualityEEESF_JS6_EEE10hipError_tPvRmT3_T4_T5_T6_T7_T9_mT8_P12ihipStream_tbDpT10_ENKUlT_T0_E_clISt17integral_constantIbLb0EES16_EEDaS11_S12_EUlS11_E_NS1_11comp_targetILNS1_3genE8ELNS1_11target_archE1030ELNS1_3gpuE2ELNS1_3repE0EEENS1_30default_config_static_selectorELNS0_4arch9wavefront6targetE0EEEvT1_,comdat
.Lfunc_end233:
	.size	_ZN7rocprim17ROCPRIM_400000_NS6detail17trampoline_kernelINS0_14default_configENS1_25partition_config_selectorILNS1_17partition_subalgoE8ElNS0_10empty_typeEbEEZZNS1_14partition_implILS5_8ELb0ES3_jPKlPS6_PKS6_NS0_5tupleIJPlS6_EEENSE_IJSB_SB_EEENS0_18inequality_wrapperIN6hipcub16HIPCUB_304000_NS8EqualityEEESF_JS6_EEE10hipError_tPvRmT3_T4_T5_T6_T7_T9_mT8_P12ihipStream_tbDpT10_ENKUlT_T0_E_clISt17integral_constantIbLb0EES16_EEDaS11_S12_EUlS11_E_NS1_11comp_targetILNS1_3genE8ELNS1_11target_archE1030ELNS1_3gpuE2ELNS1_3repE0EEENS1_30default_config_static_selectorELNS0_4arch9wavefront6targetE0EEEvT1_, .Lfunc_end233-_ZN7rocprim17ROCPRIM_400000_NS6detail17trampoline_kernelINS0_14default_configENS1_25partition_config_selectorILNS1_17partition_subalgoE8ElNS0_10empty_typeEbEEZZNS1_14partition_implILS5_8ELb0ES3_jPKlPS6_PKS6_NS0_5tupleIJPlS6_EEENSE_IJSB_SB_EEENS0_18inequality_wrapperIN6hipcub16HIPCUB_304000_NS8EqualityEEESF_JS6_EEE10hipError_tPvRmT3_T4_T5_T6_T7_T9_mT8_P12ihipStream_tbDpT10_ENKUlT_T0_E_clISt17integral_constantIbLb0EES16_EEDaS11_S12_EUlS11_E_NS1_11comp_targetILNS1_3genE8ELNS1_11target_archE1030ELNS1_3gpuE2ELNS1_3repE0EEENS1_30default_config_static_selectorELNS0_4arch9wavefront6targetE0EEEvT1_
                                        ; -- End function
	.set _ZN7rocprim17ROCPRIM_400000_NS6detail17trampoline_kernelINS0_14default_configENS1_25partition_config_selectorILNS1_17partition_subalgoE8ElNS0_10empty_typeEbEEZZNS1_14partition_implILS5_8ELb0ES3_jPKlPS6_PKS6_NS0_5tupleIJPlS6_EEENSE_IJSB_SB_EEENS0_18inequality_wrapperIN6hipcub16HIPCUB_304000_NS8EqualityEEESF_JS6_EEE10hipError_tPvRmT3_T4_T5_T6_T7_T9_mT8_P12ihipStream_tbDpT10_ENKUlT_T0_E_clISt17integral_constantIbLb0EES16_EEDaS11_S12_EUlS11_E_NS1_11comp_targetILNS1_3genE8ELNS1_11target_archE1030ELNS1_3gpuE2ELNS1_3repE0EEENS1_30default_config_static_selectorELNS0_4arch9wavefront6targetE0EEEvT1_.num_vgpr, 0
	.set _ZN7rocprim17ROCPRIM_400000_NS6detail17trampoline_kernelINS0_14default_configENS1_25partition_config_selectorILNS1_17partition_subalgoE8ElNS0_10empty_typeEbEEZZNS1_14partition_implILS5_8ELb0ES3_jPKlPS6_PKS6_NS0_5tupleIJPlS6_EEENSE_IJSB_SB_EEENS0_18inequality_wrapperIN6hipcub16HIPCUB_304000_NS8EqualityEEESF_JS6_EEE10hipError_tPvRmT3_T4_T5_T6_T7_T9_mT8_P12ihipStream_tbDpT10_ENKUlT_T0_E_clISt17integral_constantIbLb0EES16_EEDaS11_S12_EUlS11_E_NS1_11comp_targetILNS1_3genE8ELNS1_11target_archE1030ELNS1_3gpuE2ELNS1_3repE0EEENS1_30default_config_static_selectorELNS0_4arch9wavefront6targetE0EEEvT1_.num_agpr, 0
	.set _ZN7rocprim17ROCPRIM_400000_NS6detail17trampoline_kernelINS0_14default_configENS1_25partition_config_selectorILNS1_17partition_subalgoE8ElNS0_10empty_typeEbEEZZNS1_14partition_implILS5_8ELb0ES3_jPKlPS6_PKS6_NS0_5tupleIJPlS6_EEENSE_IJSB_SB_EEENS0_18inequality_wrapperIN6hipcub16HIPCUB_304000_NS8EqualityEEESF_JS6_EEE10hipError_tPvRmT3_T4_T5_T6_T7_T9_mT8_P12ihipStream_tbDpT10_ENKUlT_T0_E_clISt17integral_constantIbLb0EES16_EEDaS11_S12_EUlS11_E_NS1_11comp_targetILNS1_3genE8ELNS1_11target_archE1030ELNS1_3gpuE2ELNS1_3repE0EEENS1_30default_config_static_selectorELNS0_4arch9wavefront6targetE0EEEvT1_.numbered_sgpr, 0
	.set _ZN7rocprim17ROCPRIM_400000_NS6detail17trampoline_kernelINS0_14default_configENS1_25partition_config_selectorILNS1_17partition_subalgoE8ElNS0_10empty_typeEbEEZZNS1_14partition_implILS5_8ELb0ES3_jPKlPS6_PKS6_NS0_5tupleIJPlS6_EEENSE_IJSB_SB_EEENS0_18inequality_wrapperIN6hipcub16HIPCUB_304000_NS8EqualityEEESF_JS6_EEE10hipError_tPvRmT3_T4_T5_T6_T7_T9_mT8_P12ihipStream_tbDpT10_ENKUlT_T0_E_clISt17integral_constantIbLb0EES16_EEDaS11_S12_EUlS11_E_NS1_11comp_targetILNS1_3genE8ELNS1_11target_archE1030ELNS1_3gpuE2ELNS1_3repE0EEENS1_30default_config_static_selectorELNS0_4arch9wavefront6targetE0EEEvT1_.num_named_barrier, 0
	.set _ZN7rocprim17ROCPRIM_400000_NS6detail17trampoline_kernelINS0_14default_configENS1_25partition_config_selectorILNS1_17partition_subalgoE8ElNS0_10empty_typeEbEEZZNS1_14partition_implILS5_8ELb0ES3_jPKlPS6_PKS6_NS0_5tupleIJPlS6_EEENSE_IJSB_SB_EEENS0_18inequality_wrapperIN6hipcub16HIPCUB_304000_NS8EqualityEEESF_JS6_EEE10hipError_tPvRmT3_T4_T5_T6_T7_T9_mT8_P12ihipStream_tbDpT10_ENKUlT_T0_E_clISt17integral_constantIbLb0EES16_EEDaS11_S12_EUlS11_E_NS1_11comp_targetILNS1_3genE8ELNS1_11target_archE1030ELNS1_3gpuE2ELNS1_3repE0EEENS1_30default_config_static_selectorELNS0_4arch9wavefront6targetE0EEEvT1_.private_seg_size, 0
	.set _ZN7rocprim17ROCPRIM_400000_NS6detail17trampoline_kernelINS0_14default_configENS1_25partition_config_selectorILNS1_17partition_subalgoE8ElNS0_10empty_typeEbEEZZNS1_14partition_implILS5_8ELb0ES3_jPKlPS6_PKS6_NS0_5tupleIJPlS6_EEENSE_IJSB_SB_EEENS0_18inequality_wrapperIN6hipcub16HIPCUB_304000_NS8EqualityEEESF_JS6_EEE10hipError_tPvRmT3_T4_T5_T6_T7_T9_mT8_P12ihipStream_tbDpT10_ENKUlT_T0_E_clISt17integral_constantIbLb0EES16_EEDaS11_S12_EUlS11_E_NS1_11comp_targetILNS1_3genE8ELNS1_11target_archE1030ELNS1_3gpuE2ELNS1_3repE0EEENS1_30default_config_static_selectorELNS0_4arch9wavefront6targetE0EEEvT1_.uses_vcc, 0
	.set _ZN7rocprim17ROCPRIM_400000_NS6detail17trampoline_kernelINS0_14default_configENS1_25partition_config_selectorILNS1_17partition_subalgoE8ElNS0_10empty_typeEbEEZZNS1_14partition_implILS5_8ELb0ES3_jPKlPS6_PKS6_NS0_5tupleIJPlS6_EEENSE_IJSB_SB_EEENS0_18inequality_wrapperIN6hipcub16HIPCUB_304000_NS8EqualityEEESF_JS6_EEE10hipError_tPvRmT3_T4_T5_T6_T7_T9_mT8_P12ihipStream_tbDpT10_ENKUlT_T0_E_clISt17integral_constantIbLb0EES16_EEDaS11_S12_EUlS11_E_NS1_11comp_targetILNS1_3genE8ELNS1_11target_archE1030ELNS1_3gpuE2ELNS1_3repE0EEENS1_30default_config_static_selectorELNS0_4arch9wavefront6targetE0EEEvT1_.uses_flat_scratch, 0
	.set _ZN7rocprim17ROCPRIM_400000_NS6detail17trampoline_kernelINS0_14default_configENS1_25partition_config_selectorILNS1_17partition_subalgoE8ElNS0_10empty_typeEbEEZZNS1_14partition_implILS5_8ELb0ES3_jPKlPS6_PKS6_NS0_5tupleIJPlS6_EEENSE_IJSB_SB_EEENS0_18inequality_wrapperIN6hipcub16HIPCUB_304000_NS8EqualityEEESF_JS6_EEE10hipError_tPvRmT3_T4_T5_T6_T7_T9_mT8_P12ihipStream_tbDpT10_ENKUlT_T0_E_clISt17integral_constantIbLb0EES16_EEDaS11_S12_EUlS11_E_NS1_11comp_targetILNS1_3genE8ELNS1_11target_archE1030ELNS1_3gpuE2ELNS1_3repE0EEENS1_30default_config_static_selectorELNS0_4arch9wavefront6targetE0EEEvT1_.has_dyn_sized_stack, 0
	.set _ZN7rocprim17ROCPRIM_400000_NS6detail17trampoline_kernelINS0_14default_configENS1_25partition_config_selectorILNS1_17partition_subalgoE8ElNS0_10empty_typeEbEEZZNS1_14partition_implILS5_8ELb0ES3_jPKlPS6_PKS6_NS0_5tupleIJPlS6_EEENSE_IJSB_SB_EEENS0_18inequality_wrapperIN6hipcub16HIPCUB_304000_NS8EqualityEEESF_JS6_EEE10hipError_tPvRmT3_T4_T5_T6_T7_T9_mT8_P12ihipStream_tbDpT10_ENKUlT_T0_E_clISt17integral_constantIbLb0EES16_EEDaS11_S12_EUlS11_E_NS1_11comp_targetILNS1_3genE8ELNS1_11target_archE1030ELNS1_3gpuE2ELNS1_3repE0EEENS1_30default_config_static_selectorELNS0_4arch9wavefront6targetE0EEEvT1_.has_recursion, 0
	.set _ZN7rocprim17ROCPRIM_400000_NS6detail17trampoline_kernelINS0_14default_configENS1_25partition_config_selectorILNS1_17partition_subalgoE8ElNS0_10empty_typeEbEEZZNS1_14partition_implILS5_8ELb0ES3_jPKlPS6_PKS6_NS0_5tupleIJPlS6_EEENSE_IJSB_SB_EEENS0_18inequality_wrapperIN6hipcub16HIPCUB_304000_NS8EqualityEEESF_JS6_EEE10hipError_tPvRmT3_T4_T5_T6_T7_T9_mT8_P12ihipStream_tbDpT10_ENKUlT_T0_E_clISt17integral_constantIbLb0EES16_EEDaS11_S12_EUlS11_E_NS1_11comp_targetILNS1_3genE8ELNS1_11target_archE1030ELNS1_3gpuE2ELNS1_3repE0EEENS1_30default_config_static_selectorELNS0_4arch9wavefront6targetE0EEEvT1_.has_indirect_call, 0
	.section	.AMDGPU.csdata,"",@progbits
; Kernel info:
; codeLenInByte = 0
; TotalNumSgprs: 0
; NumVgprs: 0
; ScratchSize: 0
; MemoryBound: 0
; FloatMode: 240
; IeeeMode: 1
; LDSByteSize: 0 bytes/workgroup (compile time only)
; SGPRBlocks: 0
; VGPRBlocks: 0
; NumSGPRsForWavesPerEU: 1
; NumVGPRsForWavesPerEU: 1
; NamedBarCnt: 0
; Occupancy: 16
; WaveLimiterHint : 0
; COMPUTE_PGM_RSRC2:SCRATCH_EN: 0
; COMPUTE_PGM_RSRC2:USER_SGPR: 2
; COMPUTE_PGM_RSRC2:TRAP_HANDLER: 0
; COMPUTE_PGM_RSRC2:TGID_X_EN: 1
; COMPUTE_PGM_RSRC2:TGID_Y_EN: 0
; COMPUTE_PGM_RSRC2:TGID_Z_EN: 0
; COMPUTE_PGM_RSRC2:TIDIG_COMP_CNT: 0
	.section	.text._ZN7rocprim17ROCPRIM_400000_NS6detail17trampoline_kernelINS0_14default_configENS1_25partition_config_selectorILNS1_17partition_subalgoE8ElNS0_10empty_typeEbEEZZNS1_14partition_implILS5_8ELb0ES3_jPKlPS6_PKS6_NS0_5tupleIJPlS6_EEENSE_IJSB_SB_EEENS0_18inequality_wrapperIN6hipcub16HIPCUB_304000_NS8EqualityEEESF_JS6_EEE10hipError_tPvRmT3_T4_T5_T6_T7_T9_mT8_P12ihipStream_tbDpT10_ENKUlT_T0_E_clISt17integral_constantIbLb1EES16_EEDaS11_S12_EUlS11_E_NS1_11comp_targetILNS1_3genE0ELNS1_11target_archE4294967295ELNS1_3gpuE0ELNS1_3repE0EEENS1_30default_config_static_selectorELNS0_4arch9wavefront6targetE0EEEvT1_,"axG",@progbits,_ZN7rocprim17ROCPRIM_400000_NS6detail17trampoline_kernelINS0_14default_configENS1_25partition_config_selectorILNS1_17partition_subalgoE8ElNS0_10empty_typeEbEEZZNS1_14partition_implILS5_8ELb0ES3_jPKlPS6_PKS6_NS0_5tupleIJPlS6_EEENSE_IJSB_SB_EEENS0_18inequality_wrapperIN6hipcub16HIPCUB_304000_NS8EqualityEEESF_JS6_EEE10hipError_tPvRmT3_T4_T5_T6_T7_T9_mT8_P12ihipStream_tbDpT10_ENKUlT_T0_E_clISt17integral_constantIbLb1EES16_EEDaS11_S12_EUlS11_E_NS1_11comp_targetILNS1_3genE0ELNS1_11target_archE4294967295ELNS1_3gpuE0ELNS1_3repE0EEENS1_30default_config_static_selectorELNS0_4arch9wavefront6targetE0EEEvT1_,comdat
	.protected	_ZN7rocprim17ROCPRIM_400000_NS6detail17trampoline_kernelINS0_14default_configENS1_25partition_config_selectorILNS1_17partition_subalgoE8ElNS0_10empty_typeEbEEZZNS1_14partition_implILS5_8ELb0ES3_jPKlPS6_PKS6_NS0_5tupleIJPlS6_EEENSE_IJSB_SB_EEENS0_18inequality_wrapperIN6hipcub16HIPCUB_304000_NS8EqualityEEESF_JS6_EEE10hipError_tPvRmT3_T4_T5_T6_T7_T9_mT8_P12ihipStream_tbDpT10_ENKUlT_T0_E_clISt17integral_constantIbLb1EES16_EEDaS11_S12_EUlS11_E_NS1_11comp_targetILNS1_3genE0ELNS1_11target_archE4294967295ELNS1_3gpuE0ELNS1_3repE0EEENS1_30default_config_static_selectorELNS0_4arch9wavefront6targetE0EEEvT1_ ; -- Begin function _ZN7rocprim17ROCPRIM_400000_NS6detail17trampoline_kernelINS0_14default_configENS1_25partition_config_selectorILNS1_17partition_subalgoE8ElNS0_10empty_typeEbEEZZNS1_14partition_implILS5_8ELb0ES3_jPKlPS6_PKS6_NS0_5tupleIJPlS6_EEENSE_IJSB_SB_EEENS0_18inequality_wrapperIN6hipcub16HIPCUB_304000_NS8EqualityEEESF_JS6_EEE10hipError_tPvRmT3_T4_T5_T6_T7_T9_mT8_P12ihipStream_tbDpT10_ENKUlT_T0_E_clISt17integral_constantIbLb1EES16_EEDaS11_S12_EUlS11_E_NS1_11comp_targetILNS1_3genE0ELNS1_11target_archE4294967295ELNS1_3gpuE0ELNS1_3repE0EEENS1_30default_config_static_selectorELNS0_4arch9wavefront6targetE0EEEvT1_
	.globl	_ZN7rocprim17ROCPRIM_400000_NS6detail17trampoline_kernelINS0_14default_configENS1_25partition_config_selectorILNS1_17partition_subalgoE8ElNS0_10empty_typeEbEEZZNS1_14partition_implILS5_8ELb0ES3_jPKlPS6_PKS6_NS0_5tupleIJPlS6_EEENSE_IJSB_SB_EEENS0_18inequality_wrapperIN6hipcub16HIPCUB_304000_NS8EqualityEEESF_JS6_EEE10hipError_tPvRmT3_T4_T5_T6_T7_T9_mT8_P12ihipStream_tbDpT10_ENKUlT_T0_E_clISt17integral_constantIbLb1EES16_EEDaS11_S12_EUlS11_E_NS1_11comp_targetILNS1_3genE0ELNS1_11target_archE4294967295ELNS1_3gpuE0ELNS1_3repE0EEENS1_30default_config_static_selectorELNS0_4arch9wavefront6targetE0EEEvT1_
	.p2align	8
	.type	_ZN7rocprim17ROCPRIM_400000_NS6detail17trampoline_kernelINS0_14default_configENS1_25partition_config_selectorILNS1_17partition_subalgoE8ElNS0_10empty_typeEbEEZZNS1_14partition_implILS5_8ELb0ES3_jPKlPS6_PKS6_NS0_5tupleIJPlS6_EEENSE_IJSB_SB_EEENS0_18inequality_wrapperIN6hipcub16HIPCUB_304000_NS8EqualityEEESF_JS6_EEE10hipError_tPvRmT3_T4_T5_T6_T7_T9_mT8_P12ihipStream_tbDpT10_ENKUlT_T0_E_clISt17integral_constantIbLb1EES16_EEDaS11_S12_EUlS11_E_NS1_11comp_targetILNS1_3genE0ELNS1_11target_archE4294967295ELNS1_3gpuE0ELNS1_3repE0EEENS1_30default_config_static_selectorELNS0_4arch9wavefront6targetE0EEEvT1_,@function
_ZN7rocprim17ROCPRIM_400000_NS6detail17trampoline_kernelINS0_14default_configENS1_25partition_config_selectorILNS1_17partition_subalgoE8ElNS0_10empty_typeEbEEZZNS1_14partition_implILS5_8ELb0ES3_jPKlPS6_PKS6_NS0_5tupleIJPlS6_EEENSE_IJSB_SB_EEENS0_18inequality_wrapperIN6hipcub16HIPCUB_304000_NS8EqualityEEESF_JS6_EEE10hipError_tPvRmT3_T4_T5_T6_T7_T9_mT8_P12ihipStream_tbDpT10_ENKUlT_T0_E_clISt17integral_constantIbLb1EES16_EEDaS11_S12_EUlS11_E_NS1_11comp_targetILNS1_3genE0ELNS1_11target_archE4294967295ELNS1_3gpuE0ELNS1_3repE0EEENS1_30default_config_static_selectorELNS0_4arch9wavefront6targetE0EEEvT1_: ; @_ZN7rocprim17ROCPRIM_400000_NS6detail17trampoline_kernelINS0_14default_configENS1_25partition_config_selectorILNS1_17partition_subalgoE8ElNS0_10empty_typeEbEEZZNS1_14partition_implILS5_8ELb0ES3_jPKlPS6_PKS6_NS0_5tupleIJPlS6_EEENSE_IJSB_SB_EEENS0_18inequality_wrapperIN6hipcub16HIPCUB_304000_NS8EqualityEEESF_JS6_EEE10hipError_tPvRmT3_T4_T5_T6_T7_T9_mT8_P12ihipStream_tbDpT10_ENKUlT_T0_E_clISt17integral_constantIbLb1EES16_EEDaS11_S12_EUlS11_E_NS1_11comp_targetILNS1_3genE0ELNS1_11target_archE4294967295ELNS1_3gpuE0ELNS1_3repE0EEENS1_30default_config_static_selectorELNS0_4arch9wavefront6targetE0EEEvT1_
; %bb.0:
	s_endpgm
	.section	.rodata,"a",@progbits
	.p2align	6, 0x0
	.amdhsa_kernel _ZN7rocprim17ROCPRIM_400000_NS6detail17trampoline_kernelINS0_14default_configENS1_25partition_config_selectorILNS1_17partition_subalgoE8ElNS0_10empty_typeEbEEZZNS1_14partition_implILS5_8ELb0ES3_jPKlPS6_PKS6_NS0_5tupleIJPlS6_EEENSE_IJSB_SB_EEENS0_18inequality_wrapperIN6hipcub16HIPCUB_304000_NS8EqualityEEESF_JS6_EEE10hipError_tPvRmT3_T4_T5_T6_T7_T9_mT8_P12ihipStream_tbDpT10_ENKUlT_T0_E_clISt17integral_constantIbLb1EES16_EEDaS11_S12_EUlS11_E_NS1_11comp_targetILNS1_3genE0ELNS1_11target_archE4294967295ELNS1_3gpuE0ELNS1_3repE0EEENS1_30default_config_static_selectorELNS0_4arch9wavefront6targetE0EEEvT1_
		.amdhsa_group_segment_fixed_size 0
		.amdhsa_private_segment_fixed_size 0
		.amdhsa_kernarg_size 128
		.amdhsa_user_sgpr_count 2
		.amdhsa_user_sgpr_dispatch_ptr 0
		.amdhsa_user_sgpr_queue_ptr 0
		.amdhsa_user_sgpr_kernarg_segment_ptr 1
		.amdhsa_user_sgpr_dispatch_id 0
		.amdhsa_user_sgpr_kernarg_preload_length 0
		.amdhsa_user_sgpr_kernarg_preload_offset 0
		.amdhsa_user_sgpr_private_segment_size 0
		.amdhsa_wavefront_size32 1
		.amdhsa_uses_dynamic_stack 0
		.amdhsa_enable_private_segment 0
		.amdhsa_system_sgpr_workgroup_id_x 1
		.amdhsa_system_sgpr_workgroup_id_y 0
		.amdhsa_system_sgpr_workgroup_id_z 0
		.amdhsa_system_sgpr_workgroup_info 0
		.amdhsa_system_vgpr_workitem_id 0
		.amdhsa_next_free_vgpr 1
		.amdhsa_next_free_sgpr 1
		.amdhsa_named_barrier_count 0
		.amdhsa_reserve_vcc 0
		.amdhsa_float_round_mode_32 0
		.amdhsa_float_round_mode_16_64 0
		.amdhsa_float_denorm_mode_32 3
		.amdhsa_float_denorm_mode_16_64 3
		.amdhsa_fp16_overflow 0
		.amdhsa_memory_ordered 1
		.amdhsa_forward_progress 1
		.amdhsa_inst_pref_size 1
		.amdhsa_round_robin_scheduling 0
		.amdhsa_exception_fp_ieee_invalid_op 0
		.amdhsa_exception_fp_denorm_src 0
		.amdhsa_exception_fp_ieee_div_zero 0
		.amdhsa_exception_fp_ieee_overflow 0
		.amdhsa_exception_fp_ieee_underflow 0
		.amdhsa_exception_fp_ieee_inexact 0
		.amdhsa_exception_int_div_zero 0
	.end_amdhsa_kernel
	.section	.text._ZN7rocprim17ROCPRIM_400000_NS6detail17trampoline_kernelINS0_14default_configENS1_25partition_config_selectorILNS1_17partition_subalgoE8ElNS0_10empty_typeEbEEZZNS1_14partition_implILS5_8ELb0ES3_jPKlPS6_PKS6_NS0_5tupleIJPlS6_EEENSE_IJSB_SB_EEENS0_18inequality_wrapperIN6hipcub16HIPCUB_304000_NS8EqualityEEESF_JS6_EEE10hipError_tPvRmT3_T4_T5_T6_T7_T9_mT8_P12ihipStream_tbDpT10_ENKUlT_T0_E_clISt17integral_constantIbLb1EES16_EEDaS11_S12_EUlS11_E_NS1_11comp_targetILNS1_3genE0ELNS1_11target_archE4294967295ELNS1_3gpuE0ELNS1_3repE0EEENS1_30default_config_static_selectorELNS0_4arch9wavefront6targetE0EEEvT1_,"axG",@progbits,_ZN7rocprim17ROCPRIM_400000_NS6detail17trampoline_kernelINS0_14default_configENS1_25partition_config_selectorILNS1_17partition_subalgoE8ElNS0_10empty_typeEbEEZZNS1_14partition_implILS5_8ELb0ES3_jPKlPS6_PKS6_NS0_5tupleIJPlS6_EEENSE_IJSB_SB_EEENS0_18inequality_wrapperIN6hipcub16HIPCUB_304000_NS8EqualityEEESF_JS6_EEE10hipError_tPvRmT3_T4_T5_T6_T7_T9_mT8_P12ihipStream_tbDpT10_ENKUlT_T0_E_clISt17integral_constantIbLb1EES16_EEDaS11_S12_EUlS11_E_NS1_11comp_targetILNS1_3genE0ELNS1_11target_archE4294967295ELNS1_3gpuE0ELNS1_3repE0EEENS1_30default_config_static_selectorELNS0_4arch9wavefront6targetE0EEEvT1_,comdat
.Lfunc_end234:
	.size	_ZN7rocprim17ROCPRIM_400000_NS6detail17trampoline_kernelINS0_14default_configENS1_25partition_config_selectorILNS1_17partition_subalgoE8ElNS0_10empty_typeEbEEZZNS1_14partition_implILS5_8ELb0ES3_jPKlPS6_PKS6_NS0_5tupleIJPlS6_EEENSE_IJSB_SB_EEENS0_18inequality_wrapperIN6hipcub16HIPCUB_304000_NS8EqualityEEESF_JS6_EEE10hipError_tPvRmT3_T4_T5_T6_T7_T9_mT8_P12ihipStream_tbDpT10_ENKUlT_T0_E_clISt17integral_constantIbLb1EES16_EEDaS11_S12_EUlS11_E_NS1_11comp_targetILNS1_3genE0ELNS1_11target_archE4294967295ELNS1_3gpuE0ELNS1_3repE0EEENS1_30default_config_static_selectorELNS0_4arch9wavefront6targetE0EEEvT1_, .Lfunc_end234-_ZN7rocprim17ROCPRIM_400000_NS6detail17trampoline_kernelINS0_14default_configENS1_25partition_config_selectorILNS1_17partition_subalgoE8ElNS0_10empty_typeEbEEZZNS1_14partition_implILS5_8ELb0ES3_jPKlPS6_PKS6_NS0_5tupleIJPlS6_EEENSE_IJSB_SB_EEENS0_18inequality_wrapperIN6hipcub16HIPCUB_304000_NS8EqualityEEESF_JS6_EEE10hipError_tPvRmT3_T4_T5_T6_T7_T9_mT8_P12ihipStream_tbDpT10_ENKUlT_T0_E_clISt17integral_constantIbLb1EES16_EEDaS11_S12_EUlS11_E_NS1_11comp_targetILNS1_3genE0ELNS1_11target_archE4294967295ELNS1_3gpuE0ELNS1_3repE0EEENS1_30default_config_static_selectorELNS0_4arch9wavefront6targetE0EEEvT1_
                                        ; -- End function
	.set _ZN7rocprim17ROCPRIM_400000_NS6detail17trampoline_kernelINS0_14default_configENS1_25partition_config_selectorILNS1_17partition_subalgoE8ElNS0_10empty_typeEbEEZZNS1_14partition_implILS5_8ELb0ES3_jPKlPS6_PKS6_NS0_5tupleIJPlS6_EEENSE_IJSB_SB_EEENS0_18inequality_wrapperIN6hipcub16HIPCUB_304000_NS8EqualityEEESF_JS6_EEE10hipError_tPvRmT3_T4_T5_T6_T7_T9_mT8_P12ihipStream_tbDpT10_ENKUlT_T0_E_clISt17integral_constantIbLb1EES16_EEDaS11_S12_EUlS11_E_NS1_11comp_targetILNS1_3genE0ELNS1_11target_archE4294967295ELNS1_3gpuE0ELNS1_3repE0EEENS1_30default_config_static_selectorELNS0_4arch9wavefront6targetE0EEEvT1_.num_vgpr, 0
	.set _ZN7rocprim17ROCPRIM_400000_NS6detail17trampoline_kernelINS0_14default_configENS1_25partition_config_selectorILNS1_17partition_subalgoE8ElNS0_10empty_typeEbEEZZNS1_14partition_implILS5_8ELb0ES3_jPKlPS6_PKS6_NS0_5tupleIJPlS6_EEENSE_IJSB_SB_EEENS0_18inequality_wrapperIN6hipcub16HIPCUB_304000_NS8EqualityEEESF_JS6_EEE10hipError_tPvRmT3_T4_T5_T6_T7_T9_mT8_P12ihipStream_tbDpT10_ENKUlT_T0_E_clISt17integral_constantIbLb1EES16_EEDaS11_S12_EUlS11_E_NS1_11comp_targetILNS1_3genE0ELNS1_11target_archE4294967295ELNS1_3gpuE0ELNS1_3repE0EEENS1_30default_config_static_selectorELNS0_4arch9wavefront6targetE0EEEvT1_.num_agpr, 0
	.set _ZN7rocprim17ROCPRIM_400000_NS6detail17trampoline_kernelINS0_14default_configENS1_25partition_config_selectorILNS1_17partition_subalgoE8ElNS0_10empty_typeEbEEZZNS1_14partition_implILS5_8ELb0ES3_jPKlPS6_PKS6_NS0_5tupleIJPlS6_EEENSE_IJSB_SB_EEENS0_18inequality_wrapperIN6hipcub16HIPCUB_304000_NS8EqualityEEESF_JS6_EEE10hipError_tPvRmT3_T4_T5_T6_T7_T9_mT8_P12ihipStream_tbDpT10_ENKUlT_T0_E_clISt17integral_constantIbLb1EES16_EEDaS11_S12_EUlS11_E_NS1_11comp_targetILNS1_3genE0ELNS1_11target_archE4294967295ELNS1_3gpuE0ELNS1_3repE0EEENS1_30default_config_static_selectorELNS0_4arch9wavefront6targetE0EEEvT1_.numbered_sgpr, 0
	.set _ZN7rocprim17ROCPRIM_400000_NS6detail17trampoline_kernelINS0_14default_configENS1_25partition_config_selectorILNS1_17partition_subalgoE8ElNS0_10empty_typeEbEEZZNS1_14partition_implILS5_8ELb0ES3_jPKlPS6_PKS6_NS0_5tupleIJPlS6_EEENSE_IJSB_SB_EEENS0_18inequality_wrapperIN6hipcub16HIPCUB_304000_NS8EqualityEEESF_JS6_EEE10hipError_tPvRmT3_T4_T5_T6_T7_T9_mT8_P12ihipStream_tbDpT10_ENKUlT_T0_E_clISt17integral_constantIbLb1EES16_EEDaS11_S12_EUlS11_E_NS1_11comp_targetILNS1_3genE0ELNS1_11target_archE4294967295ELNS1_3gpuE0ELNS1_3repE0EEENS1_30default_config_static_selectorELNS0_4arch9wavefront6targetE0EEEvT1_.num_named_barrier, 0
	.set _ZN7rocprim17ROCPRIM_400000_NS6detail17trampoline_kernelINS0_14default_configENS1_25partition_config_selectorILNS1_17partition_subalgoE8ElNS0_10empty_typeEbEEZZNS1_14partition_implILS5_8ELb0ES3_jPKlPS6_PKS6_NS0_5tupleIJPlS6_EEENSE_IJSB_SB_EEENS0_18inequality_wrapperIN6hipcub16HIPCUB_304000_NS8EqualityEEESF_JS6_EEE10hipError_tPvRmT3_T4_T5_T6_T7_T9_mT8_P12ihipStream_tbDpT10_ENKUlT_T0_E_clISt17integral_constantIbLb1EES16_EEDaS11_S12_EUlS11_E_NS1_11comp_targetILNS1_3genE0ELNS1_11target_archE4294967295ELNS1_3gpuE0ELNS1_3repE0EEENS1_30default_config_static_selectorELNS0_4arch9wavefront6targetE0EEEvT1_.private_seg_size, 0
	.set _ZN7rocprim17ROCPRIM_400000_NS6detail17trampoline_kernelINS0_14default_configENS1_25partition_config_selectorILNS1_17partition_subalgoE8ElNS0_10empty_typeEbEEZZNS1_14partition_implILS5_8ELb0ES3_jPKlPS6_PKS6_NS0_5tupleIJPlS6_EEENSE_IJSB_SB_EEENS0_18inequality_wrapperIN6hipcub16HIPCUB_304000_NS8EqualityEEESF_JS6_EEE10hipError_tPvRmT3_T4_T5_T6_T7_T9_mT8_P12ihipStream_tbDpT10_ENKUlT_T0_E_clISt17integral_constantIbLb1EES16_EEDaS11_S12_EUlS11_E_NS1_11comp_targetILNS1_3genE0ELNS1_11target_archE4294967295ELNS1_3gpuE0ELNS1_3repE0EEENS1_30default_config_static_selectorELNS0_4arch9wavefront6targetE0EEEvT1_.uses_vcc, 0
	.set _ZN7rocprim17ROCPRIM_400000_NS6detail17trampoline_kernelINS0_14default_configENS1_25partition_config_selectorILNS1_17partition_subalgoE8ElNS0_10empty_typeEbEEZZNS1_14partition_implILS5_8ELb0ES3_jPKlPS6_PKS6_NS0_5tupleIJPlS6_EEENSE_IJSB_SB_EEENS0_18inequality_wrapperIN6hipcub16HIPCUB_304000_NS8EqualityEEESF_JS6_EEE10hipError_tPvRmT3_T4_T5_T6_T7_T9_mT8_P12ihipStream_tbDpT10_ENKUlT_T0_E_clISt17integral_constantIbLb1EES16_EEDaS11_S12_EUlS11_E_NS1_11comp_targetILNS1_3genE0ELNS1_11target_archE4294967295ELNS1_3gpuE0ELNS1_3repE0EEENS1_30default_config_static_selectorELNS0_4arch9wavefront6targetE0EEEvT1_.uses_flat_scratch, 0
	.set _ZN7rocprim17ROCPRIM_400000_NS6detail17trampoline_kernelINS0_14default_configENS1_25partition_config_selectorILNS1_17partition_subalgoE8ElNS0_10empty_typeEbEEZZNS1_14partition_implILS5_8ELb0ES3_jPKlPS6_PKS6_NS0_5tupleIJPlS6_EEENSE_IJSB_SB_EEENS0_18inequality_wrapperIN6hipcub16HIPCUB_304000_NS8EqualityEEESF_JS6_EEE10hipError_tPvRmT3_T4_T5_T6_T7_T9_mT8_P12ihipStream_tbDpT10_ENKUlT_T0_E_clISt17integral_constantIbLb1EES16_EEDaS11_S12_EUlS11_E_NS1_11comp_targetILNS1_3genE0ELNS1_11target_archE4294967295ELNS1_3gpuE0ELNS1_3repE0EEENS1_30default_config_static_selectorELNS0_4arch9wavefront6targetE0EEEvT1_.has_dyn_sized_stack, 0
	.set _ZN7rocprim17ROCPRIM_400000_NS6detail17trampoline_kernelINS0_14default_configENS1_25partition_config_selectorILNS1_17partition_subalgoE8ElNS0_10empty_typeEbEEZZNS1_14partition_implILS5_8ELb0ES3_jPKlPS6_PKS6_NS0_5tupleIJPlS6_EEENSE_IJSB_SB_EEENS0_18inequality_wrapperIN6hipcub16HIPCUB_304000_NS8EqualityEEESF_JS6_EEE10hipError_tPvRmT3_T4_T5_T6_T7_T9_mT8_P12ihipStream_tbDpT10_ENKUlT_T0_E_clISt17integral_constantIbLb1EES16_EEDaS11_S12_EUlS11_E_NS1_11comp_targetILNS1_3genE0ELNS1_11target_archE4294967295ELNS1_3gpuE0ELNS1_3repE0EEENS1_30default_config_static_selectorELNS0_4arch9wavefront6targetE0EEEvT1_.has_recursion, 0
	.set _ZN7rocprim17ROCPRIM_400000_NS6detail17trampoline_kernelINS0_14default_configENS1_25partition_config_selectorILNS1_17partition_subalgoE8ElNS0_10empty_typeEbEEZZNS1_14partition_implILS5_8ELb0ES3_jPKlPS6_PKS6_NS0_5tupleIJPlS6_EEENSE_IJSB_SB_EEENS0_18inequality_wrapperIN6hipcub16HIPCUB_304000_NS8EqualityEEESF_JS6_EEE10hipError_tPvRmT3_T4_T5_T6_T7_T9_mT8_P12ihipStream_tbDpT10_ENKUlT_T0_E_clISt17integral_constantIbLb1EES16_EEDaS11_S12_EUlS11_E_NS1_11comp_targetILNS1_3genE0ELNS1_11target_archE4294967295ELNS1_3gpuE0ELNS1_3repE0EEENS1_30default_config_static_selectorELNS0_4arch9wavefront6targetE0EEEvT1_.has_indirect_call, 0
	.section	.AMDGPU.csdata,"",@progbits
; Kernel info:
; codeLenInByte = 4
; TotalNumSgprs: 0
; NumVgprs: 0
; ScratchSize: 0
; MemoryBound: 0
; FloatMode: 240
; IeeeMode: 1
; LDSByteSize: 0 bytes/workgroup (compile time only)
; SGPRBlocks: 0
; VGPRBlocks: 0
; NumSGPRsForWavesPerEU: 1
; NumVGPRsForWavesPerEU: 1
; NamedBarCnt: 0
; Occupancy: 16
; WaveLimiterHint : 0
; COMPUTE_PGM_RSRC2:SCRATCH_EN: 0
; COMPUTE_PGM_RSRC2:USER_SGPR: 2
; COMPUTE_PGM_RSRC2:TRAP_HANDLER: 0
; COMPUTE_PGM_RSRC2:TGID_X_EN: 1
; COMPUTE_PGM_RSRC2:TGID_Y_EN: 0
; COMPUTE_PGM_RSRC2:TGID_Z_EN: 0
; COMPUTE_PGM_RSRC2:TIDIG_COMP_CNT: 0
	.section	.text._ZN7rocprim17ROCPRIM_400000_NS6detail17trampoline_kernelINS0_14default_configENS1_25partition_config_selectorILNS1_17partition_subalgoE8ElNS0_10empty_typeEbEEZZNS1_14partition_implILS5_8ELb0ES3_jPKlPS6_PKS6_NS0_5tupleIJPlS6_EEENSE_IJSB_SB_EEENS0_18inequality_wrapperIN6hipcub16HIPCUB_304000_NS8EqualityEEESF_JS6_EEE10hipError_tPvRmT3_T4_T5_T6_T7_T9_mT8_P12ihipStream_tbDpT10_ENKUlT_T0_E_clISt17integral_constantIbLb1EES16_EEDaS11_S12_EUlS11_E_NS1_11comp_targetILNS1_3genE5ELNS1_11target_archE942ELNS1_3gpuE9ELNS1_3repE0EEENS1_30default_config_static_selectorELNS0_4arch9wavefront6targetE0EEEvT1_,"axG",@progbits,_ZN7rocprim17ROCPRIM_400000_NS6detail17trampoline_kernelINS0_14default_configENS1_25partition_config_selectorILNS1_17partition_subalgoE8ElNS0_10empty_typeEbEEZZNS1_14partition_implILS5_8ELb0ES3_jPKlPS6_PKS6_NS0_5tupleIJPlS6_EEENSE_IJSB_SB_EEENS0_18inequality_wrapperIN6hipcub16HIPCUB_304000_NS8EqualityEEESF_JS6_EEE10hipError_tPvRmT3_T4_T5_T6_T7_T9_mT8_P12ihipStream_tbDpT10_ENKUlT_T0_E_clISt17integral_constantIbLb1EES16_EEDaS11_S12_EUlS11_E_NS1_11comp_targetILNS1_3genE5ELNS1_11target_archE942ELNS1_3gpuE9ELNS1_3repE0EEENS1_30default_config_static_selectorELNS0_4arch9wavefront6targetE0EEEvT1_,comdat
	.protected	_ZN7rocprim17ROCPRIM_400000_NS6detail17trampoline_kernelINS0_14default_configENS1_25partition_config_selectorILNS1_17partition_subalgoE8ElNS0_10empty_typeEbEEZZNS1_14partition_implILS5_8ELb0ES3_jPKlPS6_PKS6_NS0_5tupleIJPlS6_EEENSE_IJSB_SB_EEENS0_18inequality_wrapperIN6hipcub16HIPCUB_304000_NS8EqualityEEESF_JS6_EEE10hipError_tPvRmT3_T4_T5_T6_T7_T9_mT8_P12ihipStream_tbDpT10_ENKUlT_T0_E_clISt17integral_constantIbLb1EES16_EEDaS11_S12_EUlS11_E_NS1_11comp_targetILNS1_3genE5ELNS1_11target_archE942ELNS1_3gpuE9ELNS1_3repE0EEENS1_30default_config_static_selectorELNS0_4arch9wavefront6targetE0EEEvT1_ ; -- Begin function _ZN7rocprim17ROCPRIM_400000_NS6detail17trampoline_kernelINS0_14default_configENS1_25partition_config_selectorILNS1_17partition_subalgoE8ElNS0_10empty_typeEbEEZZNS1_14partition_implILS5_8ELb0ES3_jPKlPS6_PKS6_NS0_5tupleIJPlS6_EEENSE_IJSB_SB_EEENS0_18inequality_wrapperIN6hipcub16HIPCUB_304000_NS8EqualityEEESF_JS6_EEE10hipError_tPvRmT3_T4_T5_T6_T7_T9_mT8_P12ihipStream_tbDpT10_ENKUlT_T0_E_clISt17integral_constantIbLb1EES16_EEDaS11_S12_EUlS11_E_NS1_11comp_targetILNS1_3genE5ELNS1_11target_archE942ELNS1_3gpuE9ELNS1_3repE0EEENS1_30default_config_static_selectorELNS0_4arch9wavefront6targetE0EEEvT1_
	.globl	_ZN7rocprim17ROCPRIM_400000_NS6detail17trampoline_kernelINS0_14default_configENS1_25partition_config_selectorILNS1_17partition_subalgoE8ElNS0_10empty_typeEbEEZZNS1_14partition_implILS5_8ELb0ES3_jPKlPS6_PKS6_NS0_5tupleIJPlS6_EEENSE_IJSB_SB_EEENS0_18inequality_wrapperIN6hipcub16HIPCUB_304000_NS8EqualityEEESF_JS6_EEE10hipError_tPvRmT3_T4_T5_T6_T7_T9_mT8_P12ihipStream_tbDpT10_ENKUlT_T0_E_clISt17integral_constantIbLb1EES16_EEDaS11_S12_EUlS11_E_NS1_11comp_targetILNS1_3genE5ELNS1_11target_archE942ELNS1_3gpuE9ELNS1_3repE0EEENS1_30default_config_static_selectorELNS0_4arch9wavefront6targetE0EEEvT1_
	.p2align	8
	.type	_ZN7rocprim17ROCPRIM_400000_NS6detail17trampoline_kernelINS0_14default_configENS1_25partition_config_selectorILNS1_17partition_subalgoE8ElNS0_10empty_typeEbEEZZNS1_14partition_implILS5_8ELb0ES3_jPKlPS6_PKS6_NS0_5tupleIJPlS6_EEENSE_IJSB_SB_EEENS0_18inequality_wrapperIN6hipcub16HIPCUB_304000_NS8EqualityEEESF_JS6_EEE10hipError_tPvRmT3_T4_T5_T6_T7_T9_mT8_P12ihipStream_tbDpT10_ENKUlT_T0_E_clISt17integral_constantIbLb1EES16_EEDaS11_S12_EUlS11_E_NS1_11comp_targetILNS1_3genE5ELNS1_11target_archE942ELNS1_3gpuE9ELNS1_3repE0EEENS1_30default_config_static_selectorELNS0_4arch9wavefront6targetE0EEEvT1_,@function
_ZN7rocprim17ROCPRIM_400000_NS6detail17trampoline_kernelINS0_14default_configENS1_25partition_config_selectorILNS1_17partition_subalgoE8ElNS0_10empty_typeEbEEZZNS1_14partition_implILS5_8ELb0ES3_jPKlPS6_PKS6_NS0_5tupleIJPlS6_EEENSE_IJSB_SB_EEENS0_18inequality_wrapperIN6hipcub16HIPCUB_304000_NS8EqualityEEESF_JS6_EEE10hipError_tPvRmT3_T4_T5_T6_T7_T9_mT8_P12ihipStream_tbDpT10_ENKUlT_T0_E_clISt17integral_constantIbLb1EES16_EEDaS11_S12_EUlS11_E_NS1_11comp_targetILNS1_3genE5ELNS1_11target_archE942ELNS1_3gpuE9ELNS1_3repE0EEENS1_30default_config_static_selectorELNS0_4arch9wavefront6targetE0EEEvT1_: ; @_ZN7rocprim17ROCPRIM_400000_NS6detail17trampoline_kernelINS0_14default_configENS1_25partition_config_selectorILNS1_17partition_subalgoE8ElNS0_10empty_typeEbEEZZNS1_14partition_implILS5_8ELb0ES3_jPKlPS6_PKS6_NS0_5tupleIJPlS6_EEENSE_IJSB_SB_EEENS0_18inequality_wrapperIN6hipcub16HIPCUB_304000_NS8EqualityEEESF_JS6_EEE10hipError_tPvRmT3_T4_T5_T6_T7_T9_mT8_P12ihipStream_tbDpT10_ENKUlT_T0_E_clISt17integral_constantIbLb1EES16_EEDaS11_S12_EUlS11_E_NS1_11comp_targetILNS1_3genE5ELNS1_11target_archE942ELNS1_3gpuE9ELNS1_3repE0EEENS1_30default_config_static_selectorELNS0_4arch9wavefront6targetE0EEEvT1_
; %bb.0:
	.section	.rodata,"a",@progbits
	.p2align	6, 0x0
	.amdhsa_kernel _ZN7rocprim17ROCPRIM_400000_NS6detail17trampoline_kernelINS0_14default_configENS1_25partition_config_selectorILNS1_17partition_subalgoE8ElNS0_10empty_typeEbEEZZNS1_14partition_implILS5_8ELb0ES3_jPKlPS6_PKS6_NS0_5tupleIJPlS6_EEENSE_IJSB_SB_EEENS0_18inequality_wrapperIN6hipcub16HIPCUB_304000_NS8EqualityEEESF_JS6_EEE10hipError_tPvRmT3_T4_T5_T6_T7_T9_mT8_P12ihipStream_tbDpT10_ENKUlT_T0_E_clISt17integral_constantIbLb1EES16_EEDaS11_S12_EUlS11_E_NS1_11comp_targetILNS1_3genE5ELNS1_11target_archE942ELNS1_3gpuE9ELNS1_3repE0EEENS1_30default_config_static_selectorELNS0_4arch9wavefront6targetE0EEEvT1_
		.amdhsa_group_segment_fixed_size 0
		.amdhsa_private_segment_fixed_size 0
		.amdhsa_kernarg_size 128
		.amdhsa_user_sgpr_count 2
		.amdhsa_user_sgpr_dispatch_ptr 0
		.amdhsa_user_sgpr_queue_ptr 0
		.amdhsa_user_sgpr_kernarg_segment_ptr 1
		.amdhsa_user_sgpr_dispatch_id 0
		.amdhsa_user_sgpr_kernarg_preload_length 0
		.amdhsa_user_sgpr_kernarg_preload_offset 0
		.amdhsa_user_sgpr_private_segment_size 0
		.amdhsa_wavefront_size32 1
		.amdhsa_uses_dynamic_stack 0
		.amdhsa_enable_private_segment 0
		.amdhsa_system_sgpr_workgroup_id_x 1
		.amdhsa_system_sgpr_workgroup_id_y 0
		.amdhsa_system_sgpr_workgroup_id_z 0
		.amdhsa_system_sgpr_workgroup_info 0
		.amdhsa_system_vgpr_workitem_id 0
		.amdhsa_next_free_vgpr 1
		.amdhsa_next_free_sgpr 1
		.amdhsa_named_barrier_count 0
		.amdhsa_reserve_vcc 0
		.amdhsa_float_round_mode_32 0
		.amdhsa_float_round_mode_16_64 0
		.amdhsa_float_denorm_mode_32 3
		.amdhsa_float_denorm_mode_16_64 3
		.amdhsa_fp16_overflow 0
		.amdhsa_memory_ordered 1
		.amdhsa_forward_progress 1
		.amdhsa_inst_pref_size 0
		.amdhsa_round_robin_scheduling 0
		.amdhsa_exception_fp_ieee_invalid_op 0
		.amdhsa_exception_fp_denorm_src 0
		.amdhsa_exception_fp_ieee_div_zero 0
		.amdhsa_exception_fp_ieee_overflow 0
		.amdhsa_exception_fp_ieee_underflow 0
		.amdhsa_exception_fp_ieee_inexact 0
		.amdhsa_exception_int_div_zero 0
	.end_amdhsa_kernel
	.section	.text._ZN7rocprim17ROCPRIM_400000_NS6detail17trampoline_kernelINS0_14default_configENS1_25partition_config_selectorILNS1_17partition_subalgoE8ElNS0_10empty_typeEbEEZZNS1_14partition_implILS5_8ELb0ES3_jPKlPS6_PKS6_NS0_5tupleIJPlS6_EEENSE_IJSB_SB_EEENS0_18inequality_wrapperIN6hipcub16HIPCUB_304000_NS8EqualityEEESF_JS6_EEE10hipError_tPvRmT3_T4_T5_T6_T7_T9_mT8_P12ihipStream_tbDpT10_ENKUlT_T0_E_clISt17integral_constantIbLb1EES16_EEDaS11_S12_EUlS11_E_NS1_11comp_targetILNS1_3genE5ELNS1_11target_archE942ELNS1_3gpuE9ELNS1_3repE0EEENS1_30default_config_static_selectorELNS0_4arch9wavefront6targetE0EEEvT1_,"axG",@progbits,_ZN7rocprim17ROCPRIM_400000_NS6detail17trampoline_kernelINS0_14default_configENS1_25partition_config_selectorILNS1_17partition_subalgoE8ElNS0_10empty_typeEbEEZZNS1_14partition_implILS5_8ELb0ES3_jPKlPS6_PKS6_NS0_5tupleIJPlS6_EEENSE_IJSB_SB_EEENS0_18inequality_wrapperIN6hipcub16HIPCUB_304000_NS8EqualityEEESF_JS6_EEE10hipError_tPvRmT3_T4_T5_T6_T7_T9_mT8_P12ihipStream_tbDpT10_ENKUlT_T0_E_clISt17integral_constantIbLb1EES16_EEDaS11_S12_EUlS11_E_NS1_11comp_targetILNS1_3genE5ELNS1_11target_archE942ELNS1_3gpuE9ELNS1_3repE0EEENS1_30default_config_static_selectorELNS0_4arch9wavefront6targetE0EEEvT1_,comdat
.Lfunc_end235:
	.size	_ZN7rocprim17ROCPRIM_400000_NS6detail17trampoline_kernelINS0_14default_configENS1_25partition_config_selectorILNS1_17partition_subalgoE8ElNS0_10empty_typeEbEEZZNS1_14partition_implILS5_8ELb0ES3_jPKlPS6_PKS6_NS0_5tupleIJPlS6_EEENSE_IJSB_SB_EEENS0_18inequality_wrapperIN6hipcub16HIPCUB_304000_NS8EqualityEEESF_JS6_EEE10hipError_tPvRmT3_T4_T5_T6_T7_T9_mT8_P12ihipStream_tbDpT10_ENKUlT_T0_E_clISt17integral_constantIbLb1EES16_EEDaS11_S12_EUlS11_E_NS1_11comp_targetILNS1_3genE5ELNS1_11target_archE942ELNS1_3gpuE9ELNS1_3repE0EEENS1_30default_config_static_selectorELNS0_4arch9wavefront6targetE0EEEvT1_, .Lfunc_end235-_ZN7rocprim17ROCPRIM_400000_NS6detail17trampoline_kernelINS0_14default_configENS1_25partition_config_selectorILNS1_17partition_subalgoE8ElNS0_10empty_typeEbEEZZNS1_14partition_implILS5_8ELb0ES3_jPKlPS6_PKS6_NS0_5tupleIJPlS6_EEENSE_IJSB_SB_EEENS0_18inequality_wrapperIN6hipcub16HIPCUB_304000_NS8EqualityEEESF_JS6_EEE10hipError_tPvRmT3_T4_T5_T6_T7_T9_mT8_P12ihipStream_tbDpT10_ENKUlT_T0_E_clISt17integral_constantIbLb1EES16_EEDaS11_S12_EUlS11_E_NS1_11comp_targetILNS1_3genE5ELNS1_11target_archE942ELNS1_3gpuE9ELNS1_3repE0EEENS1_30default_config_static_selectorELNS0_4arch9wavefront6targetE0EEEvT1_
                                        ; -- End function
	.set _ZN7rocprim17ROCPRIM_400000_NS6detail17trampoline_kernelINS0_14default_configENS1_25partition_config_selectorILNS1_17partition_subalgoE8ElNS0_10empty_typeEbEEZZNS1_14partition_implILS5_8ELb0ES3_jPKlPS6_PKS6_NS0_5tupleIJPlS6_EEENSE_IJSB_SB_EEENS0_18inequality_wrapperIN6hipcub16HIPCUB_304000_NS8EqualityEEESF_JS6_EEE10hipError_tPvRmT3_T4_T5_T6_T7_T9_mT8_P12ihipStream_tbDpT10_ENKUlT_T0_E_clISt17integral_constantIbLb1EES16_EEDaS11_S12_EUlS11_E_NS1_11comp_targetILNS1_3genE5ELNS1_11target_archE942ELNS1_3gpuE9ELNS1_3repE0EEENS1_30default_config_static_selectorELNS0_4arch9wavefront6targetE0EEEvT1_.num_vgpr, 0
	.set _ZN7rocprim17ROCPRIM_400000_NS6detail17trampoline_kernelINS0_14default_configENS1_25partition_config_selectorILNS1_17partition_subalgoE8ElNS0_10empty_typeEbEEZZNS1_14partition_implILS5_8ELb0ES3_jPKlPS6_PKS6_NS0_5tupleIJPlS6_EEENSE_IJSB_SB_EEENS0_18inequality_wrapperIN6hipcub16HIPCUB_304000_NS8EqualityEEESF_JS6_EEE10hipError_tPvRmT3_T4_T5_T6_T7_T9_mT8_P12ihipStream_tbDpT10_ENKUlT_T0_E_clISt17integral_constantIbLb1EES16_EEDaS11_S12_EUlS11_E_NS1_11comp_targetILNS1_3genE5ELNS1_11target_archE942ELNS1_3gpuE9ELNS1_3repE0EEENS1_30default_config_static_selectorELNS0_4arch9wavefront6targetE0EEEvT1_.num_agpr, 0
	.set _ZN7rocprim17ROCPRIM_400000_NS6detail17trampoline_kernelINS0_14default_configENS1_25partition_config_selectorILNS1_17partition_subalgoE8ElNS0_10empty_typeEbEEZZNS1_14partition_implILS5_8ELb0ES3_jPKlPS6_PKS6_NS0_5tupleIJPlS6_EEENSE_IJSB_SB_EEENS0_18inequality_wrapperIN6hipcub16HIPCUB_304000_NS8EqualityEEESF_JS6_EEE10hipError_tPvRmT3_T4_T5_T6_T7_T9_mT8_P12ihipStream_tbDpT10_ENKUlT_T0_E_clISt17integral_constantIbLb1EES16_EEDaS11_S12_EUlS11_E_NS1_11comp_targetILNS1_3genE5ELNS1_11target_archE942ELNS1_3gpuE9ELNS1_3repE0EEENS1_30default_config_static_selectorELNS0_4arch9wavefront6targetE0EEEvT1_.numbered_sgpr, 0
	.set _ZN7rocprim17ROCPRIM_400000_NS6detail17trampoline_kernelINS0_14default_configENS1_25partition_config_selectorILNS1_17partition_subalgoE8ElNS0_10empty_typeEbEEZZNS1_14partition_implILS5_8ELb0ES3_jPKlPS6_PKS6_NS0_5tupleIJPlS6_EEENSE_IJSB_SB_EEENS0_18inequality_wrapperIN6hipcub16HIPCUB_304000_NS8EqualityEEESF_JS6_EEE10hipError_tPvRmT3_T4_T5_T6_T7_T9_mT8_P12ihipStream_tbDpT10_ENKUlT_T0_E_clISt17integral_constantIbLb1EES16_EEDaS11_S12_EUlS11_E_NS1_11comp_targetILNS1_3genE5ELNS1_11target_archE942ELNS1_3gpuE9ELNS1_3repE0EEENS1_30default_config_static_selectorELNS0_4arch9wavefront6targetE0EEEvT1_.num_named_barrier, 0
	.set _ZN7rocprim17ROCPRIM_400000_NS6detail17trampoline_kernelINS0_14default_configENS1_25partition_config_selectorILNS1_17partition_subalgoE8ElNS0_10empty_typeEbEEZZNS1_14partition_implILS5_8ELb0ES3_jPKlPS6_PKS6_NS0_5tupleIJPlS6_EEENSE_IJSB_SB_EEENS0_18inequality_wrapperIN6hipcub16HIPCUB_304000_NS8EqualityEEESF_JS6_EEE10hipError_tPvRmT3_T4_T5_T6_T7_T9_mT8_P12ihipStream_tbDpT10_ENKUlT_T0_E_clISt17integral_constantIbLb1EES16_EEDaS11_S12_EUlS11_E_NS1_11comp_targetILNS1_3genE5ELNS1_11target_archE942ELNS1_3gpuE9ELNS1_3repE0EEENS1_30default_config_static_selectorELNS0_4arch9wavefront6targetE0EEEvT1_.private_seg_size, 0
	.set _ZN7rocprim17ROCPRIM_400000_NS6detail17trampoline_kernelINS0_14default_configENS1_25partition_config_selectorILNS1_17partition_subalgoE8ElNS0_10empty_typeEbEEZZNS1_14partition_implILS5_8ELb0ES3_jPKlPS6_PKS6_NS0_5tupleIJPlS6_EEENSE_IJSB_SB_EEENS0_18inequality_wrapperIN6hipcub16HIPCUB_304000_NS8EqualityEEESF_JS6_EEE10hipError_tPvRmT3_T4_T5_T6_T7_T9_mT8_P12ihipStream_tbDpT10_ENKUlT_T0_E_clISt17integral_constantIbLb1EES16_EEDaS11_S12_EUlS11_E_NS1_11comp_targetILNS1_3genE5ELNS1_11target_archE942ELNS1_3gpuE9ELNS1_3repE0EEENS1_30default_config_static_selectorELNS0_4arch9wavefront6targetE0EEEvT1_.uses_vcc, 0
	.set _ZN7rocprim17ROCPRIM_400000_NS6detail17trampoline_kernelINS0_14default_configENS1_25partition_config_selectorILNS1_17partition_subalgoE8ElNS0_10empty_typeEbEEZZNS1_14partition_implILS5_8ELb0ES3_jPKlPS6_PKS6_NS0_5tupleIJPlS6_EEENSE_IJSB_SB_EEENS0_18inequality_wrapperIN6hipcub16HIPCUB_304000_NS8EqualityEEESF_JS6_EEE10hipError_tPvRmT3_T4_T5_T6_T7_T9_mT8_P12ihipStream_tbDpT10_ENKUlT_T0_E_clISt17integral_constantIbLb1EES16_EEDaS11_S12_EUlS11_E_NS1_11comp_targetILNS1_3genE5ELNS1_11target_archE942ELNS1_3gpuE9ELNS1_3repE0EEENS1_30default_config_static_selectorELNS0_4arch9wavefront6targetE0EEEvT1_.uses_flat_scratch, 0
	.set _ZN7rocprim17ROCPRIM_400000_NS6detail17trampoline_kernelINS0_14default_configENS1_25partition_config_selectorILNS1_17partition_subalgoE8ElNS0_10empty_typeEbEEZZNS1_14partition_implILS5_8ELb0ES3_jPKlPS6_PKS6_NS0_5tupleIJPlS6_EEENSE_IJSB_SB_EEENS0_18inequality_wrapperIN6hipcub16HIPCUB_304000_NS8EqualityEEESF_JS6_EEE10hipError_tPvRmT3_T4_T5_T6_T7_T9_mT8_P12ihipStream_tbDpT10_ENKUlT_T0_E_clISt17integral_constantIbLb1EES16_EEDaS11_S12_EUlS11_E_NS1_11comp_targetILNS1_3genE5ELNS1_11target_archE942ELNS1_3gpuE9ELNS1_3repE0EEENS1_30default_config_static_selectorELNS0_4arch9wavefront6targetE0EEEvT1_.has_dyn_sized_stack, 0
	.set _ZN7rocprim17ROCPRIM_400000_NS6detail17trampoline_kernelINS0_14default_configENS1_25partition_config_selectorILNS1_17partition_subalgoE8ElNS0_10empty_typeEbEEZZNS1_14partition_implILS5_8ELb0ES3_jPKlPS6_PKS6_NS0_5tupleIJPlS6_EEENSE_IJSB_SB_EEENS0_18inequality_wrapperIN6hipcub16HIPCUB_304000_NS8EqualityEEESF_JS6_EEE10hipError_tPvRmT3_T4_T5_T6_T7_T9_mT8_P12ihipStream_tbDpT10_ENKUlT_T0_E_clISt17integral_constantIbLb1EES16_EEDaS11_S12_EUlS11_E_NS1_11comp_targetILNS1_3genE5ELNS1_11target_archE942ELNS1_3gpuE9ELNS1_3repE0EEENS1_30default_config_static_selectorELNS0_4arch9wavefront6targetE0EEEvT1_.has_recursion, 0
	.set _ZN7rocprim17ROCPRIM_400000_NS6detail17trampoline_kernelINS0_14default_configENS1_25partition_config_selectorILNS1_17partition_subalgoE8ElNS0_10empty_typeEbEEZZNS1_14partition_implILS5_8ELb0ES3_jPKlPS6_PKS6_NS0_5tupleIJPlS6_EEENSE_IJSB_SB_EEENS0_18inequality_wrapperIN6hipcub16HIPCUB_304000_NS8EqualityEEESF_JS6_EEE10hipError_tPvRmT3_T4_T5_T6_T7_T9_mT8_P12ihipStream_tbDpT10_ENKUlT_T0_E_clISt17integral_constantIbLb1EES16_EEDaS11_S12_EUlS11_E_NS1_11comp_targetILNS1_3genE5ELNS1_11target_archE942ELNS1_3gpuE9ELNS1_3repE0EEENS1_30default_config_static_selectorELNS0_4arch9wavefront6targetE0EEEvT1_.has_indirect_call, 0
	.section	.AMDGPU.csdata,"",@progbits
; Kernel info:
; codeLenInByte = 0
; TotalNumSgprs: 0
; NumVgprs: 0
; ScratchSize: 0
; MemoryBound: 0
; FloatMode: 240
; IeeeMode: 1
; LDSByteSize: 0 bytes/workgroup (compile time only)
; SGPRBlocks: 0
; VGPRBlocks: 0
; NumSGPRsForWavesPerEU: 1
; NumVGPRsForWavesPerEU: 1
; NamedBarCnt: 0
; Occupancy: 16
; WaveLimiterHint : 0
; COMPUTE_PGM_RSRC2:SCRATCH_EN: 0
; COMPUTE_PGM_RSRC2:USER_SGPR: 2
; COMPUTE_PGM_RSRC2:TRAP_HANDLER: 0
; COMPUTE_PGM_RSRC2:TGID_X_EN: 1
; COMPUTE_PGM_RSRC2:TGID_Y_EN: 0
; COMPUTE_PGM_RSRC2:TGID_Z_EN: 0
; COMPUTE_PGM_RSRC2:TIDIG_COMP_CNT: 0
	.section	.text._ZN7rocprim17ROCPRIM_400000_NS6detail17trampoline_kernelINS0_14default_configENS1_25partition_config_selectorILNS1_17partition_subalgoE8ElNS0_10empty_typeEbEEZZNS1_14partition_implILS5_8ELb0ES3_jPKlPS6_PKS6_NS0_5tupleIJPlS6_EEENSE_IJSB_SB_EEENS0_18inequality_wrapperIN6hipcub16HIPCUB_304000_NS8EqualityEEESF_JS6_EEE10hipError_tPvRmT3_T4_T5_T6_T7_T9_mT8_P12ihipStream_tbDpT10_ENKUlT_T0_E_clISt17integral_constantIbLb1EES16_EEDaS11_S12_EUlS11_E_NS1_11comp_targetILNS1_3genE4ELNS1_11target_archE910ELNS1_3gpuE8ELNS1_3repE0EEENS1_30default_config_static_selectorELNS0_4arch9wavefront6targetE0EEEvT1_,"axG",@progbits,_ZN7rocprim17ROCPRIM_400000_NS6detail17trampoline_kernelINS0_14default_configENS1_25partition_config_selectorILNS1_17partition_subalgoE8ElNS0_10empty_typeEbEEZZNS1_14partition_implILS5_8ELb0ES3_jPKlPS6_PKS6_NS0_5tupleIJPlS6_EEENSE_IJSB_SB_EEENS0_18inequality_wrapperIN6hipcub16HIPCUB_304000_NS8EqualityEEESF_JS6_EEE10hipError_tPvRmT3_T4_T5_T6_T7_T9_mT8_P12ihipStream_tbDpT10_ENKUlT_T0_E_clISt17integral_constantIbLb1EES16_EEDaS11_S12_EUlS11_E_NS1_11comp_targetILNS1_3genE4ELNS1_11target_archE910ELNS1_3gpuE8ELNS1_3repE0EEENS1_30default_config_static_selectorELNS0_4arch9wavefront6targetE0EEEvT1_,comdat
	.protected	_ZN7rocprim17ROCPRIM_400000_NS6detail17trampoline_kernelINS0_14default_configENS1_25partition_config_selectorILNS1_17partition_subalgoE8ElNS0_10empty_typeEbEEZZNS1_14partition_implILS5_8ELb0ES3_jPKlPS6_PKS6_NS0_5tupleIJPlS6_EEENSE_IJSB_SB_EEENS0_18inequality_wrapperIN6hipcub16HIPCUB_304000_NS8EqualityEEESF_JS6_EEE10hipError_tPvRmT3_T4_T5_T6_T7_T9_mT8_P12ihipStream_tbDpT10_ENKUlT_T0_E_clISt17integral_constantIbLb1EES16_EEDaS11_S12_EUlS11_E_NS1_11comp_targetILNS1_3genE4ELNS1_11target_archE910ELNS1_3gpuE8ELNS1_3repE0EEENS1_30default_config_static_selectorELNS0_4arch9wavefront6targetE0EEEvT1_ ; -- Begin function _ZN7rocprim17ROCPRIM_400000_NS6detail17trampoline_kernelINS0_14default_configENS1_25partition_config_selectorILNS1_17partition_subalgoE8ElNS0_10empty_typeEbEEZZNS1_14partition_implILS5_8ELb0ES3_jPKlPS6_PKS6_NS0_5tupleIJPlS6_EEENSE_IJSB_SB_EEENS0_18inequality_wrapperIN6hipcub16HIPCUB_304000_NS8EqualityEEESF_JS6_EEE10hipError_tPvRmT3_T4_T5_T6_T7_T9_mT8_P12ihipStream_tbDpT10_ENKUlT_T0_E_clISt17integral_constantIbLb1EES16_EEDaS11_S12_EUlS11_E_NS1_11comp_targetILNS1_3genE4ELNS1_11target_archE910ELNS1_3gpuE8ELNS1_3repE0EEENS1_30default_config_static_selectorELNS0_4arch9wavefront6targetE0EEEvT1_
	.globl	_ZN7rocprim17ROCPRIM_400000_NS6detail17trampoline_kernelINS0_14default_configENS1_25partition_config_selectorILNS1_17partition_subalgoE8ElNS0_10empty_typeEbEEZZNS1_14partition_implILS5_8ELb0ES3_jPKlPS6_PKS6_NS0_5tupleIJPlS6_EEENSE_IJSB_SB_EEENS0_18inequality_wrapperIN6hipcub16HIPCUB_304000_NS8EqualityEEESF_JS6_EEE10hipError_tPvRmT3_T4_T5_T6_T7_T9_mT8_P12ihipStream_tbDpT10_ENKUlT_T0_E_clISt17integral_constantIbLb1EES16_EEDaS11_S12_EUlS11_E_NS1_11comp_targetILNS1_3genE4ELNS1_11target_archE910ELNS1_3gpuE8ELNS1_3repE0EEENS1_30default_config_static_selectorELNS0_4arch9wavefront6targetE0EEEvT1_
	.p2align	8
	.type	_ZN7rocprim17ROCPRIM_400000_NS6detail17trampoline_kernelINS0_14default_configENS1_25partition_config_selectorILNS1_17partition_subalgoE8ElNS0_10empty_typeEbEEZZNS1_14partition_implILS5_8ELb0ES3_jPKlPS6_PKS6_NS0_5tupleIJPlS6_EEENSE_IJSB_SB_EEENS0_18inequality_wrapperIN6hipcub16HIPCUB_304000_NS8EqualityEEESF_JS6_EEE10hipError_tPvRmT3_T4_T5_T6_T7_T9_mT8_P12ihipStream_tbDpT10_ENKUlT_T0_E_clISt17integral_constantIbLb1EES16_EEDaS11_S12_EUlS11_E_NS1_11comp_targetILNS1_3genE4ELNS1_11target_archE910ELNS1_3gpuE8ELNS1_3repE0EEENS1_30default_config_static_selectorELNS0_4arch9wavefront6targetE0EEEvT1_,@function
_ZN7rocprim17ROCPRIM_400000_NS6detail17trampoline_kernelINS0_14default_configENS1_25partition_config_selectorILNS1_17partition_subalgoE8ElNS0_10empty_typeEbEEZZNS1_14partition_implILS5_8ELb0ES3_jPKlPS6_PKS6_NS0_5tupleIJPlS6_EEENSE_IJSB_SB_EEENS0_18inequality_wrapperIN6hipcub16HIPCUB_304000_NS8EqualityEEESF_JS6_EEE10hipError_tPvRmT3_T4_T5_T6_T7_T9_mT8_P12ihipStream_tbDpT10_ENKUlT_T0_E_clISt17integral_constantIbLb1EES16_EEDaS11_S12_EUlS11_E_NS1_11comp_targetILNS1_3genE4ELNS1_11target_archE910ELNS1_3gpuE8ELNS1_3repE0EEENS1_30default_config_static_selectorELNS0_4arch9wavefront6targetE0EEEvT1_: ; @_ZN7rocprim17ROCPRIM_400000_NS6detail17trampoline_kernelINS0_14default_configENS1_25partition_config_selectorILNS1_17partition_subalgoE8ElNS0_10empty_typeEbEEZZNS1_14partition_implILS5_8ELb0ES3_jPKlPS6_PKS6_NS0_5tupleIJPlS6_EEENSE_IJSB_SB_EEENS0_18inequality_wrapperIN6hipcub16HIPCUB_304000_NS8EqualityEEESF_JS6_EEE10hipError_tPvRmT3_T4_T5_T6_T7_T9_mT8_P12ihipStream_tbDpT10_ENKUlT_T0_E_clISt17integral_constantIbLb1EES16_EEDaS11_S12_EUlS11_E_NS1_11comp_targetILNS1_3genE4ELNS1_11target_archE910ELNS1_3gpuE8ELNS1_3repE0EEENS1_30default_config_static_selectorELNS0_4arch9wavefront6targetE0EEEvT1_
; %bb.0:
	.section	.rodata,"a",@progbits
	.p2align	6, 0x0
	.amdhsa_kernel _ZN7rocprim17ROCPRIM_400000_NS6detail17trampoline_kernelINS0_14default_configENS1_25partition_config_selectorILNS1_17partition_subalgoE8ElNS0_10empty_typeEbEEZZNS1_14partition_implILS5_8ELb0ES3_jPKlPS6_PKS6_NS0_5tupleIJPlS6_EEENSE_IJSB_SB_EEENS0_18inequality_wrapperIN6hipcub16HIPCUB_304000_NS8EqualityEEESF_JS6_EEE10hipError_tPvRmT3_T4_T5_T6_T7_T9_mT8_P12ihipStream_tbDpT10_ENKUlT_T0_E_clISt17integral_constantIbLb1EES16_EEDaS11_S12_EUlS11_E_NS1_11comp_targetILNS1_3genE4ELNS1_11target_archE910ELNS1_3gpuE8ELNS1_3repE0EEENS1_30default_config_static_selectorELNS0_4arch9wavefront6targetE0EEEvT1_
		.amdhsa_group_segment_fixed_size 0
		.amdhsa_private_segment_fixed_size 0
		.amdhsa_kernarg_size 128
		.amdhsa_user_sgpr_count 2
		.amdhsa_user_sgpr_dispatch_ptr 0
		.amdhsa_user_sgpr_queue_ptr 0
		.amdhsa_user_sgpr_kernarg_segment_ptr 1
		.amdhsa_user_sgpr_dispatch_id 0
		.amdhsa_user_sgpr_kernarg_preload_length 0
		.amdhsa_user_sgpr_kernarg_preload_offset 0
		.amdhsa_user_sgpr_private_segment_size 0
		.amdhsa_wavefront_size32 1
		.amdhsa_uses_dynamic_stack 0
		.amdhsa_enable_private_segment 0
		.amdhsa_system_sgpr_workgroup_id_x 1
		.amdhsa_system_sgpr_workgroup_id_y 0
		.amdhsa_system_sgpr_workgroup_id_z 0
		.amdhsa_system_sgpr_workgroup_info 0
		.amdhsa_system_vgpr_workitem_id 0
		.amdhsa_next_free_vgpr 1
		.amdhsa_next_free_sgpr 1
		.amdhsa_named_barrier_count 0
		.amdhsa_reserve_vcc 0
		.amdhsa_float_round_mode_32 0
		.amdhsa_float_round_mode_16_64 0
		.amdhsa_float_denorm_mode_32 3
		.amdhsa_float_denorm_mode_16_64 3
		.amdhsa_fp16_overflow 0
		.amdhsa_memory_ordered 1
		.amdhsa_forward_progress 1
		.amdhsa_inst_pref_size 0
		.amdhsa_round_robin_scheduling 0
		.amdhsa_exception_fp_ieee_invalid_op 0
		.amdhsa_exception_fp_denorm_src 0
		.amdhsa_exception_fp_ieee_div_zero 0
		.amdhsa_exception_fp_ieee_overflow 0
		.amdhsa_exception_fp_ieee_underflow 0
		.amdhsa_exception_fp_ieee_inexact 0
		.amdhsa_exception_int_div_zero 0
	.end_amdhsa_kernel
	.section	.text._ZN7rocprim17ROCPRIM_400000_NS6detail17trampoline_kernelINS0_14default_configENS1_25partition_config_selectorILNS1_17partition_subalgoE8ElNS0_10empty_typeEbEEZZNS1_14partition_implILS5_8ELb0ES3_jPKlPS6_PKS6_NS0_5tupleIJPlS6_EEENSE_IJSB_SB_EEENS0_18inequality_wrapperIN6hipcub16HIPCUB_304000_NS8EqualityEEESF_JS6_EEE10hipError_tPvRmT3_T4_T5_T6_T7_T9_mT8_P12ihipStream_tbDpT10_ENKUlT_T0_E_clISt17integral_constantIbLb1EES16_EEDaS11_S12_EUlS11_E_NS1_11comp_targetILNS1_3genE4ELNS1_11target_archE910ELNS1_3gpuE8ELNS1_3repE0EEENS1_30default_config_static_selectorELNS0_4arch9wavefront6targetE0EEEvT1_,"axG",@progbits,_ZN7rocprim17ROCPRIM_400000_NS6detail17trampoline_kernelINS0_14default_configENS1_25partition_config_selectorILNS1_17partition_subalgoE8ElNS0_10empty_typeEbEEZZNS1_14partition_implILS5_8ELb0ES3_jPKlPS6_PKS6_NS0_5tupleIJPlS6_EEENSE_IJSB_SB_EEENS0_18inequality_wrapperIN6hipcub16HIPCUB_304000_NS8EqualityEEESF_JS6_EEE10hipError_tPvRmT3_T4_T5_T6_T7_T9_mT8_P12ihipStream_tbDpT10_ENKUlT_T0_E_clISt17integral_constantIbLb1EES16_EEDaS11_S12_EUlS11_E_NS1_11comp_targetILNS1_3genE4ELNS1_11target_archE910ELNS1_3gpuE8ELNS1_3repE0EEENS1_30default_config_static_selectorELNS0_4arch9wavefront6targetE0EEEvT1_,comdat
.Lfunc_end236:
	.size	_ZN7rocprim17ROCPRIM_400000_NS6detail17trampoline_kernelINS0_14default_configENS1_25partition_config_selectorILNS1_17partition_subalgoE8ElNS0_10empty_typeEbEEZZNS1_14partition_implILS5_8ELb0ES3_jPKlPS6_PKS6_NS0_5tupleIJPlS6_EEENSE_IJSB_SB_EEENS0_18inequality_wrapperIN6hipcub16HIPCUB_304000_NS8EqualityEEESF_JS6_EEE10hipError_tPvRmT3_T4_T5_T6_T7_T9_mT8_P12ihipStream_tbDpT10_ENKUlT_T0_E_clISt17integral_constantIbLb1EES16_EEDaS11_S12_EUlS11_E_NS1_11comp_targetILNS1_3genE4ELNS1_11target_archE910ELNS1_3gpuE8ELNS1_3repE0EEENS1_30default_config_static_selectorELNS0_4arch9wavefront6targetE0EEEvT1_, .Lfunc_end236-_ZN7rocprim17ROCPRIM_400000_NS6detail17trampoline_kernelINS0_14default_configENS1_25partition_config_selectorILNS1_17partition_subalgoE8ElNS0_10empty_typeEbEEZZNS1_14partition_implILS5_8ELb0ES3_jPKlPS6_PKS6_NS0_5tupleIJPlS6_EEENSE_IJSB_SB_EEENS0_18inequality_wrapperIN6hipcub16HIPCUB_304000_NS8EqualityEEESF_JS6_EEE10hipError_tPvRmT3_T4_T5_T6_T7_T9_mT8_P12ihipStream_tbDpT10_ENKUlT_T0_E_clISt17integral_constantIbLb1EES16_EEDaS11_S12_EUlS11_E_NS1_11comp_targetILNS1_3genE4ELNS1_11target_archE910ELNS1_3gpuE8ELNS1_3repE0EEENS1_30default_config_static_selectorELNS0_4arch9wavefront6targetE0EEEvT1_
                                        ; -- End function
	.set _ZN7rocprim17ROCPRIM_400000_NS6detail17trampoline_kernelINS0_14default_configENS1_25partition_config_selectorILNS1_17partition_subalgoE8ElNS0_10empty_typeEbEEZZNS1_14partition_implILS5_8ELb0ES3_jPKlPS6_PKS6_NS0_5tupleIJPlS6_EEENSE_IJSB_SB_EEENS0_18inequality_wrapperIN6hipcub16HIPCUB_304000_NS8EqualityEEESF_JS6_EEE10hipError_tPvRmT3_T4_T5_T6_T7_T9_mT8_P12ihipStream_tbDpT10_ENKUlT_T0_E_clISt17integral_constantIbLb1EES16_EEDaS11_S12_EUlS11_E_NS1_11comp_targetILNS1_3genE4ELNS1_11target_archE910ELNS1_3gpuE8ELNS1_3repE0EEENS1_30default_config_static_selectorELNS0_4arch9wavefront6targetE0EEEvT1_.num_vgpr, 0
	.set _ZN7rocprim17ROCPRIM_400000_NS6detail17trampoline_kernelINS0_14default_configENS1_25partition_config_selectorILNS1_17partition_subalgoE8ElNS0_10empty_typeEbEEZZNS1_14partition_implILS5_8ELb0ES3_jPKlPS6_PKS6_NS0_5tupleIJPlS6_EEENSE_IJSB_SB_EEENS0_18inequality_wrapperIN6hipcub16HIPCUB_304000_NS8EqualityEEESF_JS6_EEE10hipError_tPvRmT3_T4_T5_T6_T7_T9_mT8_P12ihipStream_tbDpT10_ENKUlT_T0_E_clISt17integral_constantIbLb1EES16_EEDaS11_S12_EUlS11_E_NS1_11comp_targetILNS1_3genE4ELNS1_11target_archE910ELNS1_3gpuE8ELNS1_3repE0EEENS1_30default_config_static_selectorELNS0_4arch9wavefront6targetE0EEEvT1_.num_agpr, 0
	.set _ZN7rocprim17ROCPRIM_400000_NS6detail17trampoline_kernelINS0_14default_configENS1_25partition_config_selectorILNS1_17partition_subalgoE8ElNS0_10empty_typeEbEEZZNS1_14partition_implILS5_8ELb0ES3_jPKlPS6_PKS6_NS0_5tupleIJPlS6_EEENSE_IJSB_SB_EEENS0_18inequality_wrapperIN6hipcub16HIPCUB_304000_NS8EqualityEEESF_JS6_EEE10hipError_tPvRmT3_T4_T5_T6_T7_T9_mT8_P12ihipStream_tbDpT10_ENKUlT_T0_E_clISt17integral_constantIbLb1EES16_EEDaS11_S12_EUlS11_E_NS1_11comp_targetILNS1_3genE4ELNS1_11target_archE910ELNS1_3gpuE8ELNS1_3repE0EEENS1_30default_config_static_selectorELNS0_4arch9wavefront6targetE0EEEvT1_.numbered_sgpr, 0
	.set _ZN7rocprim17ROCPRIM_400000_NS6detail17trampoline_kernelINS0_14default_configENS1_25partition_config_selectorILNS1_17partition_subalgoE8ElNS0_10empty_typeEbEEZZNS1_14partition_implILS5_8ELb0ES3_jPKlPS6_PKS6_NS0_5tupleIJPlS6_EEENSE_IJSB_SB_EEENS0_18inequality_wrapperIN6hipcub16HIPCUB_304000_NS8EqualityEEESF_JS6_EEE10hipError_tPvRmT3_T4_T5_T6_T7_T9_mT8_P12ihipStream_tbDpT10_ENKUlT_T0_E_clISt17integral_constantIbLb1EES16_EEDaS11_S12_EUlS11_E_NS1_11comp_targetILNS1_3genE4ELNS1_11target_archE910ELNS1_3gpuE8ELNS1_3repE0EEENS1_30default_config_static_selectorELNS0_4arch9wavefront6targetE0EEEvT1_.num_named_barrier, 0
	.set _ZN7rocprim17ROCPRIM_400000_NS6detail17trampoline_kernelINS0_14default_configENS1_25partition_config_selectorILNS1_17partition_subalgoE8ElNS0_10empty_typeEbEEZZNS1_14partition_implILS5_8ELb0ES3_jPKlPS6_PKS6_NS0_5tupleIJPlS6_EEENSE_IJSB_SB_EEENS0_18inequality_wrapperIN6hipcub16HIPCUB_304000_NS8EqualityEEESF_JS6_EEE10hipError_tPvRmT3_T4_T5_T6_T7_T9_mT8_P12ihipStream_tbDpT10_ENKUlT_T0_E_clISt17integral_constantIbLb1EES16_EEDaS11_S12_EUlS11_E_NS1_11comp_targetILNS1_3genE4ELNS1_11target_archE910ELNS1_3gpuE8ELNS1_3repE0EEENS1_30default_config_static_selectorELNS0_4arch9wavefront6targetE0EEEvT1_.private_seg_size, 0
	.set _ZN7rocprim17ROCPRIM_400000_NS6detail17trampoline_kernelINS0_14default_configENS1_25partition_config_selectorILNS1_17partition_subalgoE8ElNS0_10empty_typeEbEEZZNS1_14partition_implILS5_8ELb0ES3_jPKlPS6_PKS6_NS0_5tupleIJPlS6_EEENSE_IJSB_SB_EEENS0_18inequality_wrapperIN6hipcub16HIPCUB_304000_NS8EqualityEEESF_JS6_EEE10hipError_tPvRmT3_T4_T5_T6_T7_T9_mT8_P12ihipStream_tbDpT10_ENKUlT_T0_E_clISt17integral_constantIbLb1EES16_EEDaS11_S12_EUlS11_E_NS1_11comp_targetILNS1_3genE4ELNS1_11target_archE910ELNS1_3gpuE8ELNS1_3repE0EEENS1_30default_config_static_selectorELNS0_4arch9wavefront6targetE0EEEvT1_.uses_vcc, 0
	.set _ZN7rocprim17ROCPRIM_400000_NS6detail17trampoline_kernelINS0_14default_configENS1_25partition_config_selectorILNS1_17partition_subalgoE8ElNS0_10empty_typeEbEEZZNS1_14partition_implILS5_8ELb0ES3_jPKlPS6_PKS6_NS0_5tupleIJPlS6_EEENSE_IJSB_SB_EEENS0_18inequality_wrapperIN6hipcub16HIPCUB_304000_NS8EqualityEEESF_JS6_EEE10hipError_tPvRmT3_T4_T5_T6_T7_T9_mT8_P12ihipStream_tbDpT10_ENKUlT_T0_E_clISt17integral_constantIbLb1EES16_EEDaS11_S12_EUlS11_E_NS1_11comp_targetILNS1_3genE4ELNS1_11target_archE910ELNS1_3gpuE8ELNS1_3repE0EEENS1_30default_config_static_selectorELNS0_4arch9wavefront6targetE0EEEvT1_.uses_flat_scratch, 0
	.set _ZN7rocprim17ROCPRIM_400000_NS6detail17trampoline_kernelINS0_14default_configENS1_25partition_config_selectorILNS1_17partition_subalgoE8ElNS0_10empty_typeEbEEZZNS1_14partition_implILS5_8ELb0ES3_jPKlPS6_PKS6_NS0_5tupleIJPlS6_EEENSE_IJSB_SB_EEENS0_18inequality_wrapperIN6hipcub16HIPCUB_304000_NS8EqualityEEESF_JS6_EEE10hipError_tPvRmT3_T4_T5_T6_T7_T9_mT8_P12ihipStream_tbDpT10_ENKUlT_T0_E_clISt17integral_constantIbLb1EES16_EEDaS11_S12_EUlS11_E_NS1_11comp_targetILNS1_3genE4ELNS1_11target_archE910ELNS1_3gpuE8ELNS1_3repE0EEENS1_30default_config_static_selectorELNS0_4arch9wavefront6targetE0EEEvT1_.has_dyn_sized_stack, 0
	.set _ZN7rocprim17ROCPRIM_400000_NS6detail17trampoline_kernelINS0_14default_configENS1_25partition_config_selectorILNS1_17partition_subalgoE8ElNS0_10empty_typeEbEEZZNS1_14partition_implILS5_8ELb0ES3_jPKlPS6_PKS6_NS0_5tupleIJPlS6_EEENSE_IJSB_SB_EEENS0_18inequality_wrapperIN6hipcub16HIPCUB_304000_NS8EqualityEEESF_JS6_EEE10hipError_tPvRmT3_T4_T5_T6_T7_T9_mT8_P12ihipStream_tbDpT10_ENKUlT_T0_E_clISt17integral_constantIbLb1EES16_EEDaS11_S12_EUlS11_E_NS1_11comp_targetILNS1_3genE4ELNS1_11target_archE910ELNS1_3gpuE8ELNS1_3repE0EEENS1_30default_config_static_selectorELNS0_4arch9wavefront6targetE0EEEvT1_.has_recursion, 0
	.set _ZN7rocprim17ROCPRIM_400000_NS6detail17trampoline_kernelINS0_14default_configENS1_25partition_config_selectorILNS1_17partition_subalgoE8ElNS0_10empty_typeEbEEZZNS1_14partition_implILS5_8ELb0ES3_jPKlPS6_PKS6_NS0_5tupleIJPlS6_EEENSE_IJSB_SB_EEENS0_18inequality_wrapperIN6hipcub16HIPCUB_304000_NS8EqualityEEESF_JS6_EEE10hipError_tPvRmT3_T4_T5_T6_T7_T9_mT8_P12ihipStream_tbDpT10_ENKUlT_T0_E_clISt17integral_constantIbLb1EES16_EEDaS11_S12_EUlS11_E_NS1_11comp_targetILNS1_3genE4ELNS1_11target_archE910ELNS1_3gpuE8ELNS1_3repE0EEENS1_30default_config_static_selectorELNS0_4arch9wavefront6targetE0EEEvT1_.has_indirect_call, 0
	.section	.AMDGPU.csdata,"",@progbits
; Kernel info:
; codeLenInByte = 0
; TotalNumSgprs: 0
; NumVgprs: 0
; ScratchSize: 0
; MemoryBound: 0
; FloatMode: 240
; IeeeMode: 1
; LDSByteSize: 0 bytes/workgroup (compile time only)
; SGPRBlocks: 0
; VGPRBlocks: 0
; NumSGPRsForWavesPerEU: 1
; NumVGPRsForWavesPerEU: 1
; NamedBarCnt: 0
; Occupancy: 16
; WaveLimiterHint : 0
; COMPUTE_PGM_RSRC2:SCRATCH_EN: 0
; COMPUTE_PGM_RSRC2:USER_SGPR: 2
; COMPUTE_PGM_RSRC2:TRAP_HANDLER: 0
; COMPUTE_PGM_RSRC2:TGID_X_EN: 1
; COMPUTE_PGM_RSRC2:TGID_Y_EN: 0
; COMPUTE_PGM_RSRC2:TGID_Z_EN: 0
; COMPUTE_PGM_RSRC2:TIDIG_COMP_CNT: 0
	.section	.text._ZN7rocprim17ROCPRIM_400000_NS6detail17trampoline_kernelINS0_14default_configENS1_25partition_config_selectorILNS1_17partition_subalgoE8ElNS0_10empty_typeEbEEZZNS1_14partition_implILS5_8ELb0ES3_jPKlPS6_PKS6_NS0_5tupleIJPlS6_EEENSE_IJSB_SB_EEENS0_18inequality_wrapperIN6hipcub16HIPCUB_304000_NS8EqualityEEESF_JS6_EEE10hipError_tPvRmT3_T4_T5_T6_T7_T9_mT8_P12ihipStream_tbDpT10_ENKUlT_T0_E_clISt17integral_constantIbLb1EES16_EEDaS11_S12_EUlS11_E_NS1_11comp_targetILNS1_3genE3ELNS1_11target_archE908ELNS1_3gpuE7ELNS1_3repE0EEENS1_30default_config_static_selectorELNS0_4arch9wavefront6targetE0EEEvT1_,"axG",@progbits,_ZN7rocprim17ROCPRIM_400000_NS6detail17trampoline_kernelINS0_14default_configENS1_25partition_config_selectorILNS1_17partition_subalgoE8ElNS0_10empty_typeEbEEZZNS1_14partition_implILS5_8ELb0ES3_jPKlPS6_PKS6_NS0_5tupleIJPlS6_EEENSE_IJSB_SB_EEENS0_18inequality_wrapperIN6hipcub16HIPCUB_304000_NS8EqualityEEESF_JS6_EEE10hipError_tPvRmT3_T4_T5_T6_T7_T9_mT8_P12ihipStream_tbDpT10_ENKUlT_T0_E_clISt17integral_constantIbLb1EES16_EEDaS11_S12_EUlS11_E_NS1_11comp_targetILNS1_3genE3ELNS1_11target_archE908ELNS1_3gpuE7ELNS1_3repE0EEENS1_30default_config_static_selectorELNS0_4arch9wavefront6targetE0EEEvT1_,comdat
	.protected	_ZN7rocprim17ROCPRIM_400000_NS6detail17trampoline_kernelINS0_14default_configENS1_25partition_config_selectorILNS1_17partition_subalgoE8ElNS0_10empty_typeEbEEZZNS1_14partition_implILS5_8ELb0ES3_jPKlPS6_PKS6_NS0_5tupleIJPlS6_EEENSE_IJSB_SB_EEENS0_18inequality_wrapperIN6hipcub16HIPCUB_304000_NS8EqualityEEESF_JS6_EEE10hipError_tPvRmT3_T4_T5_T6_T7_T9_mT8_P12ihipStream_tbDpT10_ENKUlT_T0_E_clISt17integral_constantIbLb1EES16_EEDaS11_S12_EUlS11_E_NS1_11comp_targetILNS1_3genE3ELNS1_11target_archE908ELNS1_3gpuE7ELNS1_3repE0EEENS1_30default_config_static_selectorELNS0_4arch9wavefront6targetE0EEEvT1_ ; -- Begin function _ZN7rocprim17ROCPRIM_400000_NS6detail17trampoline_kernelINS0_14default_configENS1_25partition_config_selectorILNS1_17partition_subalgoE8ElNS0_10empty_typeEbEEZZNS1_14partition_implILS5_8ELb0ES3_jPKlPS6_PKS6_NS0_5tupleIJPlS6_EEENSE_IJSB_SB_EEENS0_18inequality_wrapperIN6hipcub16HIPCUB_304000_NS8EqualityEEESF_JS6_EEE10hipError_tPvRmT3_T4_T5_T6_T7_T9_mT8_P12ihipStream_tbDpT10_ENKUlT_T0_E_clISt17integral_constantIbLb1EES16_EEDaS11_S12_EUlS11_E_NS1_11comp_targetILNS1_3genE3ELNS1_11target_archE908ELNS1_3gpuE7ELNS1_3repE0EEENS1_30default_config_static_selectorELNS0_4arch9wavefront6targetE0EEEvT1_
	.globl	_ZN7rocprim17ROCPRIM_400000_NS6detail17trampoline_kernelINS0_14default_configENS1_25partition_config_selectorILNS1_17partition_subalgoE8ElNS0_10empty_typeEbEEZZNS1_14partition_implILS5_8ELb0ES3_jPKlPS6_PKS6_NS0_5tupleIJPlS6_EEENSE_IJSB_SB_EEENS0_18inequality_wrapperIN6hipcub16HIPCUB_304000_NS8EqualityEEESF_JS6_EEE10hipError_tPvRmT3_T4_T5_T6_T7_T9_mT8_P12ihipStream_tbDpT10_ENKUlT_T0_E_clISt17integral_constantIbLb1EES16_EEDaS11_S12_EUlS11_E_NS1_11comp_targetILNS1_3genE3ELNS1_11target_archE908ELNS1_3gpuE7ELNS1_3repE0EEENS1_30default_config_static_selectorELNS0_4arch9wavefront6targetE0EEEvT1_
	.p2align	8
	.type	_ZN7rocprim17ROCPRIM_400000_NS6detail17trampoline_kernelINS0_14default_configENS1_25partition_config_selectorILNS1_17partition_subalgoE8ElNS0_10empty_typeEbEEZZNS1_14partition_implILS5_8ELb0ES3_jPKlPS6_PKS6_NS0_5tupleIJPlS6_EEENSE_IJSB_SB_EEENS0_18inequality_wrapperIN6hipcub16HIPCUB_304000_NS8EqualityEEESF_JS6_EEE10hipError_tPvRmT3_T4_T5_T6_T7_T9_mT8_P12ihipStream_tbDpT10_ENKUlT_T0_E_clISt17integral_constantIbLb1EES16_EEDaS11_S12_EUlS11_E_NS1_11comp_targetILNS1_3genE3ELNS1_11target_archE908ELNS1_3gpuE7ELNS1_3repE0EEENS1_30default_config_static_selectorELNS0_4arch9wavefront6targetE0EEEvT1_,@function
_ZN7rocprim17ROCPRIM_400000_NS6detail17trampoline_kernelINS0_14default_configENS1_25partition_config_selectorILNS1_17partition_subalgoE8ElNS0_10empty_typeEbEEZZNS1_14partition_implILS5_8ELb0ES3_jPKlPS6_PKS6_NS0_5tupleIJPlS6_EEENSE_IJSB_SB_EEENS0_18inequality_wrapperIN6hipcub16HIPCUB_304000_NS8EqualityEEESF_JS6_EEE10hipError_tPvRmT3_T4_T5_T6_T7_T9_mT8_P12ihipStream_tbDpT10_ENKUlT_T0_E_clISt17integral_constantIbLb1EES16_EEDaS11_S12_EUlS11_E_NS1_11comp_targetILNS1_3genE3ELNS1_11target_archE908ELNS1_3gpuE7ELNS1_3repE0EEENS1_30default_config_static_selectorELNS0_4arch9wavefront6targetE0EEEvT1_: ; @_ZN7rocprim17ROCPRIM_400000_NS6detail17trampoline_kernelINS0_14default_configENS1_25partition_config_selectorILNS1_17partition_subalgoE8ElNS0_10empty_typeEbEEZZNS1_14partition_implILS5_8ELb0ES3_jPKlPS6_PKS6_NS0_5tupleIJPlS6_EEENSE_IJSB_SB_EEENS0_18inequality_wrapperIN6hipcub16HIPCUB_304000_NS8EqualityEEESF_JS6_EEE10hipError_tPvRmT3_T4_T5_T6_T7_T9_mT8_P12ihipStream_tbDpT10_ENKUlT_T0_E_clISt17integral_constantIbLb1EES16_EEDaS11_S12_EUlS11_E_NS1_11comp_targetILNS1_3genE3ELNS1_11target_archE908ELNS1_3gpuE7ELNS1_3repE0EEENS1_30default_config_static_selectorELNS0_4arch9wavefront6targetE0EEEvT1_
; %bb.0:
	.section	.rodata,"a",@progbits
	.p2align	6, 0x0
	.amdhsa_kernel _ZN7rocprim17ROCPRIM_400000_NS6detail17trampoline_kernelINS0_14default_configENS1_25partition_config_selectorILNS1_17partition_subalgoE8ElNS0_10empty_typeEbEEZZNS1_14partition_implILS5_8ELb0ES3_jPKlPS6_PKS6_NS0_5tupleIJPlS6_EEENSE_IJSB_SB_EEENS0_18inequality_wrapperIN6hipcub16HIPCUB_304000_NS8EqualityEEESF_JS6_EEE10hipError_tPvRmT3_T4_T5_T6_T7_T9_mT8_P12ihipStream_tbDpT10_ENKUlT_T0_E_clISt17integral_constantIbLb1EES16_EEDaS11_S12_EUlS11_E_NS1_11comp_targetILNS1_3genE3ELNS1_11target_archE908ELNS1_3gpuE7ELNS1_3repE0EEENS1_30default_config_static_selectorELNS0_4arch9wavefront6targetE0EEEvT1_
		.amdhsa_group_segment_fixed_size 0
		.amdhsa_private_segment_fixed_size 0
		.amdhsa_kernarg_size 128
		.amdhsa_user_sgpr_count 2
		.amdhsa_user_sgpr_dispatch_ptr 0
		.amdhsa_user_sgpr_queue_ptr 0
		.amdhsa_user_sgpr_kernarg_segment_ptr 1
		.amdhsa_user_sgpr_dispatch_id 0
		.amdhsa_user_sgpr_kernarg_preload_length 0
		.amdhsa_user_sgpr_kernarg_preload_offset 0
		.amdhsa_user_sgpr_private_segment_size 0
		.amdhsa_wavefront_size32 1
		.amdhsa_uses_dynamic_stack 0
		.amdhsa_enable_private_segment 0
		.amdhsa_system_sgpr_workgroup_id_x 1
		.amdhsa_system_sgpr_workgroup_id_y 0
		.amdhsa_system_sgpr_workgroup_id_z 0
		.amdhsa_system_sgpr_workgroup_info 0
		.amdhsa_system_vgpr_workitem_id 0
		.amdhsa_next_free_vgpr 1
		.amdhsa_next_free_sgpr 1
		.amdhsa_named_barrier_count 0
		.amdhsa_reserve_vcc 0
		.amdhsa_float_round_mode_32 0
		.amdhsa_float_round_mode_16_64 0
		.amdhsa_float_denorm_mode_32 3
		.amdhsa_float_denorm_mode_16_64 3
		.amdhsa_fp16_overflow 0
		.amdhsa_memory_ordered 1
		.amdhsa_forward_progress 1
		.amdhsa_inst_pref_size 0
		.amdhsa_round_robin_scheduling 0
		.amdhsa_exception_fp_ieee_invalid_op 0
		.amdhsa_exception_fp_denorm_src 0
		.amdhsa_exception_fp_ieee_div_zero 0
		.amdhsa_exception_fp_ieee_overflow 0
		.amdhsa_exception_fp_ieee_underflow 0
		.amdhsa_exception_fp_ieee_inexact 0
		.amdhsa_exception_int_div_zero 0
	.end_amdhsa_kernel
	.section	.text._ZN7rocprim17ROCPRIM_400000_NS6detail17trampoline_kernelINS0_14default_configENS1_25partition_config_selectorILNS1_17partition_subalgoE8ElNS0_10empty_typeEbEEZZNS1_14partition_implILS5_8ELb0ES3_jPKlPS6_PKS6_NS0_5tupleIJPlS6_EEENSE_IJSB_SB_EEENS0_18inequality_wrapperIN6hipcub16HIPCUB_304000_NS8EqualityEEESF_JS6_EEE10hipError_tPvRmT3_T4_T5_T6_T7_T9_mT8_P12ihipStream_tbDpT10_ENKUlT_T0_E_clISt17integral_constantIbLb1EES16_EEDaS11_S12_EUlS11_E_NS1_11comp_targetILNS1_3genE3ELNS1_11target_archE908ELNS1_3gpuE7ELNS1_3repE0EEENS1_30default_config_static_selectorELNS0_4arch9wavefront6targetE0EEEvT1_,"axG",@progbits,_ZN7rocprim17ROCPRIM_400000_NS6detail17trampoline_kernelINS0_14default_configENS1_25partition_config_selectorILNS1_17partition_subalgoE8ElNS0_10empty_typeEbEEZZNS1_14partition_implILS5_8ELb0ES3_jPKlPS6_PKS6_NS0_5tupleIJPlS6_EEENSE_IJSB_SB_EEENS0_18inequality_wrapperIN6hipcub16HIPCUB_304000_NS8EqualityEEESF_JS6_EEE10hipError_tPvRmT3_T4_T5_T6_T7_T9_mT8_P12ihipStream_tbDpT10_ENKUlT_T0_E_clISt17integral_constantIbLb1EES16_EEDaS11_S12_EUlS11_E_NS1_11comp_targetILNS1_3genE3ELNS1_11target_archE908ELNS1_3gpuE7ELNS1_3repE0EEENS1_30default_config_static_selectorELNS0_4arch9wavefront6targetE0EEEvT1_,comdat
.Lfunc_end237:
	.size	_ZN7rocprim17ROCPRIM_400000_NS6detail17trampoline_kernelINS0_14default_configENS1_25partition_config_selectorILNS1_17partition_subalgoE8ElNS0_10empty_typeEbEEZZNS1_14partition_implILS5_8ELb0ES3_jPKlPS6_PKS6_NS0_5tupleIJPlS6_EEENSE_IJSB_SB_EEENS0_18inequality_wrapperIN6hipcub16HIPCUB_304000_NS8EqualityEEESF_JS6_EEE10hipError_tPvRmT3_T4_T5_T6_T7_T9_mT8_P12ihipStream_tbDpT10_ENKUlT_T0_E_clISt17integral_constantIbLb1EES16_EEDaS11_S12_EUlS11_E_NS1_11comp_targetILNS1_3genE3ELNS1_11target_archE908ELNS1_3gpuE7ELNS1_3repE0EEENS1_30default_config_static_selectorELNS0_4arch9wavefront6targetE0EEEvT1_, .Lfunc_end237-_ZN7rocprim17ROCPRIM_400000_NS6detail17trampoline_kernelINS0_14default_configENS1_25partition_config_selectorILNS1_17partition_subalgoE8ElNS0_10empty_typeEbEEZZNS1_14partition_implILS5_8ELb0ES3_jPKlPS6_PKS6_NS0_5tupleIJPlS6_EEENSE_IJSB_SB_EEENS0_18inequality_wrapperIN6hipcub16HIPCUB_304000_NS8EqualityEEESF_JS6_EEE10hipError_tPvRmT3_T4_T5_T6_T7_T9_mT8_P12ihipStream_tbDpT10_ENKUlT_T0_E_clISt17integral_constantIbLb1EES16_EEDaS11_S12_EUlS11_E_NS1_11comp_targetILNS1_3genE3ELNS1_11target_archE908ELNS1_3gpuE7ELNS1_3repE0EEENS1_30default_config_static_selectorELNS0_4arch9wavefront6targetE0EEEvT1_
                                        ; -- End function
	.set _ZN7rocprim17ROCPRIM_400000_NS6detail17trampoline_kernelINS0_14default_configENS1_25partition_config_selectorILNS1_17partition_subalgoE8ElNS0_10empty_typeEbEEZZNS1_14partition_implILS5_8ELb0ES3_jPKlPS6_PKS6_NS0_5tupleIJPlS6_EEENSE_IJSB_SB_EEENS0_18inequality_wrapperIN6hipcub16HIPCUB_304000_NS8EqualityEEESF_JS6_EEE10hipError_tPvRmT3_T4_T5_T6_T7_T9_mT8_P12ihipStream_tbDpT10_ENKUlT_T0_E_clISt17integral_constantIbLb1EES16_EEDaS11_S12_EUlS11_E_NS1_11comp_targetILNS1_3genE3ELNS1_11target_archE908ELNS1_3gpuE7ELNS1_3repE0EEENS1_30default_config_static_selectorELNS0_4arch9wavefront6targetE0EEEvT1_.num_vgpr, 0
	.set _ZN7rocprim17ROCPRIM_400000_NS6detail17trampoline_kernelINS0_14default_configENS1_25partition_config_selectorILNS1_17partition_subalgoE8ElNS0_10empty_typeEbEEZZNS1_14partition_implILS5_8ELb0ES3_jPKlPS6_PKS6_NS0_5tupleIJPlS6_EEENSE_IJSB_SB_EEENS0_18inequality_wrapperIN6hipcub16HIPCUB_304000_NS8EqualityEEESF_JS6_EEE10hipError_tPvRmT3_T4_T5_T6_T7_T9_mT8_P12ihipStream_tbDpT10_ENKUlT_T0_E_clISt17integral_constantIbLb1EES16_EEDaS11_S12_EUlS11_E_NS1_11comp_targetILNS1_3genE3ELNS1_11target_archE908ELNS1_3gpuE7ELNS1_3repE0EEENS1_30default_config_static_selectorELNS0_4arch9wavefront6targetE0EEEvT1_.num_agpr, 0
	.set _ZN7rocprim17ROCPRIM_400000_NS6detail17trampoline_kernelINS0_14default_configENS1_25partition_config_selectorILNS1_17partition_subalgoE8ElNS0_10empty_typeEbEEZZNS1_14partition_implILS5_8ELb0ES3_jPKlPS6_PKS6_NS0_5tupleIJPlS6_EEENSE_IJSB_SB_EEENS0_18inequality_wrapperIN6hipcub16HIPCUB_304000_NS8EqualityEEESF_JS6_EEE10hipError_tPvRmT3_T4_T5_T6_T7_T9_mT8_P12ihipStream_tbDpT10_ENKUlT_T0_E_clISt17integral_constantIbLb1EES16_EEDaS11_S12_EUlS11_E_NS1_11comp_targetILNS1_3genE3ELNS1_11target_archE908ELNS1_3gpuE7ELNS1_3repE0EEENS1_30default_config_static_selectorELNS0_4arch9wavefront6targetE0EEEvT1_.numbered_sgpr, 0
	.set _ZN7rocprim17ROCPRIM_400000_NS6detail17trampoline_kernelINS0_14default_configENS1_25partition_config_selectorILNS1_17partition_subalgoE8ElNS0_10empty_typeEbEEZZNS1_14partition_implILS5_8ELb0ES3_jPKlPS6_PKS6_NS0_5tupleIJPlS6_EEENSE_IJSB_SB_EEENS0_18inequality_wrapperIN6hipcub16HIPCUB_304000_NS8EqualityEEESF_JS6_EEE10hipError_tPvRmT3_T4_T5_T6_T7_T9_mT8_P12ihipStream_tbDpT10_ENKUlT_T0_E_clISt17integral_constantIbLb1EES16_EEDaS11_S12_EUlS11_E_NS1_11comp_targetILNS1_3genE3ELNS1_11target_archE908ELNS1_3gpuE7ELNS1_3repE0EEENS1_30default_config_static_selectorELNS0_4arch9wavefront6targetE0EEEvT1_.num_named_barrier, 0
	.set _ZN7rocprim17ROCPRIM_400000_NS6detail17trampoline_kernelINS0_14default_configENS1_25partition_config_selectorILNS1_17partition_subalgoE8ElNS0_10empty_typeEbEEZZNS1_14partition_implILS5_8ELb0ES3_jPKlPS6_PKS6_NS0_5tupleIJPlS6_EEENSE_IJSB_SB_EEENS0_18inequality_wrapperIN6hipcub16HIPCUB_304000_NS8EqualityEEESF_JS6_EEE10hipError_tPvRmT3_T4_T5_T6_T7_T9_mT8_P12ihipStream_tbDpT10_ENKUlT_T0_E_clISt17integral_constantIbLb1EES16_EEDaS11_S12_EUlS11_E_NS1_11comp_targetILNS1_3genE3ELNS1_11target_archE908ELNS1_3gpuE7ELNS1_3repE0EEENS1_30default_config_static_selectorELNS0_4arch9wavefront6targetE0EEEvT1_.private_seg_size, 0
	.set _ZN7rocprim17ROCPRIM_400000_NS6detail17trampoline_kernelINS0_14default_configENS1_25partition_config_selectorILNS1_17partition_subalgoE8ElNS0_10empty_typeEbEEZZNS1_14partition_implILS5_8ELb0ES3_jPKlPS6_PKS6_NS0_5tupleIJPlS6_EEENSE_IJSB_SB_EEENS0_18inequality_wrapperIN6hipcub16HIPCUB_304000_NS8EqualityEEESF_JS6_EEE10hipError_tPvRmT3_T4_T5_T6_T7_T9_mT8_P12ihipStream_tbDpT10_ENKUlT_T0_E_clISt17integral_constantIbLb1EES16_EEDaS11_S12_EUlS11_E_NS1_11comp_targetILNS1_3genE3ELNS1_11target_archE908ELNS1_3gpuE7ELNS1_3repE0EEENS1_30default_config_static_selectorELNS0_4arch9wavefront6targetE0EEEvT1_.uses_vcc, 0
	.set _ZN7rocprim17ROCPRIM_400000_NS6detail17trampoline_kernelINS0_14default_configENS1_25partition_config_selectorILNS1_17partition_subalgoE8ElNS0_10empty_typeEbEEZZNS1_14partition_implILS5_8ELb0ES3_jPKlPS6_PKS6_NS0_5tupleIJPlS6_EEENSE_IJSB_SB_EEENS0_18inequality_wrapperIN6hipcub16HIPCUB_304000_NS8EqualityEEESF_JS6_EEE10hipError_tPvRmT3_T4_T5_T6_T7_T9_mT8_P12ihipStream_tbDpT10_ENKUlT_T0_E_clISt17integral_constantIbLb1EES16_EEDaS11_S12_EUlS11_E_NS1_11comp_targetILNS1_3genE3ELNS1_11target_archE908ELNS1_3gpuE7ELNS1_3repE0EEENS1_30default_config_static_selectorELNS0_4arch9wavefront6targetE0EEEvT1_.uses_flat_scratch, 0
	.set _ZN7rocprim17ROCPRIM_400000_NS6detail17trampoline_kernelINS0_14default_configENS1_25partition_config_selectorILNS1_17partition_subalgoE8ElNS0_10empty_typeEbEEZZNS1_14partition_implILS5_8ELb0ES3_jPKlPS6_PKS6_NS0_5tupleIJPlS6_EEENSE_IJSB_SB_EEENS0_18inequality_wrapperIN6hipcub16HIPCUB_304000_NS8EqualityEEESF_JS6_EEE10hipError_tPvRmT3_T4_T5_T6_T7_T9_mT8_P12ihipStream_tbDpT10_ENKUlT_T0_E_clISt17integral_constantIbLb1EES16_EEDaS11_S12_EUlS11_E_NS1_11comp_targetILNS1_3genE3ELNS1_11target_archE908ELNS1_3gpuE7ELNS1_3repE0EEENS1_30default_config_static_selectorELNS0_4arch9wavefront6targetE0EEEvT1_.has_dyn_sized_stack, 0
	.set _ZN7rocprim17ROCPRIM_400000_NS6detail17trampoline_kernelINS0_14default_configENS1_25partition_config_selectorILNS1_17partition_subalgoE8ElNS0_10empty_typeEbEEZZNS1_14partition_implILS5_8ELb0ES3_jPKlPS6_PKS6_NS0_5tupleIJPlS6_EEENSE_IJSB_SB_EEENS0_18inequality_wrapperIN6hipcub16HIPCUB_304000_NS8EqualityEEESF_JS6_EEE10hipError_tPvRmT3_T4_T5_T6_T7_T9_mT8_P12ihipStream_tbDpT10_ENKUlT_T0_E_clISt17integral_constantIbLb1EES16_EEDaS11_S12_EUlS11_E_NS1_11comp_targetILNS1_3genE3ELNS1_11target_archE908ELNS1_3gpuE7ELNS1_3repE0EEENS1_30default_config_static_selectorELNS0_4arch9wavefront6targetE0EEEvT1_.has_recursion, 0
	.set _ZN7rocprim17ROCPRIM_400000_NS6detail17trampoline_kernelINS0_14default_configENS1_25partition_config_selectorILNS1_17partition_subalgoE8ElNS0_10empty_typeEbEEZZNS1_14partition_implILS5_8ELb0ES3_jPKlPS6_PKS6_NS0_5tupleIJPlS6_EEENSE_IJSB_SB_EEENS0_18inequality_wrapperIN6hipcub16HIPCUB_304000_NS8EqualityEEESF_JS6_EEE10hipError_tPvRmT3_T4_T5_T6_T7_T9_mT8_P12ihipStream_tbDpT10_ENKUlT_T0_E_clISt17integral_constantIbLb1EES16_EEDaS11_S12_EUlS11_E_NS1_11comp_targetILNS1_3genE3ELNS1_11target_archE908ELNS1_3gpuE7ELNS1_3repE0EEENS1_30default_config_static_selectorELNS0_4arch9wavefront6targetE0EEEvT1_.has_indirect_call, 0
	.section	.AMDGPU.csdata,"",@progbits
; Kernel info:
; codeLenInByte = 0
; TotalNumSgprs: 0
; NumVgprs: 0
; ScratchSize: 0
; MemoryBound: 0
; FloatMode: 240
; IeeeMode: 1
; LDSByteSize: 0 bytes/workgroup (compile time only)
; SGPRBlocks: 0
; VGPRBlocks: 0
; NumSGPRsForWavesPerEU: 1
; NumVGPRsForWavesPerEU: 1
; NamedBarCnt: 0
; Occupancy: 16
; WaveLimiterHint : 0
; COMPUTE_PGM_RSRC2:SCRATCH_EN: 0
; COMPUTE_PGM_RSRC2:USER_SGPR: 2
; COMPUTE_PGM_RSRC2:TRAP_HANDLER: 0
; COMPUTE_PGM_RSRC2:TGID_X_EN: 1
; COMPUTE_PGM_RSRC2:TGID_Y_EN: 0
; COMPUTE_PGM_RSRC2:TGID_Z_EN: 0
; COMPUTE_PGM_RSRC2:TIDIG_COMP_CNT: 0
	.section	.text._ZN7rocprim17ROCPRIM_400000_NS6detail17trampoline_kernelINS0_14default_configENS1_25partition_config_selectorILNS1_17partition_subalgoE8ElNS0_10empty_typeEbEEZZNS1_14partition_implILS5_8ELb0ES3_jPKlPS6_PKS6_NS0_5tupleIJPlS6_EEENSE_IJSB_SB_EEENS0_18inequality_wrapperIN6hipcub16HIPCUB_304000_NS8EqualityEEESF_JS6_EEE10hipError_tPvRmT3_T4_T5_T6_T7_T9_mT8_P12ihipStream_tbDpT10_ENKUlT_T0_E_clISt17integral_constantIbLb1EES16_EEDaS11_S12_EUlS11_E_NS1_11comp_targetILNS1_3genE2ELNS1_11target_archE906ELNS1_3gpuE6ELNS1_3repE0EEENS1_30default_config_static_selectorELNS0_4arch9wavefront6targetE0EEEvT1_,"axG",@progbits,_ZN7rocprim17ROCPRIM_400000_NS6detail17trampoline_kernelINS0_14default_configENS1_25partition_config_selectorILNS1_17partition_subalgoE8ElNS0_10empty_typeEbEEZZNS1_14partition_implILS5_8ELb0ES3_jPKlPS6_PKS6_NS0_5tupleIJPlS6_EEENSE_IJSB_SB_EEENS0_18inequality_wrapperIN6hipcub16HIPCUB_304000_NS8EqualityEEESF_JS6_EEE10hipError_tPvRmT3_T4_T5_T6_T7_T9_mT8_P12ihipStream_tbDpT10_ENKUlT_T0_E_clISt17integral_constantIbLb1EES16_EEDaS11_S12_EUlS11_E_NS1_11comp_targetILNS1_3genE2ELNS1_11target_archE906ELNS1_3gpuE6ELNS1_3repE0EEENS1_30default_config_static_selectorELNS0_4arch9wavefront6targetE0EEEvT1_,comdat
	.protected	_ZN7rocprim17ROCPRIM_400000_NS6detail17trampoline_kernelINS0_14default_configENS1_25partition_config_selectorILNS1_17partition_subalgoE8ElNS0_10empty_typeEbEEZZNS1_14partition_implILS5_8ELb0ES3_jPKlPS6_PKS6_NS0_5tupleIJPlS6_EEENSE_IJSB_SB_EEENS0_18inequality_wrapperIN6hipcub16HIPCUB_304000_NS8EqualityEEESF_JS6_EEE10hipError_tPvRmT3_T4_T5_T6_T7_T9_mT8_P12ihipStream_tbDpT10_ENKUlT_T0_E_clISt17integral_constantIbLb1EES16_EEDaS11_S12_EUlS11_E_NS1_11comp_targetILNS1_3genE2ELNS1_11target_archE906ELNS1_3gpuE6ELNS1_3repE0EEENS1_30default_config_static_selectorELNS0_4arch9wavefront6targetE0EEEvT1_ ; -- Begin function _ZN7rocprim17ROCPRIM_400000_NS6detail17trampoline_kernelINS0_14default_configENS1_25partition_config_selectorILNS1_17partition_subalgoE8ElNS0_10empty_typeEbEEZZNS1_14partition_implILS5_8ELb0ES3_jPKlPS6_PKS6_NS0_5tupleIJPlS6_EEENSE_IJSB_SB_EEENS0_18inequality_wrapperIN6hipcub16HIPCUB_304000_NS8EqualityEEESF_JS6_EEE10hipError_tPvRmT3_T4_T5_T6_T7_T9_mT8_P12ihipStream_tbDpT10_ENKUlT_T0_E_clISt17integral_constantIbLb1EES16_EEDaS11_S12_EUlS11_E_NS1_11comp_targetILNS1_3genE2ELNS1_11target_archE906ELNS1_3gpuE6ELNS1_3repE0EEENS1_30default_config_static_selectorELNS0_4arch9wavefront6targetE0EEEvT1_
	.globl	_ZN7rocprim17ROCPRIM_400000_NS6detail17trampoline_kernelINS0_14default_configENS1_25partition_config_selectorILNS1_17partition_subalgoE8ElNS0_10empty_typeEbEEZZNS1_14partition_implILS5_8ELb0ES3_jPKlPS6_PKS6_NS0_5tupleIJPlS6_EEENSE_IJSB_SB_EEENS0_18inequality_wrapperIN6hipcub16HIPCUB_304000_NS8EqualityEEESF_JS6_EEE10hipError_tPvRmT3_T4_T5_T6_T7_T9_mT8_P12ihipStream_tbDpT10_ENKUlT_T0_E_clISt17integral_constantIbLb1EES16_EEDaS11_S12_EUlS11_E_NS1_11comp_targetILNS1_3genE2ELNS1_11target_archE906ELNS1_3gpuE6ELNS1_3repE0EEENS1_30default_config_static_selectorELNS0_4arch9wavefront6targetE0EEEvT1_
	.p2align	8
	.type	_ZN7rocprim17ROCPRIM_400000_NS6detail17trampoline_kernelINS0_14default_configENS1_25partition_config_selectorILNS1_17partition_subalgoE8ElNS0_10empty_typeEbEEZZNS1_14partition_implILS5_8ELb0ES3_jPKlPS6_PKS6_NS0_5tupleIJPlS6_EEENSE_IJSB_SB_EEENS0_18inequality_wrapperIN6hipcub16HIPCUB_304000_NS8EqualityEEESF_JS6_EEE10hipError_tPvRmT3_T4_T5_T6_T7_T9_mT8_P12ihipStream_tbDpT10_ENKUlT_T0_E_clISt17integral_constantIbLb1EES16_EEDaS11_S12_EUlS11_E_NS1_11comp_targetILNS1_3genE2ELNS1_11target_archE906ELNS1_3gpuE6ELNS1_3repE0EEENS1_30default_config_static_selectorELNS0_4arch9wavefront6targetE0EEEvT1_,@function
_ZN7rocprim17ROCPRIM_400000_NS6detail17trampoline_kernelINS0_14default_configENS1_25partition_config_selectorILNS1_17partition_subalgoE8ElNS0_10empty_typeEbEEZZNS1_14partition_implILS5_8ELb0ES3_jPKlPS6_PKS6_NS0_5tupleIJPlS6_EEENSE_IJSB_SB_EEENS0_18inequality_wrapperIN6hipcub16HIPCUB_304000_NS8EqualityEEESF_JS6_EEE10hipError_tPvRmT3_T4_T5_T6_T7_T9_mT8_P12ihipStream_tbDpT10_ENKUlT_T0_E_clISt17integral_constantIbLb1EES16_EEDaS11_S12_EUlS11_E_NS1_11comp_targetILNS1_3genE2ELNS1_11target_archE906ELNS1_3gpuE6ELNS1_3repE0EEENS1_30default_config_static_selectorELNS0_4arch9wavefront6targetE0EEEvT1_: ; @_ZN7rocprim17ROCPRIM_400000_NS6detail17trampoline_kernelINS0_14default_configENS1_25partition_config_selectorILNS1_17partition_subalgoE8ElNS0_10empty_typeEbEEZZNS1_14partition_implILS5_8ELb0ES3_jPKlPS6_PKS6_NS0_5tupleIJPlS6_EEENSE_IJSB_SB_EEENS0_18inequality_wrapperIN6hipcub16HIPCUB_304000_NS8EqualityEEESF_JS6_EEE10hipError_tPvRmT3_T4_T5_T6_T7_T9_mT8_P12ihipStream_tbDpT10_ENKUlT_T0_E_clISt17integral_constantIbLb1EES16_EEDaS11_S12_EUlS11_E_NS1_11comp_targetILNS1_3genE2ELNS1_11target_archE906ELNS1_3gpuE6ELNS1_3repE0EEENS1_30default_config_static_selectorELNS0_4arch9wavefront6targetE0EEEvT1_
; %bb.0:
	.section	.rodata,"a",@progbits
	.p2align	6, 0x0
	.amdhsa_kernel _ZN7rocprim17ROCPRIM_400000_NS6detail17trampoline_kernelINS0_14default_configENS1_25partition_config_selectorILNS1_17partition_subalgoE8ElNS0_10empty_typeEbEEZZNS1_14partition_implILS5_8ELb0ES3_jPKlPS6_PKS6_NS0_5tupleIJPlS6_EEENSE_IJSB_SB_EEENS0_18inequality_wrapperIN6hipcub16HIPCUB_304000_NS8EqualityEEESF_JS6_EEE10hipError_tPvRmT3_T4_T5_T6_T7_T9_mT8_P12ihipStream_tbDpT10_ENKUlT_T0_E_clISt17integral_constantIbLb1EES16_EEDaS11_S12_EUlS11_E_NS1_11comp_targetILNS1_3genE2ELNS1_11target_archE906ELNS1_3gpuE6ELNS1_3repE0EEENS1_30default_config_static_selectorELNS0_4arch9wavefront6targetE0EEEvT1_
		.amdhsa_group_segment_fixed_size 0
		.amdhsa_private_segment_fixed_size 0
		.amdhsa_kernarg_size 128
		.amdhsa_user_sgpr_count 2
		.amdhsa_user_sgpr_dispatch_ptr 0
		.amdhsa_user_sgpr_queue_ptr 0
		.amdhsa_user_sgpr_kernarg_segment_ptr 1
		.amdhsa_user_sgpr_dispatch_id 0
		.amdhsa_user_sgpr_kernarg_preload_length 0
		.amdhsa_user_sgpr_kernarg_preload_offset 0
		.amdhsa_user_sgpr_private_segment_size 0
		.amdhsa_wavefront_size32 1
		.amdhsa_uses_dynamic_stack 0
		.amdhsa_enable_private_segment 0
		.amdhsa_system_sgpr_workgroup_id_x 1
		.amdhsa_system_sgpr_workgroup_id_y 0
		.amdhsa_system_sgpr_workgroup_id_z 0
		.amdhsa_system_sgpr_workgroup_info 0
		.amdhsa_system_vgpr_workitem_id 0
		.amdhsa_next_free_vgpr 1
		.amdhsa_next_free_sgpr 1
		.amdhsa_named_barrier_count 0
		.amdhsa_reserve_vcc 0
		.amdhsa_float_round_mode_32 0
		.amdhsa_float_round_mode_16_64 0
		.amdhsa_float_denorm_mode_32 3
		.amdhsa_float_denorm_mode_16_64 3
		.amdhsa_fp16_overflow 0
		.amdhsa_memory_ordered 1
		.amdhsa_forward_progress 1
		.amdhsa_inst_pref_size 0
		.amdhsa_round_robin_scheduling 0
		.amdhsa_exception_fp_ieee_invalid_op 0
		.amdhsa_exception_fp_denorm_src 0
		.amdhsa_exception_fp_ieee_div_zero 0
		.amdhsa_exception_fp_ieee_overflow 0
		.amdhsa_exception_fp_ieee_underflow 0
		.amdhsa_exception_fp_ieee_inexact 0
		.amdhsa_exception_int_div_zero 0
	.end_amdhsa_kernel
	.section	.text._ZN7rocprim17ROCPRIM_400000_NS6detail17trampoline_kernelINS0_14default_configENS1_25partition_config_selectorILNS1_17partition_subalgoE8ElNS0_10empty_typeEbEEZZNS1_14partition_implILS5_8ELb0ES3_jPKlPS6_PKS6_NS0_5tupleIJPlS6_EEENSE_IJSB_SB_EEENS0_18inequality_wrapperIN6hipcub16HIPCUB_304000_NS8EqualityEEESF_JS6_EEE10hipError_tPvRmT3_T4_T5_T6_T7_T9_mT8_P12ihipStream_tbDpT10_ENKUlT_T0_E_clISt17integral_constantIbLb1EES16_EEDaS11_S12_EUlS11_E_NS1_11comp_targetILNS1_3genE2ELNS1_11target_archE906ELNS1_3gpuE6ELNS1_3repE0EEENS1_30default_config_static_selectorELNS0_4arch9wavefront6targetE0EEEvT1_,"axG",@progbits,_ZN7rocprim17ROCPRIM_400000_NS6detail17trampoline_kernelINS0_14default_configENS1_25partition_config_selectorILNS1_17partition_subalgoE8ElNS0_10empty_typeEbEEZZNS1_14partition_implILS5_8ELb0ES3_jPKlPS6_PKS6_NS0_5tupleIJPlS6_EEENSE_IJSB_SB_EEENS0_18inequality_wrapperIN6hipcub16HIPCUB_304000_NS8EqualityEEESF_JS6_EEE10hipError_tPvRmT3_T4_T5_T6_T7_T9_mT8_P12ihipStream_tbDpT10_ENKUlT_T0_E_clISt17integral_constantIbLb1EES16_EEDaS11_S12_EUlS11_E_NS1_11comp_targetILNS1_3genE2ELNS1_11target_archE906ELNS1_3gpuE6ELNS1_3repE0EEENS1_30default_config_static_selectorELNS0_4arch9wavefront6targetE0EEEvT1_,comdat
.Lfunc_end238:
	.size	_ZN7rocprim17ROCPRIM_400000_NS6detail17trampoline_kernelINS0_14default_configENS1_25partition_config_selectorILNS1_17partition_subalgoE8ElNS0_10empty_typeEbEEZZNS1_14partition_implILS5_8ELb0ES3_jPKlPS6_PKS6_NS0_5tupleIJPlS6_EEENSE_IJSB_SB_EEENS0_18inequality_wrapperIN6hipcub16HIPCUB_304000_NS8EqualityEEESF_JS6_EEE10hipError_tPvRmT3_T4_T5_T6_T7_T9_mT8_P12ihipStream_tbDpT10_ENKUlT_T0_E_clISt17integral_constantIbLb1EES16_EEDaS11_S12_EUlS11_E_NS1_11comp_targetILNS1_3genE2ELNS1_11target_archE906ELNS1_3gpuE6ELNS1_3repE0EEENS1_30default_config_static_selectorELNS0_4arch9wavefront6targetE0EEEvT1_, .Lfunc_end238-_ZN7rocprim17ROCPRIM_400000_NS6detail17trampoline_kernelINS0_14default_configENS1_25partition_config_selectorILNS1_17partition_subalgoE8ElNS0_10empty_typeEbEEZZNS1_14partition_implILS5_8ELb0ES3_jPKlPS6_PKS6_NS0_5tupleIJPlS6_EEENSE_IJSB_SB_EEENS0_18inequality_wrapperIN6hipcub16HIPCUB_304000_NS8EqualityEEESF_JS6_EEE10hipError_tPvRmT3_T4_T5_T6_T7_T9_mT8_P12ihipStream_tbDpT10_ENKUlT_T0_E_clISt17integral_constantIbLb1EES16_EEDaS11_S12_EUlS11_E_NS1_11comp_targetILNS1_3genE2ELNS1_11target_archE906ELNS1_3gpuE6ELNS1_3repE0EEENS1_30default_config_static_selectorELNS0_4arch9wavefront6targetE0EEEvT1_
                                        ; -- End function
	.set _ZN7rocprim17ROCPRIM_400000_NS6detail17trampoline_kernelINS0_14default_configENS1_25partition_config_selectorILNS1_17partition_subalgoE8ElNS0_10empty_typeEbEEZZNS1_14partition_implILS5_8ELb0ES3_jPKlPS6_PKS6_NS0_5tupleIJPlS6_EEENSE_IJSB_SB_EEENS0_18inequality_wrapperIN6hipcub16HIPCUB_304000_NS8EqualityEEESF_JS6_EEE10hipError_tPvRmT3_T4_T5_T6_T7_T9_mT8_P12ihipStream_tbDpT10_ENKUlT_T0_E_clISt17integral_constantIbLb1EES16_EEDaS11_S12_EUlS11_E_NS1_11comp_targetILNS1_3genE2ELNS1_11target_archE906ELNS1_3gpuE6ELNS1_3repE0EEENS1_30default_config_static_selectorELNS0_4arch9wavefront6targetE0EEEvT1_.num_vgpr, 0
	.set _ZN7rocprim17ROCPRIM_400000_NS6detail17trampoline_kernelINS0_14default_configENS1_25partition_config_selectorILNS1_17partition_subalgoE8ElNS0_10empty_typeEbEEZZNS1_14partition_implILS5_8ELb0ES3_jPKlPS6_PKS6_NS0_5tupleIJPlS6_EEENSE_IJSB_SB_EEENS0_18inequality_wrapperIN6hipcub16HIPCUB_304000_NS8EqualityEEESF_JS6_EEE10hipError_tPvRmT3_T4_T5_T6_T7_T9_mT8_P12ihipStream_tbDpT10_ENKUlT_T0_E_clISt17integral_constantIbLb1EES16_EEDaS11_S12_EUlS11_E_NS1_11comp_targetILNS1_3genE2ELNS1_11target_archE906ELNS1_3gpuE6ELNS1_3repE0EEENS1_30default_config_static_selectorELNS0_4arch9wavefront6targetE0EEEvT1_.num_agpr, 0
	.set _ZN7rocprim17ROCPRIM_400000_NS6detail17trampoline_kernelINS0_14default_configENS1_25partition_config_selectorILNS1_17partition_subalgoE8ElNS0_10empty_typeEbEEZZNS1_14partition_implILS5_8ELb0ES3_jPKlPS6_PKS6_NS0_5tupleIJPlS6_EEENSE_IJSB_SB_EEENS0_18inequality_wrapperIN6hipcub16HIPCUB_304000_NS8EqualityEEESF_JS6_EEE10hipError_tPvRmT3_T4_T5_T6_T7_T9_mT8_P12ihipStream_tbDpT10_ENKUlT_T0_E_clISt17integral_constantIbLb1EES16_EEDaS11_S12_EUlS11_E_NS1_11comp_targetILNS1_3genE2ELNS1_11target_archE906ELNS1_3gpuE6ELNS1_3repE0EEENS1_30default_config_static_selectorELNS0_4arch9wavefront6targetE0EEEvT1_.numbered_sgpr, 0
	.set _ZN7rocprim17ROCPRIM_400000_NS6detail17trampoline_kernelINS0_14default_configENS1_25partition_config_selectorILNS1_17partition_subalgoE8ElNS0_10empty_typeEbEEZZNS1_14partition_implILS5_8ELb0ES3_jPKlPS6_PKS6_NS0_5tupleIJPlS6_EEENSE_IJSB_SB_EEENS0_18inequality_wrapperIN6hipcub16HIPCUB_304000_NS8EqualityEEESF_JS6_EEE10hipError_tPvRmT3_T4_T5_T6_T7_T9_mT8_P12ihipStream_tbDpT10_ENKUlT_T0_E_clISt17integral_constantIbLb1EES16_EEDaS11_S12_EUlS11_E_NS1_11comp_targetILNS1_3genE2ELNS1_11target_archE906ELNS1_3gpuE6ELNS1_3repE0EEENS1_30default_config_static_selectorELNS0_4arch9wavefront6targetE0EEEvT1_.num_named_barrier, 0
	.set _ZN7rocprim17ROCPRIM_400000_NS6detail17trampoline_kernelINS0_14default_configENS1_25partition_config_selectorILNS1_17partition_subalgoE8ElNS0_10empty_typeEbEEZZNS1_14partition_implILS5_8ELb0ES3_jPKlPS6_PKS6_NS0_5tupleIJPlS6_EEENSE_IJSB_SB_EEENS0_18inequality_wrapperIN6hipcub16HIPCUB_304000_NS8EqualityEEESF_JS6_EEE10hipError_tPvRmT3_T4_T5_T6_T7_T9_mT8_P12ihipStream_tbDpT10_ENKUlT_T0_E_clISt17integral_constantIbLb1EES16_EEDaS11_S12_EUlS11_E_NS1_11comp_targetILNS1_3genE2ELNS1_11target_archE906ELNS1_3gpuE6ELNS1_3repE0EEENS1_30default_config_static_selectorELNS0_4arch9wavefront6targetE0EEEvT1_.private_seg_size, 0
	.set _ZN7rocprim17ROCPRIM_400000_NS6detail17trampoline_kernelINS0_14default_configENS1_25partition_config_selectorILNS1_17partition_subalgoE8ElNS0_10empty_typeEbEEZZNS1_14partition_implILS5_8ELb0ES3_jPKlPS6_PKS6_NS0_5tupleIJPlS6_EEENSE_IJSB_SB_EEENS0_18inequality_wrapperIN6hipcub16HIPCUB_304000_NS8EqualityEEESF_JS6_EEE10hipError_tPvRmT3_T4_T5_T6_T7_T9_mT8_P12ihipStream_tbDpT10_ENKUlT_T0_E_clISt17integral_constantIbLb1EES16_EEDaS11_S12_EUlS11_E_NS1_11comp_targetILNS1_3genE2ELNS1_11target_archE906ELNS1_3gpuE6ELNS1_3repE0EEENS1_30default_config_static_selectorELNS0_4arch9wavefront6targetE0EEEvT1_.uses_vcc, 0
	.set _ZN7rocprim17ROCPRIM_400000_NS6detail17trampoline_kernelINS0_14default_configENS1_25partition_config_selectorILNS1_17partition_subalgoE8ElNS0_10empty_typeEbEEZZNS1_14partition_implILS5_8ELb0ES3_jPKlPS6_PKS6_NS0_5tupleIJPlS6_EEENSE_IJSB_SB_EEENS0_18inequality_wrapperIN6hipcub16HIPCUB_304000_NS8EqualityEEESF_JS6_EEE10hipError_tPvRmT3_T4_T5_T6_T7_T9_mT8_P12ihipStream_tbDpT10_ENKUlT_T0_E_clISt17integral_constantIbLb1EES16_EEDaS11_S12_EUlS11_E_NS1_11comp_targetILNS1_3genE2ELNS1_11target_archE906ELNS1_3gpuE6ELNS1_3repE0EEENS1_30default_config_static_selectorELNS0_4arch9wavefront6targetE0EEEvT1_.uses_flat_scratch, 0
	.set _ZN7rocprim17ROCPRIM_400000_NS6detail17trampoline_kernelINS0_14default_configENS1_25partition_config_selectorILNS1_17partition_subalgoE8ElNS0_10empty_typeEbEEZZNS1_14partition_implILS5_8ELb0ES3_jPKlPS6_PKS6_NS0_5tupleIJPlS6_EEENSE_IJSB_SB_EEENS0_18inequality_wrapperIN6hipcub16HIPCUB_304000_NS8EqualityEEESF_JS6_EEE10hipError_tPvRmT3_T4_T5_T6_T7_T9_mT8_P12ihipStream_tbDpT10_ENKUlT_T0_E_clISt17integral_constantIbLb1EES16_EEDaS11_S12_EUlS11_E_NS1_11comp_targetILNS1_3genE2ELNS1_11target_archE906ELNS1_3gpuE6ELNS1_3repE0EEENS1_30default_config_static_selectorELNS0_4arch9wavefront6targetE0EEEvT1_.has_dyn_sized_stack, 0
	.set _ZN7rocprim17ROCPRIM_400000_NS6detail17trampoline_kernelINS0_14default_configENS1_25partition_config_selectorILNS1_17partition_subalgoE8ElNS0_10empty_typeEbEEZZNS1_14partition_implILS5_8ELb0ES3_jPKlPS6_PKS6_NS0_5tupleIJPlS6_EEENSE_IJSB_SB_EEENS0_18inequality_wrapperIN6hipcub16HIPCUB_304000_NS8EqualityEEESF_JS6_EEE10hipError_tPvRmT3_T4_T5_T6_T7_T9_mT8_P12ihipStream_tbDpT10_ENKUlT_T0_E_clISt17integral_constantIbLb1EES16_EEDaS11_S12_EUlS11_E_NS1_11comp_targetILNS1_3genE2ELNS1_11target_archE906ELNS1_3gpuE6ELNS1_3repE0EEENS1_30default_config_static_selectorELNS0_4arch9wavefront6targetE0EEEvT1_.has_recursion, 0
	.set _ZN7rocprim17ROCPRIM_400000_NS6detail17trampoline_kernelINS0_14default_configENS1_25partition_config_selectorILNS1_17partition_subalgoE8ElNS0_10empty_typeEbEEZZNS1_14partition_implILS5_8ELb0ES3_jPKlPS6_PKS6_NS0_5tupleIJPlS6_EEENSE_IJSB_SB_EEENS0_18inequality_wrapperIN6hipcub16HIPCUB_304000_NS8EqualityEEESF_JS6_EEE10hipError_tPvRmT3_T4_T5_T6_T7_T9_mT8_P12ihipStream_tbDpT10_ENKUlT_T0_E_clISt17integral_constantIbLb1EES16_EEDaS11_S12_EUlS11_E_NS1_11comp_targetILNS1_3genE2ELNS1_11target_archE906ELNS1_3gpuE6ELNS1_3repE0EEENS1_30default_config_static_selectorELNS0_4arch9wavefront6targetE0EEEvT1_.has_indirect_call, 0
	.section	.AMDGPU.csdata,"",@progbits
; Kernel info:
; codeLenInByte = 0
; TotalNumSgprs: 0
; NumVgprs: 0
; ScratchSize: 0
; MemoryBound: 0
; FloatMode: 240
; IeeeMode: 1
; LDSByteSize: 0 bytes/workgroup (compile time only)
; SGPRBlocks: 0
; VGPRBlocks: 0
; NumSGPRsForWavesPerEU: 1
; NumVGPRsForWavesPerEU: 1
; NamedBarCnt: 0
; Occupancy: 16
; WaveLimiterHint : 0
; COMPUTE_PGM_RSRC2:SCRATCH_EN: 0
; COMPUTE_PGM_RSRC2:USER_SGPR: 2
; COMPUTE_PGM_RSRC2:TRAP_HANDLER: 0
; COMPUTE_PGM_RSRC2:TGID_X_EN: 1
; COMPUTE_PGM_RSRC2:TGID_Y_EN: 0
; COMPUTE_PGM_RSRC2:TGID_Z_EN: 0
; COMPUTE_PGM_RSRC2:TIDIG_COMP_CNT: 0
	.section	.text._ZN7rocprim17ROCPRIM_400000_NS6detail17trampoline_kernelINS0_14default_configENS1_25partition_config_selectorILNS1_17partition_subalgoE8ElNS0_10empty_typeEbEEZZNS1_14partition_implILS5_8ELb0ES3_jPKlPS6_PKS6_NS0_5tupleIJPlS6_EEENSE_IJSB_SB_EEENS0_18inequality_wrapperIN6hipcub16HIPCUB_304000_NS8EqualityEEESF_JS6_EEE10hipError_tPvRmT3_T4_T5_T6_T7_T9_mT8_P12ihipStream_tbDpT10_ENKUlT_T0_E_clISt17integral_constantIbLb1EES16_EEDaS11_S12_EUlS11_E_NS1_11comp_targetILNS1_3genE10ELNS1_11target_archE1200ELNS1_3gpuE4ELNS1_3repE0EEENS1_30default_config_static_selectorELNS0_4arch9wavefront6targetE0EEEvT1_,"axG",@progbits,_ZN7rocprim17ROCPRIM_400000_NS6detail17trampoline_kernelINS0_14default_configENS1_25partition_config_selectorILNS1_17partition_subalgoE8ElNS0_10empty_typeEbEEZZNS1_14partition_implILS5_8ELb0ES3_jPKlPS6_PKS6_NS0_5tupleIJPlS6_EEENSE_IJSB_SB_EEENS0_18inequality_wrapperIN6hipcub16HIPCUB_304000_NS8EqualityEEESF_JS6_EEE10hipError_tPvRmT3_T4_T5_T6_T7_T9_mT8_P12ihipStream_tbDpT10_ENKUlT_T0_E_clISt17integral_constantIbLb1EES16_EEDaS11_S12_EUlS11_E_NS1_11comp_targetILNS1_3genE10ELNS1_11target_archE1200ELNS1_3gpuE4ELNS1_3repE0EEENS1_30default_config_static_selectorELNS0_4arch9wavefront6targetE0EEEvT1_,comdat
	.protected	_ZN7rocprim17ROCPRIM_400000_NS6detail17trampoline_kernelINS0_14default_configENS1_25partition_config_selectorILNS1_17partition_subalgoE8ElNS0_10empty_typeEbEEZZNS1_14partition_implILS5_8ELb0ES3_jPKlPS6_PKS6_NS0_5tupleIJPlS6_EEENSE_IJSB_SB_EEENS0_18inequality_wrapperIN6hipcub16HIPCUB_304000_NS8EqualityEEESF_JS6_EEE10hipError_tPvRmT3_T4_T5_T6_T7_T9_mT8_P12ihipStream_tbDpT10_ENKUlT_T0_E_clISt17integral_constantIbLb1EES16_EEDaS11_S12_EUlS11_E_NS1_11comp_targetILNS1_3genE10ELNS1_11target_archE1200ELNS1_3gpuE4ELNS1_3repE0EEENS1_30default_config_static_selectorELNS0_4arch9wavefront6targetE0EEEvT1_ ; -- Begin function _ZN7rocprim17ROCPRIM_400000_NS6detail17trampoline_kernelINS0_14default_configENS1_25partition_config_selectorILNS1_17partition_subalgoE8ElNS0_10empty_typeEbEEZZNS1_14partition_implILS5_8ELb0ES3_jPKlPS6_PKS6_NS0_5tupleIJPlS6_EEENSE_IJSB_SB_EEENS0_18inequality_wrapperIN6hipcub16HIPCUB_304000_NS8EqualityEEESF_JS6_EEE10hipError_tPvRmT3_T4_T5_T6_T7_T9_mT8_P12ihipStream_tbDpT10_ENKUlT_T0_E_clISt17integral_constantIbLb1EES16_EEDaS11_S12_EUlS11_E_NS1_11comp_targetILNS1_3genE10ELNS1_11target_archE1200ELNS1_3gpuE4ELNS1_3repE0EEENS1_30default_config_static_selectorELNS0_4arch9wavefront6targetE0EEEvT1_
	.globl	_ZN7rocprim17ROCPRIM_400000_NS6detail17trampoline_kernelINS0_14default_configENS1_25partition_config_selectorILNS1_17partition_subalgoE8ElNS0_10empty_typeEbEEZZNS1_14partition_implILS5_8ELb0ES3_jPKlPS6_PKS6_NS0_5tupleIJPlS6_EEENSE_IJSB_SB_EEENS0_18inequality_wrapperIN6hipcub16HIPCUB_304000_NS8EqualityEEESF_JS6_EEE10hipError_tPvRmT3_T4_T5_T6_T7_T9_mT8_P12ihipStream_tbDpT10_ENKUlT_T0_E_clISt17integral_constantIbLb1EES16_EEDaS11_S12_EUlS11_E_NS1_11comp_targetILNS1_3genE10ELNS1_11target_archE1200ELNS1_3gpuE4ELNS1_3repE0EEENS1_30default_config_static_selectorELNS0_4arch9wavefront6targetE0EEEvT1_
	.p2align	8
	.type	_ZN7rocprim17ROCPRIM_400000_NS6detail17trampoline_kernelINS0_14default_configENS1_25partition_config_selectorILNS1_17partition_subalgoE8ElNS0_10empty_typeEbEEZZNS1_14partition_implILS5_8ELb0ES3_jPKlPS6_PKS6_NS0_5tupleIJPlS6_EEENSE_IJSB_SB_EEENS0_18inequality_wrapperIN6hipcub16HIPCUB_304000_NS8EqualityEEESF_JS6_EEE10hipError_tPvRmT3_T4_T5_T6_T7_T9_mT8_P12ihipStream_tbDpT10_ENKUlT_T0_E_clISt17integral_constantIbLb1EES16_EEDaS11_S12_EUlS11_E_NS1_11comp_targetILNS1_3genE10ELNS1_11target_archE1200ELNS1_3gpuE4ELNS1_3repE0EEENS1_30default_config_static_selectorELNS0_4arch9wavefront6targetE0EEEvT1_,@function
_ZN7rocprim17ROCPRIM_400000_NS6detail17trampoline_kernelINS0_14default_configENS1_25partition_config_selectorILNS1_17partition_subalgoE8ElNS0_10empty_typeEbEEZZNS1_14partition_implILS5_8ELb0ES3_jPKlPS6_PKS6_NS0_5tupleIJPlS6_EEENSE_IJSB_SB_EEENS0_18inequality_wrapperIN6hipcub16HIPCUB_304000_NS8EqualityEEESF_JS6_EEE10hipError_tPvRmT3_T4_T5_T6_T7_T9_mT8_P12ihipStream_tbDpT10_ENKUlT_T0_E_clISt17integral_constantIbLb1EES16_EEDaS11_S12_EUlS11_E_NS1_11comp_targetILNS1_3genE10ELNS1_11target_archE1200ELNS1_3gpuE4ELNS1_3repE0EEENS1_30default_config_static_selectorELNS0_4arch9wavefront6targetE0EEEvT1_: ; @_ZN7rocprim17ROCPRIM_400000_NS6detail17trampoline_kernelINS0_14default_configENS1_25partition_config_selectorILNS1_17partition_subalgoE8ElNS0_10empty_typeEbEEZZNS1_14partition_implILS5_8ELb0ES3_jPKlPS6_PKS6_NS0_5tupleIJPlS6_EEENSE_IJSB_SB_EEENS0_18inequality_wrapperIN6hipcub16HIPCUB_304000_NS8EqualityEEESF_JS6_EEE10hipError_tPvRmT3_T4_T5_T6_T7_T9_mT8_P12ihipStream_tbDpT10_ENKUlT_T0_E_clISt17integral_constantIbLb1EES16_EEDaS11_S12_EUlS11_E_NS1_11comp_targetILNS1_3genE10ELNS1_11target_archE1200ELNS1_3gpuE4ELNS1_3repE0EEENS1_30default_config_static_selectorELNS0_4arch9wavefront6targetE0EEEvT1_
; %bb.0:
	.section	.rodata,"a",@progbits
	.p2align	6, 0x0
	.amdhsa_kernel _ZN7rocprim17ROCPRIM_400000_NS6detail17trampoline_kernelINS0_14default_configENS1_25partition_config_selectorILNS1_17partition_subalgoE8ElNS0_10empty_typeEbEEZZNS1_14partition_implILS5_8ELb0ES3_jPKlPS6_PKS6_NS0_5tupleIJPlS6_EEENSE_IJSB_SB_EEENS0_18inequality_wrapperIN6hipcub16HIPCUB_304000_NS8EqualityEEESF_JS6_EEE10hipError_tPvRmT3_T4_T5_T6_T7_T9_mT8_P12ihipStream_tbDpT10_ENKUlT_T0_E_clISt17integral_constantIbLb1EES16_EEDaS11_S12_EUlS11_E_NS1_11comp_targetILNS1_3genE10ELNS1_11target_archE1200ELNS1_3gpuE4ELNS1_3repE0EEENS1_30default_config_static_selectorELNS0_4arch9wavefront6targetE0EEEvT1_
		.amdhsa_group_segment_fixed_size 0
		.amdhsa_private_segment_fixed_size 0
		.amdhsa_kernarg_size 128
		.amdhsa_user_sgpr_count 2
		.amdhsa_user_sgpr_dispatch_ptr 0
		.amdhsa_user_sgpr_queue_ptr 0
		.amdhsa_user_sgpr_kernarg_segment_ptr 1
		.amdhsa_user_sgpr_dispatch_id 0
		.amdhsa_user_sgpr_kernarg_preload_length 0
		.amdhsa_user_sgpr_kernarg_preload_offset 0
		.amdhsa_user_sgpr_private_segment_size 0
		.amdhsa_wavefront_size32 1
		.amdhsa_uses_dynamic_stack 0
		.amdhsa_enable_private_segment 0
		.amdhsa_system_sgpr_workgroup_id_x 1
		.amdhsa_system_sgpr_workgroup_id_y 0
		.amdhsa_system_sgpr_workgroup_id_z 0
		.amdhsa_system_sgpr_workgroup_info 0
		.amdhsa_system_vgpr_workitem_id 0
		.amdhsa_next_free_vgpr 1
		.amdhsa_next_free_sgpr 1
		.amdhsa_named_barrier_count 0
		.amdhsa_reserve_vcc 0
		.amdhsa_float_round_mode_32 0
		.amdhsa_float_round_mode_16_64 0
		.amdhsa_float_denorm_mode_32 3
		.amdhsa_float_denorm_mode_16_64 3
		.amdhsa_fp16_overflow 0
		.amdhsa_memory_ordered 1
		.amdhsa_forward_progress 1
		.amdhsa_inst_pref_size 0
		.amdhsa_round_robin_scheduling 0
		.amdhsa_exception_fp_ieee_invalid_op 0
		.amdhsa_exception_fp_denorm_src 0
		.amdhsa_exception_fp_ieee_div_zero 0
		.amdhsa_exception_fp_ieee_overflow 0
		.amdhsa_exception_fp_ieee_underflow 0
		.amdhsa_exception_fp_ieee_inexact 0
		.amdhsa_exception_int_div_zero 0
	.end_amdhsa_kernel
	.section	.text._ZN7rocprim17ROCPRIM_400000_NS6detail17trampoline_kernelINS0_14default_configENS1_25partition_config_selectorILNS1_17partition_subalgoE8ElNS0_10empty_typeEbEEZZNS1_14partition_implILS5_8ELb0ES3_jPKlPS6_PKS6_NS0_5tupleIJPlS6_EEENSE_IJSB_SB_EEENS0_18inequality_wrapperIN6hipcub16HIPCUB_304000_NS8EqualityEEESF_JS6_EEE10hipError_tPvRmT3_T4_T5_T6_T7_T9_mT8_P12ihipStream_tbDpT10_ENKUlT_T0_E_clISt17integral_constantIbLb1EES16_EEDaS11_S12_EUlS11_E_NS1_11comp_targetILNS1_3genE10ELNS1_11target_archE1200ELNS1_3gpuE4ELNS1_3repE0EEENS1_30default_config_static_selectorELNS0_4arch9wavefront6targetE0EEEvT1_,"axG",@progbits,_ZN7rocprim17ROCPRIM_400000_NS6detail17trampoline_kernelINS0_14default_configENS1_25partition_config_selectorILNS1_17partition_subalgoE8ElNS0_10empty_typeEbEEZZNS1_14partition_implILS5_8ELb0ES3_jPKlPS6_PKS6_NS0_5tupleIJPlS6_EEENSE_IJSB_SB_EEENS0_18inequality_wrapperIN6hipcub16HIPCUB_304000_NS8EqualityEEESF_JS6_EEE10hipError_tPvRmT3_T4_T5_T6_T7_T9_mT8_P12ihipStream_tbDpT10_ENKUlT_T0_E_clISt17integral_constantIbLb1EES16_EEDaS11_S12_EUlS11_E_NS1_11comp_targetILNS1_3genE10ELNS1_11target_archE1200ELNS1_3gpuE4ELNS1_3repE0EEENS1_30default_config_static_selectorELNS0_4arch9wavefront6targetE0EEEvT1_,comdat
.Lfunc_end239:
	.size	_ZN7rocprim17ROCPRIM_400000_NS6detail17trampoline_kernelINS0_14default_configENS1_25partition_config_selectorILNS1_17partition_subalgoE8ElNS0_10empty_typeEbEEZZNS1_14partition_implILS5_8ELb0ES3_jPKlPS6_PKS6_NS0_5tupleIJPlS6_EEENSE_IJSB_SB_EEENS0_18inequality_wrapperIN6hipcub16HIPCUB_304000_NS8EqualityEEESF_JS6_EEE10hipError_tPvRmT3_T4_T5_T6_T7_T9_mT8_P12ihipStream_tbDpT10_ENKUlT_T0_E_clISt17integral_constantIbLb1EES16_EEDaS11_S12_EUlS11_E_NS1_11comp_targetILNS1_3genE10ELNS1_11target_archE1200ELNS1_3gpuE4ELNS1_3repE0EEENS1_30default_config_static_selectorELNS0_4arch9wavefront6targetE0EEEvT1_, .Lfunc_end239-_ZN7rocprim17ROCPRIM_400000_NS6detail17trampoline_kernelINS0_14default_configENS1_25partition_config_selectorILNS1_17partition_subalgoE8ElNS0_10empty_typeEbEEZZNS1_14partition_implILS5_8ELb0ES3_jPKlPS6_PKS6_NS0_5tupleIJPlS6_EEENSE_IJSB_SB_EEENS0_18inequality_wrapperIN6hipcub16HIPCUB_304000_NS8EqualityEEESF_JS6_EEE10hipError_tPvRmT3_T4_T5_T6_T7_T9_mT8_P12ihipStream_tbDpT10_ENKUlT_T0_E_clISt17integral_constantIbLb1EES16_EEDaS11_S12_EUlS11_E_NS1_11comp_targetILNS1_3genE10ELNS1_11target_archE1200ELNS1_3gpuE4ELNS1_3repE0EEENS1_30default_config_static_selectorELNS0_4arch9wavefront6targetE0EEEvT1_
                                        ; -- End function
	.set _ZN7rocprim17ROCPRIM_400000_NS6detail17trampoline_kernelINS0_14default_configENS1_25partition_config_selectorILNS1_17partition_subalgoE8ElNS0_10empty_typeEbEEZZNS1_14partition_implILS5_8ELb0ES3_jPKlPS6_PKS6_NS0_5tupleIJPlS6_EEENSE_IJSB_SB_EEENS0_18inequality_wrapperIN6hipcub16HIPCUB_304000_NS8EqualityEEESF_JS6_EEE10hipError_tPvRmT3_T4_T5_T6_T7_T9_mT8_P12ihipStream_tbDpT10_ENKUlT_T0_E_clISt17integral_constantIbLb1EES16_EEDaS11_S12_EUlS11_E_NS1_11comp_targetILNS1_3genE10ELNS1_11target_archE1200ELNS1_3gpuE4ELNS1_3repE0EEENS1_30default_config_static_selectorELNS0_4arch9wavefront6targetE0EEEvT1_.num_vgpr, 0
	.set _ZN7rocprim17ROCPRIM_400000_NS6detail17trampoline_kernelINS0_14default_configENS1_25partition_config_selectorILNS1_17partition_subalgoE8ElNS0_10empty_typeEbEEZZNS1_14partition_implILS5_8ELb0ES3_jPKlPS6_PKS6_NS0_5tupleIJPlS6_EEENSE_IJSB_SB_EEENS0_18inequality_wrapperIN6hipcub16HIPCUB_304000_NS8EqualityEEESF_JS6_EEE10hipError_tPvRmT3_T4_T5_T6_T7_T9_mT8_P12ihipStream_tbDpT10_ENKUlT_T0_E_clISt17integral_constantIbLb1EES16_EEDaS11_S12_EUlS11_E_NS1_11comp_targetILNS1_3genE10ELNS1_11target_archE1200ELNS1_3gpuE4ELNS1_3repE0EEENS1_30default_config_static_selectorELNS0_4arch9wavefront6targetE0EEEvT1_.num_agpr, 0
	.set _ZN7rocprim17ROCPRIM_400000_NS6detail17trampoline_kernelINS0_14default_configENS1_25partition_config_selectorILNS1_17partition_subalgoE8ElNS0_10empty_typeEbEEZZNS1_14partition_implILS5_8ELb0ES3_jPKlPS6_PKS6_NS0_5tupleIJPlS6_EEENSE_IJSB_SB_EEENS0_18inequality_wrapperIN6hipcub16HIPCUB_304000_NS8EqualityEEESF_JS6_EEE10hipError_tPvRmT3_T4_T5_T6_T7_T9_mT8_P12ihipStream_tbDpT10_ENKUlT_T0_E_clISt17integral_constantIbLb1EES16_EEDaS11_S12_EUlS11_E_NS1_11comp_targetILNS1_3genE10ELNS1_11target_archE1200ELNS1_3gpuE4ELNS1_3repE0EEENS1_30default_config_static_selectorELNS0_4arch9wavefront6targetE0EEEvT1_.numbered_sgpr, 0
	.set _ZN7rocprim17ROCPRIM_400000_NS6detail17trampoline_kernelINS0_14default_configENS1_25partition_config_selectorILNS1_17partition_subalgoE8ElNS0_10empty_typeEbEEZZNS1_14partition_implILS5_8ELb0ES3_jPKlPS6_PKS6_NS0_5tupleIJPlS6_EEENSE_IJSB_SB_EEENS0_18inequality_wrapperIN6hipcub16HIPCUB_304000_NS8EqualityEEESF_JS6_EEE10hipError_tPvRmT3_T4_T5_T6_T7_T9_mT8_P12ihipStream_tbDpT10_ENKUlT_T0_E_clISt17integral_constantIbLb1EES16_EEDaS11_S12_EUlS11_E_NS1_11comp_targetILNS1_3genE10ELNS1_11target_archE1200ELNS1_3gpuE4ELNS1_3repE0EEENS1_30default_config_static_selectorELNS0_4arch9wavefront6targetE0EEEvT1_.num_named_barrier, 0
	.set _ZN7rocprim17ROCPRIM_400000_NS6detail17trampoline_kernelINS0_14default_configENS1_25partition_config_selectorILNS1_17partition_subalgoE8ElNS0_10empty_typeEbEEZZNS1_14partition_implILS5_8ELb0ES3_jPKlPS6_PKS6_NS0_5tupleIJPlS6_EEENSE_IJSB_SB_EEENS0_18inequality_wrapperIN6hipcub16HIPCUB_304000_NS8EqualityEEESF_JS6_EEE10hipError_tPvRmT3_T4_T5_T6_T7_T9_mT8_P12ihipStream_tbDpT10_ENKUlT_T0_E_clISt17integral_constantIbLb1EES16_EEDaS11_S12_EUlS11_E_NS1_11comp_targetILNS1_3genE10ELNS1_11target_archE1200ELNS1_3gpuE4ELNS1_3repE0EEENS1_30default_config_static_selectorELNS0_4arch9wavefront6targetE0EEEvT1_.private_seg_size, 0
	.set _ZN7rocprim17ROCPRIM_400000_NS6detail17trampoline_kernelINS0_14default_configENS1_25partition_config_selectorILNS1_17partition_subalgoE8ElNS0_10empty_typeEbEEZZNS1_14partition_implILS5_8ELb0ES3_jPKlPS6_PKS6_NS0_5tupleIJPlS6_EEENSE_IJSB_SB_EEENS0_18inequality_wrapperIN6hipcub16HIPCUB_304000_NS8EqualityEEESF_JS6_EEE10hipError_tPvRmT3_T4_T5_T6_T7_T9_mT8_P12ihipStream_tbDpT10_ENKUlT_T0_E_clISt17integral_constantIbLb1EES16_EEDaS11_S12_EUlS11_E_NS1_11comp_targetILNS1_3genE10ELNS1_11target_archE1200ELNS1_3gpuE4ELNS1_3repE0EEENS1_30default_config_static_selectorELNS0_4arch9wavefront6targetE0EEEvT1_.uses_vcc, 0
	.set _ZN7rocprim17ROCPRIM_400000_NS6detail17trampoline_kernelINS0_14default_configENS1_25partition_config_selectorILNS1_17partition_subalgoE8ElNS0_10empty_typeEbEEZZNS1_14partition_implILS5_8ELb0ES3_jPKlPS6_PKS6_NS0_5tupleIJPlS6_EEENSE_IJSB_SB_EEENS0_18inequality_wrapperIN6hipcub16HIPCUB_304000_NS8EqualityEEESF_JS6_EEE10hipError_tPvRmT3_T4_T5_T6_T7_T9_mT8_P12ihipStream_tbDpT10_ENKUlT_T0_E_clISt17integral_constantIbLb1EES16_EEDaS11_S12_EUlS11_E_NS1_11comp_targetILNS1_3genE10ELNS1_11target_archE1200ELNS1_3gpuE4ELNS1_3repE0EEENS1_30default_config_static_selectorELNS0_4arch9wavefront6targetE0EEEvT1_.uses_flat_scratch, 0
	.set _ZN7rocprim17ROCPRIM_400000_NS6detail17trampoline_kernelINS0_14default_configENS1_25partition_config_selectorILNS1_17partition_subalgoE8ElNS0_10empty_typeEbEEZZNS1_14partition_implILS5_8ELb0ES3_jPKlPS6_PKS6_NS0_5tupleIJPlS6_EEENSE_IJSB_SB_EEENS0_18inequality_wrapperIN6hipcub16HIPCUB_304000_NS8EqualityEEESF_JS6_EEE10hipError_tPvRmT3_T4_T5_T6_T7_T9_mT8_P12ihipStream_tbDpT10_ENKUlT_T0_E_clISt17integral_constantIbLb1EES16_EEDaS11_S12_EUlS11_E_NS1_11comp_targetILNS1_3genE10ELNS1_11target_archE1200ELNS1_3gpuE4ELNS1_3repE0EEENS1_30default_config_static_selectorELNS0_4arch9wavefront6targetE0EEEvT1_.has_dyn_sized_stack, 0
	.set _ZN7rocprim17ROCPRIM_400000_NS6detail17trampoline_kernelINS0_14default_configENS1_25partition_config_selectorILNS1_17partition_subalgoE8ElNS0_10empty_typeEbEEZZNS1_14partition_implILS5_8ELb0ES3_jPKlPS6_PKS6_NS0_5tupleIJPlS6_EEENSE_IJSB_SB_EEENS0_18inequality_wrapperIN6hipcub16HIPCUB_304000_NS8EqualityEEESF_JS6_EEE10hipError_tPvRmT3_T4_T5_T6_T7_T9_mT8_P12ihipStream_tbDpT10_ENKUlT_T0_E_clISt17integral_constantIbLb1EES16_EEDaS11_S12_EUlS11_E_NS1_11comp_targetILNS1_3genE10ELNS1_11target_archE1200ELNS1_3gpuE4ELNS1_3repE0EEENS1_30default_config_static_selectorELNS0_4arch9wavefront6targetE0EEEvT1_.has_recursion, 0
	.set _ZN7rocprim17ROCPRIM_400000_NS6detail17trampoline_kernelINS0_14default_configENS1_25partition_config_selectorILNS1_17partition_subalgoE8ElNS0_10empty_typeEbEEZZNS1_14partition_implILS5_8ELb0ES3_jPKlPS6_PKS6_NS0_5tupleIJPlS6_EEENSE_IJSB_SB_EEENS0_18inequality_wrapperIN6hipcub16HIPCUB_304000_NS8EqualityEEESF_JS6_EEE10hipError_tPvRmT3_T4_T5_T6_T7_T9_mT8_P12ihipStream_tbDpT10_ENKUlT_T0_E_clISt17integral_constantIbLb1EES16_EEDaS11_S12_EUlS11_E_NS1_11comp_targetILNS1_3genE10ELNS1_11target_archE1200ELNS1_3gpuE4ELNS1_3repE0EEENS1_30default_config_static_selectorELNS0_4arch9wavefront6targetE0EEEvT1_.has_indirect_call, 0
	.section	.AMDGPU.csdata,"",@progbits
; Kernel info:
; codeLenInByte = 0
; TotalNumSgprs: 0
; NumVgprs: 0
; ScratchSize: 0
; MemoryBound: 0
; FloatMode: 240
; IeeeMode: 1
; LDSByteSize: 0 bytes/workgroup (compile time only)
; SGPRBlocks: 0
; VGPRBlocks: 0
; NumSGPRsForWavesPerEU: 1
; NumVGPRsForWavesPerEU: 1
; NamedBarCnt: 0
; Occupancy: 16
; WaveLimiterHint : 0
; COMPUTE_PGM_RSRC2:SCRATCH_EN: 0
; COMPUTE_PGM_RSRC2:USER_SGPR: 2
; COMPUTE_PGM_RSRC2:TRAP_HANDLER: 0
; COMPUTE_PGM_RSRC2:TGID_X_EN: 1
; COMPUTE_PGM_RSRC2:TGID_Y_EN: 0
; COMPUTE_PGM_RSRC2:TGID_Z_EN: 0
; COMPUTE_PGM_RSRC2:TIDIG_COMP_CNT: 0
	.section	.text._ZN7rocprim17ROCPRIM_400000_NS6detail17trampoline_kernelINS0_14default_configENS1_25partition_config_selectorILNS1_17partition_subalgoE8ElNS0_10empty_typeEbEEZZNS1_14partition_implILS5_8ELb0ES3_jPKlPS6_PKS6_NS0_5tupleIJPlS6_EEENSE_IJSB_SB_EEENS0_18inequality_wrapperIN6hipcub16HIPCUB_304000_NS8EqualityEEESF_JS6_EEE10hipError_tPvRmT3_T4_T5_T6_T7_T9_mT8_P12ihipStream_tbDpT10_ENKUlT_T0_E_clISt17integral_constantIbLb1EES16_EEDaS11_S12_EUlS11_E_NS1_11comp_targetILNS1_3genE9ELNS1_11target_archE1100ELNS1_3gpuE3ELNS1_3repE0EEENS1_30default_config_static_selectorELNS0_4arch9wavefront6targetE0EEEvT1_,"axG",@progbits,_ZN7rocprim17ROCPRIM_400000_NS6detail17trampoline_kernelINS0_14default_configENS1_25partition_config_selectorILNS1_17partition_subalgoE8ElNS0_10empty_typeEbEEZZNS1_14partition_implILS5_8ELb0ES3_jPKlPS6_PKS6_NS0_5tupleIJPlS6_EEENSE_IJSB_SB_EEENS0_18inequality_wrapperIN6hipcub16HIPCUB_304000_NS8EqualityEEESF_JS6_EEE10hipError_tPvRmT3_T4_T5_T6_T7_T9_mT8_P12ihipStream_tbDpT10_ENKUlT_T0_E_clISt17integral_constantIbLb1EES16_EEDaS11_S12_EUlS11_E_NS1_11comp_targetILNS1_3genE9ELNS1_11target_archE1100ELNS1_3gpuE3ELNS1_3repE0EEENS1_30default_config_static_selectorELNS0_4arch9wavefront6targetE0EEEvT1_,comdat
	.protected	_ZN7rocprim17ROCPRIM_400000_NS6detail17trampoline_kernelINS0_14default_configENS1_25partition_config_selectorILNS1_17partition_subalgoE8ElNS0_10empty_typeEbEEZZNS1_14partition_implILS5_8ELb0ES3_jPKlPS6_PKS6_NS0_5tupleIJPlS6_EEENSE_IJSB_SB_EEENS0_18inequality_wrapperIN6hipcub16HIPCUB_304000_NS8EqualityEEESF_JS6_EEE10hipError_tPvRmT3_T4_T5_T6_T7_T9_mT8_P12ihipStream_tbDpT10_ENKUlT_T0_E_clISt17integral_constantIbLb1EES16_EEDaS11_S12_EUlS11_E_NS1_11comp_targetILNS1_3genE9ELNS1_11target_archE1100ELNS1_3gpuE3ELNS1_3repE0EEENS1_30default_config_static_selectorELNS0_4arch9wavefront6targetE0EEEvT1_ ; -- Begin function _ZN7rocprim17ROCPRIM_400000_NS6detail17trampoline_kernelINS0_14default_configENS1_25partition_config_selectorILNS1_17partition_subalgoE8ElNS0_10empty_typeEbEEZZNS1_14partition_implILS5_8ELb0ES3_jPKlPS6_PKS6_NS0_5tupleIJPlS6_EEENSE_IJSB_SB_EEENS0_18inequality_wrapperIN6hipcub16HIPCUB_304000_NS8EqualityEEESF_JS6_EEE10hipError_tPvRmT3_T4_T5_T6_T7_T9_mT8_P12ihipStream_tbDpT10_ENKUlT_T0_E_clISt17integral_constantIbLb1EES16_EEDaS11_S12_EUlS11_E_NS1_11comp_targetILNS1_3genE9ELNS1_11target_archE1100ELNS1_3gpuE3ELNS1_3repE0EEENS1_30default_config_static_selectorELNS0_4arch9wavefront6targetE0EEEvT1_
	.globl	_ZN7rocprim17ROCPRIM_400000_NS6detail17trampoline_kernelINS0_14default_configENS1_25partition_config_selectorILNS1_17partition_subalgoE8ElNS0_10empty_typeEbEEZZNS1_14partition_implILS5_8ELb0ES3_jPKlPS6_PKS6_NS0_5tupleIJPlS6_EEENSE_IJSB_SB_EEENS0_18inequality_wrapperIN6hipcub16HIPCUB_304000_NS8EqualityEEESF_JS6_EEE10hipError_tPvRmT3_T4_T5_T6_T7_T9_mT8_P12ihipStream_tbDpT10_ENKUlT_T0_E_clISt17integral_constantIbLb1EES16_EEDaS11_S12_EUlS11_E_NS1_11comp_targetILNS1_3genE9ELNS1_11target_archE1100ELNS1_3gpuE3ELNS1_3repE0EEENS1_30default_config_static_selectorELNS0_4arch9wavefront6targetE0EEEvT1_
	.p2align	8
	.type	_ZN7rocprim17ROCPRIM_400000_NS6detail17trampoline_kernelINS0_14default_configENS1_25partition_config_selectorILNS1_17partition_subalgoE8ElNS0_10empty_typeEbEEZZNS1_14partition_implILS5_8ELb0ES3_jPKlPS6_PKS6_NS0_5tupleIJPlS6_EEENSE_IJSB_SB_EEENS0_18inequality_wrapperIN6hipcub16HIPCUB_304000_NS8EqualityEEESF_JS6_EEE10hipError_tPvRmT3_T4_T5_T6_T7_T9_mT8_P12ihipStream_tbDpT10_ENKUlT_T0_E_clISt17integral_constantIbLb1EES16_EEDaS11_S12_EUlS11_E_NS1_11comp_targetILNS1_3genE9ELNS1_11target_archE1100ELNS1_3gpuE3ELNS1_3repE0EEENS1_30default_config_static_selectorELNS0_4arch9wavefront6targetE0EEEvT1_,@function
_ZN7rocprim17ROCPRIM_400000_NS6detail17trampoline_kernelINS0_14default_configENS1_25partition_config_selectorILNS1_17partition_subalgoE8ElNS0_10empty_typeEbEEZZNS1_14partition_implILS5_8ELb0ES3_jPKlPS6_PKS6_NS0_5tupleIJPlS6_EEENSE_IJSB_SB_EEENS0_18inequality_wrapperIN6hipcub16HIPCUB_304000_NS8EqualityEEESF_JS6_EEE10hipError_tPvRmT3_T4_T5_T6_T7_T9_mT8_P12ihipStream_tbDpT10_ENKUlT_T0_E_clISt17integral_constantIbLb1EES16_EEDaS11_S12_EUlS11_E_NS1_11comp_targetILNS1_3genE9ELNS1_11target_archE1100ELNS1_3gpuE3ELNS1_3repE0EEENS1_30default_config_static_selectorELNS0_4arch9wavefront6targetE0EEEvT1_: ; @_ZN7rocprim17ROCPRIM_400000_NS6detail17trampoline_kernelINS0_14default_configENS1_25partition_config_selectorILNS1_17partition_subalgoE8ElNS0_10empty_typeEbEEZZNS1_14partition_implILS5_8ELb0ES3_jPKlPS6_PKS6_NS0_5tupleIJPlS6_EEENSE_IJSB_SB_EEENS0_18inequality_wrapperIN6hipcub16HIPCUB_304000_NS8EqualityEEESF_JS6_EEE10hipError_tPvRmT3_T4_T5_T6_T7_T9_mT8_P12ihipStream_tbDpT10_ENKUlT_T0_E_clISt17integral_constantIbLb1EES16_EEDaS11_S12_EUlS11_E_NS1_11comp_targetILNS1_3genE9ELNS1_11target_archE1100ELNS1_3gpuE3ELNS1_3repE0EEENS1_30default_config_static_selectorELNS0_4arch9wavefront6targetE0EEEvT1_
; %bb.0:
	.section	.rodata,"a",@progbits
	.p2align	6, 0x0
	.amdhsa_kernel _ZN7rocprim17ROCPRIM_400000_NS6detail17trampoline_kernelINS0_14default_configENS1_25partition_config_selectorILNS1_17partition_subalgoE8ElNS0_10empty_typeEbEEZZNS1_14partition_implILS5_8ELb0ES3_jPKlPS6_PKS6_NS0_5tupleIJPlS6_EEENSE_IJSB_SB_EEENS0_18inequality_wrapperIN6hipcub16HIPCUB_304000_NS8EqualityEEESF_JS6_EEE10hipError_tPvRmT3_T4_T5_T6_T7_T9_mT8_P12ihipStream_tbDpT10_ENKUlT_T0_E_clISt17integral_constantIbLb1EES16_EEDaS11_S12_EUlS11_E_NS1_11comp_targetILNS1_3genE9ELNS1_11target_archE1100ELNS1_3gpuE3ELNS1_3repE0EEENS1_30default_config_static_selectorELNS0_4arch9wavefront6targetE0EEEvT1_
		.amdhsa_group_segment_fixed_size 0
		.amdhsa_private_segment_fixed_size 0
		.amdhsa_kernarg_size 128
		.amdhsa_user_sgpr_count 2
		.amdhsa_user_sgpr_dispatch_ptr 0
		.amdhsa_user_sgpr_queue_ptr 0
		.amdhsa_user_sgpr_kernarg_segment_ptr 1
		.amdhsa_user_sgpr_dispatch_id 0
		.amdhsa_user_sgpr_kernarg_preload_length 0
		.amdhsa_user_sgpr_kernarg_preload_offset 0
		.amdhsa_user_sgpr_private_segment_size 0
		.amdhsa_wavefront_size32 1
		.amdhsa_uses_dynamic_stack 0
		.amdhsa_enable_private_segment 0
		.amdhsa_system_sgpr_workgroup_id_x 1
		.amdhsa_system_sgpr_workgroup_id_y 0
		.amdhsa_system_sgpr_workgroup_id_z 0
		.amdhsa_system_sgpr_workgroup_info 0
		.amdhsa_system_vgpr_workitem_id 0
		.amdhsa_next_free_vgpr 1
		.amdhsa_next_free_sgpr 1
		.amdhsa_named_barrier_count 0
		.amdhsa_reserve_vcc 0
		.amdhsa_float_round_mode_32 0
		.amdhsa_float_round_mode_16_64 0
		.amdhsa_float_denorm_mode_32 3
		.amdhsa_float_denorm_mode_16_64 3
		.amdhsa_fp16_overflow 0
		.amdhsa_memory_ordered 1
		.amdhsa_forward_progress 1
		.amdhsa_inst_pref_size 0
		.amdhsa_round_robin_scheduling 0
		.amdhsa_exception_fp_ieee_invalid_op 0
		.amdhsa_exception_fp_denorm_src 0
		.amdhsa_exception_fp_ieee_div_zero 0
		.amdhsa_exception_fp_ieee_overflow 0
		.amdhsa_exception_fp_ieee_underflow 0
		.amdhsa_exception_fp_ieee_inexact 0
		.amdhsa_exception_int_div_zero 0
	.end_amdhsa_kernel
	.section	.text._ZN7rocprim17ROCPRIM_400000_NS6detail17trampoline_kernelINS0_14default_configENS1_25partition_config_selectorILNS1_17partition_subalgoE8ElNS0_10empty_typeEbEEZZNS1_14partition_implILS5_8ELb0ES3_jPKlPS6_PKS6_NS0_5tupleIJPlS6_EEENSE_IJSB_SB_EEENS0_18inequality_wrapperIN6hipcub16HIPCUB_304000_NS8EqualityEEESF_JS6_EEE10hipError_tPvRmT3_T4_T5_T6_T7_T9_mT8_P12ihipStream_tbDpT10_ENKUlT_T0_E_clISt17integral_constantIbLb1EES16_EEDaS11_S12_EUlS11_E_NS1_11comp_targetILNS1_3genE9ELNS1_11target_archE1100ELNS1_3gpuE3ELNS1_3repE0EEENS1_30default_config_static_selectorELNS0_4arch9wavefront6targetE0EEEvT1_,"axG",@progbits,_ZN7rocprim17ROCPRIM_400000_NS6detail17trampoline_kernelINS0_14default_configENS1_25partition_config_selectorILNS1_17partition_subalgoE8ElNS0_10empty_typeEbEEZZNS1_14partition_implILS5_8ELb0ES3_jPKlPS6_PKS6_NS0_5tupleIJPlS6_EEENSE_IJSB_SB_EEENS0_18inequality_wrapperIN6hipcub16HIPCUB_304000_NS8EqualityEEESF_JS6_EEE10hipError_tPvRmT3_T4_T5_T6_T7_T9_mT8_P12ihipStream_tbDpT10_ENKUlT_T0_E_clISt17integral_constantIbLb1EES16_EEDaS11_S12_EUlS11_E_NS1_11comp_targetILNS1_3genE9ELNS1_11target_archE1100ELNS1_3gpuE3ELNS1_3repE0EEENS1_30default_config_static_selectorELNS0_4arch9wavefront6targetE0EEEvT1_,comdat
.Lfunc_end240:
	.size	_ZN7rocprim17ROCPRIM_400000_NS6detail17trampoline_kernelINS0_14default_configENS1_25partition_config_selectorILNS1_17partition_subalgoE8ElNS0_10empty_typeEbEEZZNS1_14partition_implILS5_8ELb0ES3_jPKlPS6_PKS6_NS0_5tupleIJPlS6_EEENSE_IJSB_SB_EEENS0_18inequality_wrapperIN6hipcub16HIPCUB_304000_NS8EqualityEEESF_JS6_EEE10hipError_tPvRmT3_T4_T5_T6_T7_T9_mT8_P12ihipStream_tbDpT10_ENKUlT_T0_E_clISt17integral_constantIbLb1EES16_EEDaS11_S12_EUlS11_E_NS1_11comp_targetILNS1_3genE9ELNS1_11target_archE1100ELNS1_3gpuE3ELNS1_3repE0EEENS1_30default_config_static_selectorELNS0_4arch9wavefront6targetE0EEEvT1_, .Lfunc_end240-_ZN7rocprim17ROCPRIM_400000_NS6detail17trampoline_kernelINS0_14default_configENS1_25partition_config_selectorILNS1_17partition_subalgoE8ElNS0_10empty_typeEbEEZZNS1_14partition_implILS5_8ELb0ES3_jPKlPS6_PKS6_NS0_5tupleIJPlS6_EEENSE_IJSB_SB_EEENS0_18inequality_wrapperIN6hipcub16HIPCUB_304000_NS8EqualityEEESF_JS6_EEE10hipError_tPvRmT3_T4_T5_T6_T7_T9_mT8_P12ihipStream_tbDpT10_ENKUlT_T0_E_clISt17integral_constantIbLb1EES16_EEDaS11_S12_EUlS11_E_NS1_11comp_targetILNS1_3genE9ELNS1_11target_archE1100ELNS1_3gpuE3ELNS1_3repE0EEENS1_30default_config_static_selectorELNS0_4arch9wavefront6targetE0EEEvT1_
                                        ; -- End function
	.set _ZN7rocprim17ROCPRIM_400000_NS6detail17trampoline_kernelINS0_14default_configENS1_25partition_config_selectorILNS1_17partition_subalgoE8ElNS0_10empty_typeEbEEZZNS1_14partition_implILS5_8ELb0ES3_jPKlPS6_PKS6_NS0_5tupleIJPlS6_EEENSE_IJSB_SB_EEENS0_18inequality_wrapperIN6hipcub16HIPCUB_304000_NS8EqualityEEESF_JS6_EEE10hipError_tPvRmT3_T4_T5_T6_T7_T9_mT8_P12ihipStream_tbDpT10_ENKUlT_T0_E_clISt17integral_constantIbLb1EES16_EEDaS11_S12_EUlS11_E_NS1_11comp_targetILNS1_3genE9ELNS1_11target_archE1100ELNS1_3gpuE3ELNS1_3repE0EEENS1_30default_config_static_selectorELNS0_4arch9wavefront6targetE0EEEvT1_.num_vgpr, 0
	.set _ZN7rocprim17ROCPRIM_400000_NS6detail17trampoline_kernelINS0_14default_configENS1_25partition_config_selectorILNS1_17partition_subalgoE8ElNS0_10empty_typeEbEEZZNS1_14partition_implILS5_8ELb0ES3_jPKlPS6_PKS6_NS0_5tupleIJPlS6_EEENSE_IJSB_SB_EEENS0_18inequality_wrapperIN6hipcub16HIPCUB_304000_NS8EqualityEEESF_JS6_EEE10hipError_tPvRmT3_T4_T5_T6_T7_T9_mT8_P12ihipStream_tbDpT10_ENKUlT_T0_E_clISt17integral_constantIbLb1EES16_EEDaS11_S12_EUlS11_E_NS1_11comp_targetILNS1_3genE9ELNS1_11target_archE1100ELNS1_3gpuE3ELNS1_3repE0EEENS1_30default_config_static_selectorELNS0_4arch9wavefront6targetE0EEEvT1_.num_agpr, 0
	.set _ZN7rocprim17ROCPRIM_400000_NS6detail17trampoline_kernelINS0_14default_configENS1_25partition_config_selectorILNS1_17partition_subalgoE8ElNS0_10empty_typeEbEEZZNS1_14partition_implILS5_8ELb0ES3_jPKlPS6_PKS6_NS0_5tupleIJPlS6_EEENSE_IJSB_SB_EEENS0_18inequality_wrapperIN6hipcub16HIPCUB_304000_NS8EqualityEEESF_JS6_EEE10hipError_tPvRmT3_T4_T5_T6_T7_T9_mT8_P12ihipStream_tbDpT10_ENKUlT_T0_E_clISt17integral_constantIbLb1EES16_EEDaS11_S12_EUlS11_E_NS1_11comp_targetILNS1_3genE9ELNS1_11target_archE1100ELNS1_3gpuE3ELNS1_3repE0EEENS1_30default_config_static_selectorELNS0_4arch9wavefront6targetE0EEEvT1_.numbered_sgpr, 0
	.set _ZN7rocprim17ROCPRIM_400000_NS6detail17trampoline_kernelINS0_14default_configENS1_25partition_config_selectorILNS1_17partition_subalgoE8ElNS0_10empty_typeEbEEZZNS1_14partition_implILS5_8ELb0ES3_jPKlPS6_PKS6_NS0_5tupleIJPlS6_EEENSE_IJSB_SB_EEENS0_18inequality_wrapperIN6hipcub16HIPCUB_304000_NS8EqualityEEESF_JS6_EEE10hipError_tPvRmT3_T4_T5_T6_T7_T9_mT8_P12ihipStream_tbDpT10_ENKUlT_T0_E_clISt17integral_constantIbLb1EES16_EEDaS11_S12_EUlS11_E_NS1_11comp_targetILNS1_3genE9ELNS1_11target_archE1100ELNS1_3gpuE3ELNS1_3repE0EEENS1_30default_config_static_selectorELNS0_4arch9wavefront6targetE0EEEvT1_.num_named_barrier, 0
	.set _ZN7rocprim17ROCPRIM_400000_NS6detail17trampoline_kernelINS0_14default_configENS1_25partition_config_selectorILNS1_17partition_subalgoE8ElNS0_10empty_typeEbEEZZNS1_14partition_implILS5_8ELb0ES3_jPKlPS6_PKS6_NS0_5tupleIJPlS6_EEENSE_IJSB_SB_EEENS0_18inequality_wrapperIN6hipcub16HIPCUB_304000_NS8EqualityEEESF_JS6_EEE10hipError_tPvRmT3_T4_T5_T6_T7_T9_mT8_P12ihipStream_tbDpT10_ENKUlT_T0_E_clISt17integral_constantIbLb1EES16_EEDaS11_S12_EUlS11_E_NS1_11comp_targetILNS1_3genE9ELNS1_11target_archE1100ELNS1_3gpuE3ELNS1_3repE0EEENS1_30default_config_static_selectorELNS0_4arch9wavefront6targetE0EEEvT1_.private_seg_size, 0
	.set _ZN7rocprim17ROCPRIM_400000_NS6detail17trampoline_kernelINS0_14default_configENS1_25partition_config_selectorILNS1_17partition_subalgoE8ElNS0_10empty_typeEbEEZZNS1_14partition_implILS5_8ELb0ES3_jPKlPS6_PKS6_NS0_5tupleIJPlS6_EEENSE_IJSB_SB_EEENS0_18inequality_wrapperIN6hipcub16HIPCUB_304000_NS8EqualityEEESF_JS6_EEE10hipError_tPvRmT3_T4_T5_T6_T7_T9_mT8_P12ihipStream_tbDpT10_ENKUlT_T0_E_clISt17integral_constantIbLb1EES16_EEDaS11_S12_EUlS11_E_NS1_11comp_targetILNS1_3genE9ELNS1_11target_archE1100ELNS1_3gpuE3ELNS1_3repE0EEENS1_30default_config_static_selectorELNS0_4arch9wavefront6targetE0EEEvT1_.uses_vcc, 0
	.set _ZN7rocprim17ROCPRIM_400000_NS6detail17trampoline_kernelINS0_14default_configENS1_25partition_config_selectorILNS1_17partition_subalgoE8ElNS0_10empty_typeEbEEZZNS1_14partition_implILS5_8ELb0ES3_jPKlPS6_PKS6_NS0_5tupleIJPlS6_EEENSE_IJSB_SB_EEENS0_18inequality_wrapperIN6hipcub16HIPCUB_304000_NS8EqualityEEESF_JS6_EEE10hipError_tPvRmT3_T4_T5_T6_T7_T9_mT8_P12ihipStream_tbDpT10_ENKUlT_T0_E_clISt17integral_constantIbLb1EES16_EEDaS11_S12_EUlS11_E_NS1_11comp_targetILNS1_3genE9ELNS1_11target_archE1100ELNS1_3gpuE3ELNS1_3repE0EEENS1_30default_config_static_selectorELNS0_4arch9wavefront6targetE0EEEvT1_.uses_flat_scratch, 0
	.set _ZN7rocprim17ROCPRIM_400000_NS6detail17trampoline_kernelINS0_14default_configENS1_25partition_config_selectorILNS1_17partition_subalgoE8ElNS0_10empty_typeEbEEZZNS1_14partition_implILS5_8ELb0ES3_jPKlPS6_PKS6_NS0_5tupleIJPlS6_EEENSE_IJSB_SB_EEENS0_18inequality_wrapperIN6hipcub16HIPCUB_304000_NS8EqualityEEESF_JS6_EEE10hipError_tPvRmT3_T4_T5_T6_T7_T9_mT8_P12ihipStream_tbDpT10_ENKUlT_T0_E_clISt17integral_constantIbLb1EES16_EEDaS11_S12_EUlS11_E_NS1_11comp_targetILNS1_3genE9ELNS1_11target_archE1100ELNS1_3gpuE3ELNS1_3repE0EEENS1_30default_config_static_selectorELNS0_4arch9wavefront6targetE0EEEvT1_.has_dyn_sized_stack, 0
	.set _ZN7rocprim17ROCPRIM_400000_NS6detail17trampoline_kernelINS0_14default_configENS1_25partition_config_selectorILNS1_17partition_subalgoE8ElNS0_10empty_typeEbEEZZNS1_14partition_implILS5_8ELb0ES3_jPKlPS6_PKS6_NS0_5tupleIJPlS6_EEENSE_IJSB_SB_EEENS0_18inequality_wrapperIN6hipcub16HIPCUB_304000_NS8EqualityEEESF_JS6_EEE10hipError_tPvRmT3_T4_T5_T6_T7_T9_mT8_P12ihipStream_tbDpT10_ENKUlT_T0_E_clISt17integral_constantIbLb1EES16_EEDaS11_S12_EUlS11_E_NS1_11comp_targetILNS1_3genE9ELNS1_11target_archE1100ELNS1_3gpuE3ELNS1_3repE0EEENS1_30default_config_static_selectorELNS0_4arch9wavefront6targetE0EEEvT1_.has_recursion, 0
	.set _ZN7rocprim17ROCPRIM_400000_NS6detail17trampoline_kernelINS0_14default_configENS1_25partition_config_selectorILNS1_17partition_subalgoE8ElNS0_10empty_typeEbEEZZNS1_14partition_implILS5_8ELb0ES3_jPKlPS6_PKS6_NS0_5tupleIJPlS6_EEENSE_IJSB_SB_EEENS0_18inequality_wrapperIN6hipcub16HIPCUB_304000_NS8EqualityEEESF_JS6_EEE10hipError_tPvRmT3_T4_T5_T6_T7_T9_mT8_P12ihipStream_tbDpT10_ENKUlT_T0_E_clISt17integral_constantIbLb1EES16_EEDaS11_S12_EUlS11_E_NS1_11comp_targetILNS1_3genE9ELNS1_11target_archE1100ELNS1_3gpuE3ELNS1_3repE0EEENS1_30default_config_static_selectorELNS0_4arch9wavefront6targetE0EEEvT1_.has_indirect_call, 0
	.section	.AMDGPU.csdata,"",@progbits
; Kernel info:
; codeLenInByte = 0
; TotalNumSgprs: 0
; NumVgprs: 0
; ScratchSize: 0
; MemoryBound: 0
; FloatMode: 240
; IeeeMode: 1
; LDSByteSize: 0 bytes/workgroup (compile time only)
; SGPRBlocks: 0
; VGPRBlocks: 0
; NumSGPRsForWavesPerEU: 1
; NumVGPRsForWavesPerEU: 1
; NamedBarCnt: 0
; Occupancy: 16
; WaveLimiterHint : 0
; COMPUTE_PGM_RSRC2:SCRATCH_EN: 0
; COMPUTE_PGM_RSRC2:USER_SGPR: 2
; COMPUTE_PGM_RSRC2:TRAP_HANDLER: 0
; COMPUTE_PGM_RSRC2:TGID_X_EN: 1
; COMPUTE_PGM_RSRC2:TGID_Y_EN: 0
; COMPUTE_PGM_RSRC2:TGID_Z_EN: 0
; COMPUTE_PGM_RSRC2:TIDIG_COMP_CNT: 0
	.section	.text._ZN7rocprim17ROCPRIM_400000_NS6detail17trampoline_kernelINS0_14default_configENS1_25partition_config_selectorILNS1_17partition_subalgoE8ElNS0_10empty_typeEbEEZZNS1_14partition_implILS5_8ELb0ES3_jPKlPS6_PKS6_NS0_5tupleIJPlS6_EEENSE_IJSB_SB_EEENS0_18inequality_wrapperIN6hipcub16HIPCUB_304000_NS8EqualityEEESF_JS6_EEE10hipError_tPvRmT3_T4_T5_T6_T7_T9_mT8_P12ihipStream_tbDpT10_ENKUlT_T0_E_clISt17integral_constantIbLb1EES16_EEDaS11_S12_EUlS11_E_NS1_11comp_targetILNS1_3genE8ELNS1_11target_archE1030ELNS1_3gpuE2ELNS1_3repE0EEENS1_30default_config_static_selectorELNS0_4arch9wavefront6targetE0EEEvT1_,"axG",@progbits,_ZN7rocprim17ROCPRIM_400000_NS6detail17trampoline_kernelINS0_14default_configENS1_25partition_config_selectorILNS1_17partition_subalgoE8ElNS0_10empty_typeEbEEZZNS1_14partition_implILS5_8ELb0ES3_jPKlPS6_PKS6_NS0_5tupleIJPlS6_EEENSE_IJSB_SB_EEENS0_18inequality_wrapperIN6hipcub16HIPCUB_304000_NS8EqualityEEESF_JS6_EEE10hipError_tPvRmT3_T4_T5_T6_T7_T9_mT8_P12ihipStream_tbDpT10_ENKUlT_T0_E_clISt17integral_constantIbLb1EES16_EEDaS11_S12_EUlS11_E_NS1_11comp_targetILNS1_3genE8ELNS1_11target_archE1030ELNS1_3gpuE2ELNS1_3repE0EEENS1_30default_config_static_selectorELNS0_4arch9wavefront6targetE0EEEvT1_,comdat
	.protected	_ZN7rocprim17ROCPRIM_400000_NS6detail17trampoline_kernelINS0_14default_configENS1_25partition_config_selectorILNS1_17partition_subalgoE8ElNS0_10empty_typeEbEEZZNS1_14partition_implILS5_8ELb0ES3_jPKlPS6_PKS6_NS0_5tupleIJPlS6_EEENSE_IJSB_SB_EEENS0_18inequality_wrapperIN6hipcub16HIPCUB_304000_NS8EqualityEEESF_JS6_EEE10hipError_tPvRmT3_T4_T5_T6_T7_T9_mT8_P12ihipStream_tbDpT10_ENKUlT_T0_E_clISt17integral_constantIbLb1EES16_EEDaS11_S12_EUlS11_E_NS1_11comp_targetILNS1_3genE8ELNS1_11target_archE1030ELNS1_3gpuE2ELNS1_3repE0EEENS1_30default_config_static_selectorELNS0_4arch9wavefront6targetE0EEEvT1_ ; -- Begin function _ZN7rocprim17ROCPRIM_400000_NS6detail17trampoline_kernelINS0_14default_configENS1_25partition_config_selectorILNS1_17partition_subalgoE8ElNS0_10empty_typeEbEEZZNS1_14partition_implILS5_8ELb0ES3_jPKlPS6_PKS6_NS0_5tupleIJPlS6_EEENSE_IJSB_SB_EEENS0_18inequality_wrapperIN6hipcub16HIPCUB_304000_NS8EqualityEEESF_JS6_EEE10hipError_tPvRmT3_T4_T5_T6_T7_T9_mT8_P12ihipStream_tbDpT10_ENKUlT_T0_E_clISt17integral_constantIbLb1EES16_EEDaS11_S12_EUlS11_E_NS1_11comp_targetILNS1_3genE8ELNS1_11target_archE1030ELNS1_3gpuE2ELNS1_3repE0EEENS1_30default_config_static_selectorELNS0_4arch9wavefront6targetE0EEEvT1_
	.globl	_ZN7rocprim17ROCPRIM_400000_NS6detail17trampoline_kernelINS0_14default_configENS1_25partition_config_selectorILNS1_17partition_subalgoE8ElNS0_10empty_typeEbEEZZNS1_14partition_implILS5_8ELb0ES3_jPKlPS6_PKS6_NS0_5tupleIJPlS6_EEENSE_IJSB_SB_EEENS0_18inequality_wrapperIN6hipcub16HIPCUB_304000_NS8EqualityEEESF_JS6_EEE10hipError_tPvRmT3_T4_T5_T6_T7_T9_mT8_P12ihipStream_tbDpT10_ENKUlT_T0_E_clISt17integral_constantIbLb1EES16_EEDaS11_S12_EUlS11_E_NS1_11comp_targetILNS1_3genE8ELNS1_11target_archE1030ELNS1_3gpuE2ELNS1_3repE0EEENS1_30default_config_static_selectorELNS0_4arch9wavefront6targetE0EEEvT1_
	.p2align	8
	.type	_ZN7rocprim17ROCPRIM_400000_NS6detail17trampoline_kernelINS0_14default_configENS1_25partition_config_selectorILNS1_17partition_subalgoE8ElNS0_10empty_typeEbEEZZNS1_14partition_implILS5_8ELb0ES3_jPKlPS6_PKS6_NS0_5tupleIJPlS6_EEENSE_IJSB_SB_EEENS0_18inequality_wrapperIN6hipcub16HIPCUB_304000_NS8EqualityEEESF_JS6_EEE10hipError_tPvRmT3_T4_T5_T6_T7_T9_mT8_P12ihipStream_tbDpT10_ENKUlT_T0_E_clISt17integral_constantIbLb1EES16_EEDaS11_S12_EUlS11_E_NS1_11comp_targetILNS1_3genE8ELNS1_11target_archE1030ELNS1_3gpuE2ELNS1_3repE0EEENS1_30default_config_static_selectorELNS0_4arch9wavefront6targetE0EEEvT1_,@function
_ZN7rocprim17ROCPRIM_400000_NS6detail17trampoline_kernelINS0_14default_configENS1_25partition_config_selectorILNS1_17partition_subalgoE8ElNS0_10empty_typeEbEEZZNS1_14partition_implILS5_8ELb0ES3_jPKlPS6_PKS6_NS0_5tupleIJPlS6_EEENSE_IJSB_SB_EEENS0_18inequality_wrapperIN6hipcub16HIPCUB_304000_NS8EqualityEEESF_JS6_EEE10hipError_tPvRmT3_T4_T5_T6_T7_T9_mT8_P12ihipStream_tbDpT10_ENKUlT_T0_E_clISt17integral_constantIbLb1EES16_EEDaS11_S12_EUlS11_E_NS1_11comp_targetILNS1_3genE8ELNS1_11target_archE1030ELNS1_3gpuE2ELNS1_3repE0EEENS1_30default_config_static_selectorELNS0_4arch9wavefront6targetE0EEEvT1_: ; @_ZN7rocprim17ROCPRIM_400000_NS6detail17trampoline_kernelINS0_14default_configENS1_25partition_config_selectorILNS1_17partition_subalgoE8ElNS0_10empty_typeEbEEZZNS1_14partition_implILS5_8ELb0ES3_jPKlPS6_PKS6_NS0_5tupleIJPlS6_EEENSE_IJSB_SB_EEENS0_18inequality_wrapperIN6hipcub16HIPCUB_304000_NS8EqualityEEESF_JS6_EEE10hipError_tPvRmT3_T4_T5_T6_T7_T9_mT8_P12ihipStream_tbDpT10_ENKUlT_T0_E_clISt17integral_constantIbLb1EES16_EEDaS11_S12_EUlS11_E_NS1_11comp_targetILNS1_3genE8ELNS1_11target_archE1030ELNS1_3gpuE2ELNS1_3repE0EEENS1_30default_config_static_selectorELNS0_4arch9wavefront6targetE0EEEvT1_
; %bb.0:
	.section	.rodata,"a",@progbits
	.p2align	6, 0x0
	.amdhsa_kernel _ZN7rocprim17ROCPRIM_400000_NS6detail17trampoline_kernelINS0_14default_configENS1_25partition_config_selectorILNS1_17partition_subalgoE8ElNS0_10empty_typeEbEEZZNS1_14partition_implILS5_8ELb0ES3_jPKlPS6_PKS6_NS0_5tupleIJPlS6_EEENSE_IJSB_SB_EEENS0_18inequality_wrapperIN6hipcub16HIPCUB_304000_NS8EqualityEEESF_JS6_EEE10hipError_tPvRmT3_T4_T5_T6_T7_T9_mT8_P12ihipStream_tbDpT10_ENKUlT_T0_E_clISt17integral_constantIbLb1EES16_EEDaS11_S12_EUlS11_E_NS1_11comp_targetILNS1_3genE8ELNS1_11target_archE1030ELNS1_3gpuE2ELNS1_3repE0EEENS1_30default_config_static_selectorELNS0_4arch9wavefront6targetE0EEEvT1_
		.amdhsa_group_segment_fixed_size 0
		.amdhsa_private_segment_fixed_size 0
		.amdhsa_kernarg_size 128
		.amdhsa_user_sgpr_count 2
		.amdhsa_user_sgpr_dispatch_ptr 0
		.amdhsa_user_sgpr_queue_ptr 0
		.amdhsa_user_sgpr_kernarg_segment_ptr 1
		.amdhsa_user_sgpr_dispatch_id 0
		.amdhsa_user_sgpr_kernarg_preload_length 0
		.amdhsa_user_sgpr_kernarg_preload_offset 0
		.amdhsa_user_sgpr_private_segment_size 0
		.amdhsa_wavefront_size32 1
		.amdhsa_uses_dynamic_stack 0
		.amdhsa_enable_private_segment 0
		.amdhsa_system_sgpr_workgroup_id_x 1
		.amdhsa_system_sgpr_workgroup_id_y 0
		.amdhsa_system_sgpr_workgroup_id_z 0
		.amdhsa_system_sgpr_workgroup_info 0
		.amdhsa_system_vgpr_workitem_id 0
		.amdhsa_next_free_vgpr 1
		.amdhsa_next_free_sgpr 1
		.amdhsa_named_barrier_count 0
		.amdhsa_reserve_vcc 0
		.amdhsa_float_round_mode_32 0
		.amdhsa_float_round_mode_16_64 0
		.amdhsa_float_denorm_mode_32 3
		.amdhsa_float_denorm_mode_16_64 3
		.amdhsa_fp16_overflow 0
		.amdhsa_memory_ordered 1
		.amdhsa_forward_progress 1
		.amdhsa_inst_pref_size 0
		.amdhsa_round_robin_scheduling 0
		.amdhsa_exception_fp_ieee_invalid_op 0
		.amdhsa_exception_fp_denorm_src 0
		.amdhsa_exception_fp_ieee_div_zero 0
		.amdhsa_exception_fp_ieee_overflow 0
		.amdhsa_exception_fp_ieee_underflow 0
		.amdhsa_exception_fp_ieee_inexact 0
		.amdhsa_exception_int_div_zero 0
	.end_amdhsa_kernel
	.section	.text._ZN7rocprim17ROCPRIM_400000_NS6detail17trampoline_kernelINS0_14default_configENS1_25partition_config_selectorILNS1_17partition_subalgoE8ElNS0_10empty_typeEbEEZZNS1_14partition_implILS5_8ELb0ES3_jPKlPS6_PKS6_NS0_5tupleIJPlS6_EEENSE_IJSB_SB_EEENS0_18inequality_wrapperIN6hipcub16HIPCUB_304000_NS8EqualityEEESF_JS6_EEE10hipError_tPvRmT3_T4_T5_T6_T7_T9_mT8_P12ihipStream_tbDpT10_ENKUlT_T0_E_clISt17integral_constantIbLb1EES16_EEDaS11_S12_EUlS11_E_NS1_11comp_targetILNS1_3genE8ELNS1_11target_archE1030ELNS1_3gpuE2ELNS1_3repE0EEENS1_30default_config_static_selectorELNS0_4arch9wavefront6targetE0EEEvT1_,"axG",@progbits,_ZN7rocprim17ROCPRIM_400000_NS6detail17trampoline_kernelINS0_14default_configENS1_25partition_config_selectorILNS1_17partition_subalgoE8ElNS0_10empty_typeEbEEZZNS1_14partition_implILS5_8ELb0ES3_jPKlPS6_PKS6_NS0_5tupleIJPlS6_EEENSE_IJSB_SB_EEENS0_18inequality_wrapperIN6hipcub16HIPCUB_304000_NS8EqualityEEESF_JS6_EEE10hipError_tPvRmT3_T4_T5_T6_T7_T9_mT8_P12ihipStream_tbDpT10_ENKUlT_T0_E_clISt17integral_constantIbLb1EES16_EEDaS11_S12_EUlS11_E_NS1_11comp_targetILNS1_3genE8ELNS1_11target_archE1030ELNS1_3gpuE2ELNS1_3repE0EEENS1_30default_config_static_selectorELNS0_4arch9wavefront6targetE0EEEvT1_,comdat
.Lfunc_end241:
	.size	_ZN7rocprim17ROCPRIM_400000_NS6detail17trampoline_kernelINS0_14default_configENS1_25partition_config_selectorILNS1_17partition_subalgoE8ElNS0_10empty_typeEbEEZZNS1_14partition_implILS5_8ELb0ES3_jPKlPS6_PKS6_NS0_5tupleIJPlS6_EEENSE_IJSB_SB_EEENS0_18inequality_wrapperIN6hipcub16HIPCUB_304000_NS8EqualityEEESF_JS6_EEE10hipError_tPvRmT3_T4_T5_T6_T7_T9_mT8_P12ihipStream_tbDpT10_ENKUlT_T0_E_clISt17integral_constantIbLb1EES16_EEDaS11_S12_EUlS11_E_NS1_11comp_targetILNS1_3genE8ELNS1_11target_archE1030ELNS1_3gpuE2ELNS1_3repE0EEENS1_30default_config_static_selectorELNS0_4arch9wavefront6targetE0EEEvT1_, .Lfunc_end241-_ZN7rocprim17ROCPRIM_400000_NS6detail17trampoline_kernelINS0_14default_configENS1_25partition_config_selectorILNS1_17partition_subalgoE8ElNS0_10empty_typeEbEEZZNS1_14partition_implILS5_8ELb0ES3_jPKlPS6_PKS6_NS0_5tupleIJPlS6_EEENSE_IJSB_SB_EEENS0_18inequality_wrapperIN6hipcub16HIPCUB_304000_NS8EqualityEEESF_JS6_EEE10hipError_tPvRmT3_T4_T5_T6_T7_T9_mT8_P12ihipStream_tbDpT10_ENKUlT_T0_E_clISt17integral_constantIbLb1EES16_EEDaS11_S12_EUlS11_E_NS1_11comp_targetILNS1_3genE8ELNS1_11target_archE1030ELNS1_3gpuE2ELNS1_3repE0EEENS1_30default_config_static_selectorELNS0_4arch9wavefront6targetE0EEEvT1_
                                        ; -- End function
	.set _ZN7rocprim17ROCPRIM_400000_NS6detail17trampoline_kernelINS0_14default_configENS1_25partition_config_selectorILNS1_17partition_subalgoE8ElNS0_10empty_typeEbEEZZNS1_14partition_implILS5_8ELb0ES3_jPKlPS6_PKS6_NS0_5tupleIJPlS6_EEENSE_IJSB_SB_EEENS0_18inequality_wrapperIN6hipcub16HIPCUB_304000_NS8EqualityEEESF_JS6_EEE10hipError_tPvRmT3_T4_T5_T6_T7_T9_mT8_P12ihipStream_tbDpT10_ENKUlT_T0_E_clISt17integral_constantIbLb1EES16_EEDaS11_S12_EUlS11_E_NS1_11comp_targetILNS1_3genE8ELNS1_11target_archE1030ELNS1_3gpuE2ELNS1_3repE0EEENS1_30default_config_static_selectorELNS0_4arch9wavefront6targetE0EEEvT1_.num_vgpr, 0
	.set _ZN7rocprim17ROCPRIM_400000_NS6detail17trampoline_kernelINS0_14default_configENS1_25partition_config_selectorILNS1_17partition_subalgoE8ElNS0_10empty_typeEbEEZZNS1_14partition_implILS5_8ELb0ES3_jPKlPS6_PKS6_NS0_5tupleIJPlS6_EEENSE_IJSB_SB_EEENS0_18inequality_wrapperIN6hipcub16HIPCUB_304000_NS8EqualityEEESF_JS6_EEE10hipError_tPvRmT3_T4_T5_T6_T7_T9_mT8_P12ihipStream_tbDpT10_ENKUlT_T0_E_clISt17integral_constantIbLb1EES16_EEDaS11_S12_EUlS11_E_NS1_11comp_targetILNS1_3genE8ELNS1_11target_archE1030ELNS1_3gpuE2ELNS1_3repE0EEENS1_30default_config_static_selectorELNS0_4arch9wavefront6targetE0EEEvT1_.num_agpr, 0
	.set _ZN7rocprim17ROCPRIM_400000_NS6detail17trampoline_kernelINS0_14default_configENS1_25partition_config_selectorILNS1_17partition_subalgoE8ElNS0_10empty_typeEbEEZZNS1_14partition_implILS5_8ELb0ES3_jPKlPS6_PKS6_NS0_5tupleIJPlS6_EEENSE_IJSB_SB_EEENS0_18inequality_wrapperIN6hipcub16HIPCUB_304000_NS8EqualityEEESF_JS6_EEE10hipError_tPvRmT3_T4_T5_T6_T7_T9_mT8_P12ihipStream_tbDpT10_ENKUlT_T0_E_clISt17integral_constantIbLb1EES16_EEDaS11_S12_EUlS11_E_NS1_11comp_targetILNS1_3genE8ELNS1_11target_archE1030ELNS1_3gpuE2ELNS1_3repE0EEENS1_30default_config_static_selectorELNS0_4arch9wavefront6targetE0EEEvT1_.numbered_sgpr, 0
	.set _ZN7rocprim17ROCPRIM_400000_NS6detail17trampoline_kernelINS0_14default_configENS1_25partition_config_selectorILNS1_17partition_subalgoE8ElNS0_10empty_typeEbEEZZNS1_14partition_implILS5_8ELb0ES3_jPKlPS6_PKS6_NS0_5tupleIJPlS6_EEENSE_IJSB_SB_EEENS0_18inequality_wrapperIN6hipcub16HIPCUB_304000_NS8EqualityEEESF_JS6_EEE10hipError_tPvRmT3_T4_T5_T6_T7_T9_mT8_P12ihipStream_tbDpT10_ENKUlT_T0_E_clISt17integral_constantIbLb1EES16_EEDaS11_S12_EUlS11_E_NS1_11comp_targetILNS1_3genE8ELNS1_11target_archE1030ELNS1_3gpuE2ELNS1_3repE0EEENS1_30default_config_static_selectorELNS0_4arch9wavefront6targetE0EEEvT1_.num_named_barrier, 0
	.set _ZN7rocprim17ROCPRIM_400000_NS6detail17trampoline_kernelINS0_14default_configENS1_25partition_config_selectorILNS1_17partition_subalgoE8ElNS0_10empty_typeEbEEZZNS1_14partition_implILS5_8ELb0ES3_jPKlPS6_PKS6_NS0_5tupleIJPlS6_EEENSE_IJSB_SB_EEENS0_18inequality_wrapperIN6hipcub16HIPCUB_304000_NS8EqualityEEESF_JS6_EEE10hipError_tPvRmT3_T4_T5_T6_T7_T9_mT8_P12ihipStream_tbDpT10_ENKUlT_T0_E_clISt17integral_constantIbLb1EES16_EEDaS11_S12_EUlS11_E_NS1_11comp_targetILNS1_3genE8ELNS1_11target_archE1030ELNS1_3gpuE2ELNS1_3repE0EEENS1_30default_config_static_selectorELNS0_4arch9wavefront6targetE0EEEvT1_.private_seg_size, 0
	.set _ZN7rocprim17ROCPRIM_400000_NS6detail17trampoline_kernelINS0_14default_configENS1_25partition_config_selectorILNS1_17partition_subalgoE8ElNS0_10empty_typeEbEEZZNS1_14partition_implILS5_8ELb0ES3_jPKlPS6_PKS6_NS0_5tupleIJPlS6_EEENSE_IJSB_SB_EEENS0_18inequality_wrapperIN6hipcub16HIPCUB_304000_NS8EqualityEEESF_JS6_EEE10hipError_tPvRmT3_T4_T5_T6_T7_T9_mT8_P12ihipStream_tbDpT10_ENKUlT_T0_E_clISt17integral_constantIbLb1EES16_EEDaS11_S12_EUlS11_E_NS1_11comp_targetILNS1_3genE8ELNS1_11target_archE1030ELNS1_3gpuE2ELNS1_3repE0EEENS1_30default_config_static_selectorELNS0_4arch9wavefront6targetE0EEEvT1_.uses_vcc, 0
	.set _ZN7rocprim17ROCPRIM_400000_NS6detail17trampoline_kernelINS0_14default_configENS1_25partition_config_selectorILNS1_17partition_subalgoE8ElNS0_10empty_typeEbEEZZNS1_14partition_implILS5_8ELb0ES3_jPKlPS6_PKS6_NS0_5tupleIJPlS6_EEENSE_IJSB_SB_EEENS0_18inequality_wrapperIN6hipcub16HIPCUB_304000_NS8EqualityEEESF_JS6_EEE10hipError_tPvRmT3_T4_T5_T6_T7_T9_mT8_P12ihipStream_tbDpT10_ENKUlT_T0_E_clISt17integral_constantIbLb1EES16_EEDaS11_S12_EUlS11_E_NS1_11comp_targetILNS1_3genE8ELNS1_11target_archE1030ELNS1_3gpuE2ELNS1_3repE0EEENS1_30default_config_static_selectorELNS0_4arch9wavefront6targetE0EEEvT1_.uses_flat_scratch, 0
	.set _ZN7rocprim17ROCPRIM_400000_NS6detail17trampoline_kernelINS0_14default_configENS1_25partition_config_selectorILNS1_17partition_subalgoE8ElNS0_10empty_typeEbEEZZNS1_14partition_implILS5_8ELb0ES3_jPKlPS6_PKS6_NS0_5tupleIJPlS6_EEENSE_IJSB_SB_EEENS0_18inequality_wrapperIN6hipcub16HIPCUB_304000_NS8EqualityEEESF_JS6_EEE10hipError_tPvRmT3_T4_T5_T6_T7_T9_mT8_P12ihipStream_tbDpT10_ENKUlT_T0_E_clISt17integral_constantIbLb1EES16_EEDaS11_S12_EUlS11_E_NS1_11comp_targetILNS1_3genE8ELNS1_11target_archE1030ELNS1_3gpuE2ELNS1_3repE0EEENS1_30default_config_static_selectorELNS0_4arch9wavefront6targetE0EEEvT1_.has_dyn_sized_stack, 0
	.set _ZN7rocprim17ROCPRIM_400000_NS6detail17trampoline_kernelINS0_14default_configENS1_25partition_config_selectorILNS1_17partition_subalgoE8ElNS0_10empty_typeEbEEZZNS1_14partition_implILS5_8ELb0ES3_jPKlPS6_PKS6_NS0_5tupleIJPlS6_EEENSE_IJSB_SB_EEENS0_18inequality_wrapperIN6hipcub16HIPCUB_304000_NS8EqualityEEESF_JS6_EEE10hipError_tPvRmT3_T4_T5_T6_T7_T9_mT8_P12ihipStream_tbDpT10_ENKUlT_T0_E_clISt17integral_constantIbLb1EES16_EEDaS11_S12_EUlS11_E_NS1_11comp_targetILNS1_3genE8ELNS1_11target_archE1030ELNS1_3gpuE2ELNS1_3repE0EEENS1_30default_config_static_selectorELNS0_4arch9wavefront6targetE0EEEvT1_.has_recursion, 0
	.set _ZN7rocprim17ROCPRIM_400000_NS6detail17trampoline_kernelINS0_14default_configENS1_25partition_config_selectorILNS1_17partition_subalgoE8ElNS0_10empty_typeEbEEZZNS1_14partition_implILS5_8ELb0ES3_jPKlPS6_PKS6_NS0_5tupleIJPlS6_EEENSE_IJSB_SB_EEENS0_18inequality_wrapperIN6hipcub16HIPCUB_304000_NS8EqualityEEESF_JS6_EEE10hipError_tPvRmT3_T4_T5_T6_T7_T9_mT8_P12ihipStream_tbDpT10_ENKUlT_T0_E_clISt17integral_constantIbLb1EES16_EEDaS11_S12_EUlS11_E_NS1_11comp_targetILNS1_3genE8ELNS1_11target_archE1030ELNS1_3gpuE2ELNS1_3repE0EEENS1_30default_config_static_selectorELNS0_4arch9wavefront6targetE0EEEvT1_.has_indirect_call, 0
	.section	.AMDGPU.csdata,"",@progbits
; Kernel info:
; codeLenInByte = 0
; TotalNumSgprs: 0
; NumVgprs: 0
; ScratchSize: 0
; MemoryBound: 0
; FloatMode: 240
; IeeeMode: 1
; LDSByteSize: 0 bytes/workgroup (compile time only)
; SGPRBlocks: 0
; VGPRBlocks: 0
; NumSGPRsForWavesPerEU: 1
; NumVGPRsForWavesPerEU: 1
; NamedBarCnt: 0
; Occupancy: 16
; WaveLimiterHint : 0
; COMPUTE_PGM_RSRC2:SCRATCH_EN: 0
; COMPUTE_PGM_RSRC2:USER_SGPR: 2
; COMPUTE_PGM_RSRC2:TRAP_HANDLER: 0
; COMPUTE_PGM_RSRC2:TGID_X_EN: 1
; COMPUTE_PGM_RSRC2:TGID_Y_EN: 0
; COMPUTE_PGM_RSRC2:TGID_Z_EN: 0
; COMPUTE_PGM_RSRC2:TIDIG_COMP_CNT: 0
	.section	.text._ZN7rocprim17ROCPRIM_400000_NS6detail17trampoline_kernelINS0_14default_configENS1_25partition_config_selectorILNS1_17partition_subalgoE8ElNS0_10empty_typeEbEEZZNS1_14partition_implILS5_8ELb0ES3_jPKlPS6_PKS6_NS0_5tupleIJPlS6_EEENSE_IJSB_SB_EEENS0_18inequality_wrapperIN6hipcub16HIPCUB_304000_NS8EqualityEEESF_JS6_EEE10hipError_tPvRmT3_T4_T5_T6_T7_T9_mT8_P12ihipStream_tbDpT10_ENKUlT_T0_E_clISt17integral_constantIbLb1EES15_IbLb0EEEEDaS11_S12_EUlS11_E_NS1_11comp_targetILNS1_3genE0ELNS1_11target_archE4294967295ELNS1_3gpuE0ELNS1_3repE0EEENS1_30default_config_static_selectorELNS0_4arch9wavefront6targetE0EEEvT1_,"axG",@progbits,_ZN7rocprim17ROCPRIM_400000_NS6detail17trampoline_kernelINS0_14default_configENS1_25partition_config_selectorILNS1_17partition_subalgoE8ElNS0_10empty_typeEbEEZZNS1_14partition_implILS5_8ELb0ES3_jPKlPS6_PKS6_NS0_5tupleIJPlS6_EEENSE_IJSB_SB_EEENS0_18inequality_wrapperIN6hipcub16HIPCUB_304000_NS8EqualityEEESF_JS6_EEE10hipError_tPvRmT3_T4_T5_T6_T7_T9_mT8_P12ihipStream_tbDpT10_ENKUlT_T0_E_clISt17integral_constantIbLb1EES15_IbLb0EEEEDaS11_S12_EUlS11_E_NS1_11comp_targetILNS1_3genE0ELNS1_11target_archE4294967295ELNS1_3gpuE0ELNS1_3repE0EEENS1_30default_config_static_selectorELNS0_4arch9wavefront6targetE0EEEvT1_,comdat
	.protected	_ZN7rocprim17ROCPRIM_400000_NS6detail17trampoline_kernelINS0_14default_configENS1_25partition_config_selectorILNS1_17partition_subalgoE8ElNS0_10empty_typeEbEEZZNS1_14partition_implILS5_8ELb0ES3_jPKlPS6_PKS6_NS0_5tupleIJPlS6_EEENSE_IJSB_SB_EEENS0_18inequality_wrapperIN6hipcub16HIPCUB_304000_NS8EqualityEEESF_JS6_EEE10hipError_tPvRmT3_T4_T5_T6_T7_T9_mT8_P12ihipStream_tbDpT10_ENKUlT_T0_E_clISt17integral_constantIbLb1EES15_IbLb0EEEEDaS11_S12_EUlS11_E_NS1_11comp_targetILNS1_3genE0ELNS1_11target_archE4294967295ELNS1_3gpuE0ELNS1_3repE0EEENS1_30default_config_static_selectorELNS0_4arch9wavefront6targetE0EEEvT1_ ; -- Begin function _ZN7rocprim17ROCPRIM_400000_NS6detail17trampoline_kernelINS0_14default_configENS1_25partition_config_selectorILNS1_17partition_subalgoE8ElNS0_10empty_typeEbEEZZNS1_14partition_implILS5_8ELb0ES3_jPKlPS6_PKS6_NS0_5tupleIJPlS6_EEENSE_IJSB_SB_EEENS0_18inequality_wrapperIN6hipcub16HIPCUB_304000_NS8EqualityEEESF_JS6_EEE10hipError_tPvRmT3_T4_T5_T6_T7_T9_mT8_P12ihipStream_tbDpT10_ENKUlT_T0_E_clISt17integral_constantIbLb1EES15_IbLb0EEEEDaS11_S12_EUlS11_E_NS1_11comp_targetILNS1_3genE0ELNS1_11target_archE4294967295ELNS1_3gpuE0ELNS1_3repE0EEENS1_30default_config_static_selectorELNS0_4arch9wavefront6targetE0EEEvT1_
	.globl	_ZN7rocprim17ROCPRIM_400000_NS6detail17trampoline_kernelINS0_14default_configENS1_25partition_config_selectorILNS1_17partition_subalgoE8ElNS0_10empty_typeEbEEZZNS1_14partition_implILS5_8ELb0ES3_jPKlPS6_PKS6_NS0_5tupleIJPlS6_EEENSE_IJSB_SB_EEENS0_18inequality_wrapperIN6hipcub16HIPCUB_304000_NS8EqualityEEESF_JS6_EEE10hipError_tPvRmT3_T4_T5_T6_T7_T9_mT8_P12ihipStream_tbDpT10_ENKUlT_T0_E_clISt17integral_constantIbLb1EES15_IbLb0EEEEDaS11_S12_EUlS11_E_NS1_11comp_targetILNS1_3genE0ELNS1_11target_archE4294967295ELNS1_3gpuE0ELNS1_3repE0EEENS1_30default_config_static_selectorELNS0_4arch9wavefront6targetE0EEEvT1_
	.p2align	8
	.type	_ZN7rocprim17ROCPRIM_400000_NS6detail17trampoline_kernelINS0_14default_configENS1_25partition_config_selectorILNS1_17partition_subalgoE8ElNS0_10empty_typeEbEEZZNS1_14partition_implILS5_8ELb0ES3_jPKlPS6_PKS6_NS0_5tupleIJPlS6_EEENSE_IJSB_SB_EEENS0_18inequality_wrapperIN6hipcub16HIPCUB_304000_NS8EqualityEEESF_JS6_EEE10hipError_tPvRmT3_T4_T5_T6_T7_T9_mT8_P12ihipStream_tbDpT10_ENKUlT_T0_E_clISt17integral_constantIbLb1EES15_IbLb0EEEEDaS11_S12_EUlS11_E_NS1_11comp_targetILNS1_3genE0ELNS1_11target_archE4294967295ELNS1_3gpuE0ELNS1_3repE0EEENS1_30default_config_static_selectorELNS0_4arch9wavefront6targetE0EEEvT1_,@function
_ZN7rocprim17ROCPRIM_400000_NS6detail17trampoline_kernelINS0_14default_configENS1_25partition_config_selectorILNS1_17partition_subalgoE8ElNS0_10empty_typeEbEEZZNS1_14partition_implILS5_8ELb0ES3_jPKlPS6_PKS6_NS0_5tupleIJPlS6_EEENSE_IJSB_SB_EEENS0_18inequality_wrapperIN6hipcub16HIPCUB_304000_NS8EqualityEEESF_JS6_EEE10hipError_tPvRmT3_T4_T5_T6_T7_T9_mT8_P12ihipStream_tbDpT10_ENKUlT_T0_E_clISt17integral_constantIbLb1EES15_IbLb0EEEEDaS11_S12_EUlS11_E_NS1_11comp_targetILNS1_3genE0ELNS1_11target_archE4294967295ELNS1_3gpuE0ELNS1_3repE0EEENS1_30default_config_static_selectorELNS0_4arch9wavefront6targetE0EEEvT1_: ; @_ZN7rocprim17ROCPRIM_400000_NS6detail17trampoline_kernelINS0_14default_configENS1_25partition_config_selectorILNS1_17partition_subalgoE8ElNS0_10empty_typeEbEEZZNS1_14partition_implILS5_8ELb0ES3_jPKlPS6_PKS6_NS0_5tupleIJPlS6_EEENSE_IJSB_SB_EEENS0_18inequality_wrapperIN6hipcub16HIPCUB_304000_NS8EqualityEEESF_JS6_EEE10hipError_tPvRmT3_T4_T5_T6_T7_T9_mT8_P12ihipStream_tbDpT10_ENKUlT_T0_E_clISt17integral_constantIbLb1EES15_IbLb0EEEEDaS11_S12_EUlS11_E_NS1_11comp_targetILNS1_3genE0ELNS1_11target_archE4294967295ELNS1_3gpuE0ELNS1_3repE0EEENS1_30default_config_static_selectorELNS0_4arch9wavefront6targetE0EEEvT1_
; %bb.0:
	s_endpgm
	.section	.rodata,"a",@progbits
	.p2align	6, 0x0
	.amdhsa_kernel _ZN7rocprim17ROCPRIM_400000_NS6detail17trampoline_kernelINS0_14default_configENS1_25partition_config_selectorILNS1_17partition_subalgoE8ElNS0_10empty_typeEbEEZZNS1_14partition_implILS5_8ELb0ES3_jPKlPS6_PKS6_NS0_5tupleIJPlS6_EEENSE_IJSB_SB_EEENS0_18inequality_wrapperIN6hipcub16HIPCUB_304000_NS8EqualityEEESF_JS6_EEE10hipError_tPvRmT3_T4_T5_T6_T7_T9_mT8_P12ihipStream_tbDpT10_ENKUlT_T0_E_clISt17integral_constantIbLb1EES15_IbLb0EEEEDaS11_S12_EUlS11_E_NS1_11comp_targetILNS1_3genE0ELNS1_11target_archE4294967295ELNS1_3gpuE0ELNS1_3repE0EEENS1_30default_config_static_selectorELNS0_4arch9wavefront6targetE0EEEvT1_
		.amdhsa_group_segment_fixed_size 0
		.amdhsa_private_segment_fixed_size 0
		.amdhsa_kernarg_size 112
		.amdhsa_user_sgpr_count 2
		.amdhsa_user_sgpr_dispatch_ptr 0
		.amdhsa_user_sgpr_queue_ptr 0
		.amdhsa_user_sgpr_kernarg_segment_ptr 1
		.amdhsa_user_sgpr_dispatch_id 0
		.amdhsa_user_sgpr_kernarg_preload_length 0
		.amdhsa_user_sgpr_kernarg_preload_offset 0
		.amdhsa_user_sgpr_private_segment_size 0
		.amdhsa_wavefront_size32 1
		.amdhsa_uses_dynamic_stack 0
		.amdhsa_enable_private_segment 0
		.amdhsa_system_sgpr_workgroup_id_x 1
		.amdhsa_system_sgpr_workgroup_id_y 0
		.amdhsa_system_sgpr_workgroup_id_z 0
		.amdhsa_system_sgpr_workgroup_info 0
		.amdhsa_system_vgpr_workitem_id 0
		.amdhsa_next_free_vgpr 1
		.amdhsa_next_free_sgpr 1
		.amdhsa_named_barrier_count 0
		.amdhsa_reserve_vcc 0
		.amdhsa_float_round_mode_32 0
		.amdhsa_float_round_mode_16_64 0
		.amdhsa_float_denorm_mode_32 3
		.amdhsa_float_denorm_mode_16_64 3
		.amdhsa_fp16_overflow 0
		.amdhsa_memory_ordered 1
		.amdhsa_forward_progress 1
		.amdhsa_inst_pref_size 1
		.amdhsa_round_robin_scheduling 0
		.amdhsa_exception_fp_ieee_invalid_op 0
		.amdhsa_exception_fp_denorm_src 0
		.amdhsa_exception_fp_ieee_div_zero 0
		.amdhsa_exception_fp_ieee_overflow 0
		.amdhsa_exception_fp_ieee_underflow 0
		.amdhsa_exception_fp_ieee_inexact 0
		.amdhsa_exception_int_div_zero 0
	.end_amdhsa_kernel
	.section	.text._ZN7rocprim17ROCPRIM_400000_NS6detail17trampoline_kernelINS0_14default_configENS1_25partition_config_selectorILNS1_17partition_subalgoE8ElNS0_10empty_typeEbEEZZNS1_14partition_implILS5_8ELb0ES3_jPKlPS6_PKS6_NS0_5tupleIJPlS6_EEENSE_IJSB_SB_EEENS0_18inequality_wrapperIN6hipcub16HIPCUB_304000_NS8EqualityEEESF_JS6_EEE10hipError_tPvRmT3_T4_T5_T6_T7_T9_mT8_P12ihipStream_tbDpT10_ENKUlT_T0_E_clISt17integral_constantIbLb1EES15_IbLb0EEEEDaS11_S12_EUlS11_E_NS1_11comp_targetILNS1_3genE0ELNS1_11target_archE4294967295ELNS1_3gpuE0ELNS1_3repE0EEENS1_30default_config_static_selectorELNS0_4arch9wavefront6targetE0EEEvT1_,"axG",@progbits,_ZN7rocprim17ROCPRIM_400000_NS6detail17trampoline_kernelINS0_14default_configENS1_25partition_config_selectorILNS1_17partition_subalgoE8ElNS0_10empty_typeEbEEZZNS1_14partition_implILS5_8ELb0ES3_jPKlPS6_PKS6_NS0_5tupleIJPlS6_EEENSE_IJSB_SB_EEENS0_18inequality_wrapperIN6hipcub16HIPCUB_304000_NS8EqualityEEESF_JS6_EEE10hipError_tPvRmT3_T4_T5_T6_T7_T9_mT8_P12ihipStream_tbDpT10_ENKUlT_T0_E_clISt17integral_constantIbLb1EES15_IbLb0EEEEDaS11_S12_EUlS11_E_NS1_11comp_targetILNS1_3genE0ELNS1_11target_archE4294967295ELNS1_3gpuE0ELNS1_3repE0EEENS1_30default_config_static_selectorELNS0_4arch9wavefront6targetE0EEEvT1_,comdat
.Lfunc_end242:
	.size	_ZN7rocprim17ROCPRIM_400000_NS6detail17trampoline_kernelINS0_14default_configENS1_25partition_config_selectorILNS1_17partition_subalgoE8ElNS0_10empty_typeEbEEZZNS1_14partition_implILS5_8ELb0ES3_jPKlPS6_PKS6_NS0_5tupleIJPlS6_EEENSE_IJSB_SB_EEENS0_18inequality_wrapperIN6hipcub16HIPCUB_304000_NS8EqualityEEESF_JS6_EEE10hipError_tPvRmT3_T4_T5_T6_T7_T9_mT8_P12ihipStream_tbDpT10_ENKUlT_T0_E_clISt17integral_constantIbLb1EES15_IbLb0EEEEDaS11_S12_EUlS11_E_NS1_11comp_targetILNS1_3genE0ELNS1_11target_archE4294967295ELNS1_3gpuE0ELNS1_3repE0EEENS1_30default_config_static_selectorELNS0_4arch9wavefront6targetE0EEEvT1_, .Lfunc_end242-_ZN7rocprim17ROCPRIM_400000_NS6detail17trampoline_kernelINS0_14default_configENS1_25partition_config_selectorILNS1_17partition_subalgoE8ElNS0_10empty_typeEbEEZZNS1_14partition_implILS5_8ELb0ES3_jPKlPS6_PKS6_NS0_5tupleIJPlS6_EEENSE_IJSB_SB_EEENS0_18inequality_wrapperIN6hipcub16HIPCUB_304000_NS8EqualityEEESF_JS6_EEE10hipError_tPvRmT3_T4_T5_T6_T7_T9_mT8_P12ihipStream_tbDpT10_ENKUlT_T0_E_clISt17integral_constantIbLb1EES15_IbLb0EEEEDaS11_S12_EUlS11_E_NS1_11comp_targetILNS1_3genE0ELNS1_11target_archE4294967295ELNS1_3gpuE0ELNS1_3repE0EEENS1_30default_config_static_selectorELNS0_4arch9wavefront6targetE0EEEvT1_
                                        ; -- End function
	.set _ZN7rocprim17ROCPRIM_400000_NS6detail17trampoline_kernelINS0_14default_configENS1_25partition_config_selectorILNS1_17partition_subalgoE8ElNS0_10empty_typeEbEEZZNS1_14partition_implILS5_8ELb0ES3_jPKlPS6_PKS6_NS0_5tupleIJPlS6_EEENSE_IJSB_SB_EEENS0_18inequality_wrapperIN6hipcub16HIPCUB_304000_NS8EqualityEEESF_JS6_EEE10hipError_tPvRmT3_T4_T5_T6_T7_T9_mT8_P12ihipStream_tbDpT10_ENKUlT_T0_E_clISt17integral_constantIbLb1EES15_IbLb0EEEEDaS11_S12_EUlS11_E_NS1_11comp_targetILNS1_3genE0ELNS1_11target_archE4294967295ELNS1_3gpuE0ELNS1_3repE0EEENS1_30default_config_static_selectorELNS0_4arch9wavefront6targetE0EEEvT1_.num_vgpr, 0
	.set _ZN7rocprim17ROCPRIM_400000_NS6detail17trampoline_kernelINS0_14default_configENS1_25partition_config_selectorILNS1_17partition_subalgoE8ElNS0_10empty_typeEbEEZZNS1_14partition_implILS5_8ELb0ES3_jPKlPS6_PKS6_NS0_5tupleIJPlS6_EEENSE_IJSB_SB_EEENS0_18inequality_wrapperIN6hipcub16HIPCUB_304000_NS8EqualityEEESF_JS6_EEE10hipError_tPvRmT3_T4_T5_T6_T7_T9_mT8_P12ihipStream_tbDpT10_ENKUlT_T0_E_clISt17integral_constantIbLb1EES15_IbLb0EEEEDaS11_S12_EUlS11_E_NS1_11comp_targetILNS1_3genE0ELNS1_11target_archE4294967295ELNS1_3gpuE0ELNS1_3repE0EEENS1_30default_config_static_selectorELNS0_4arch9wavefront6targetE0EEEvT1_.num_agpr, 0
	.set _ZN7rocprim17ROCPRIM_400000_NS6detail17trampoline_kernelINS0_14default_configENS1_25partition_config_selectorILNS1_17partition_subalgoE8ElNS0_10empty_typeEbEEZZNS1_14partition_implILS5_8ELb0ES3_jPKlPS6_PKS6_NS0_5tupleIJPlS6_EEENSE_IJSB_SB_EEENS0_18inequality_wrapperIN6hipcub16HIPCUB_304000_NS8EqualityEEESF_JS6_EEE10hipError_tPvRmT3_T4_T5_T6_T7_T9_mT8_P12ihipStream_tbDpT10_ENKUlT_T0_E_clISt17integral_constantIbLb1EES15_IbLb0EEEEDaS11_S12_EUlS11_E_NS1_11comp_targetILNS1_3genE0ELNS1_11target_archE4294967295ELNS1_3gpuE0ELNS1_3repE0EEENS1_30default_config_static_selectorELNS0_4arch9wavefront6targetE0EEEvT1_.numbered_sgpr, 0
	.set _ZN7rocprim17ROCPRIM_400000_NS6detail17trampoline_kernelINS0_14default_configENS1_25partition_config_selectorILNS1_17partition_subalgoE8ElNS0_10empty_typeEbEEZZNS1_14partition_implILS5_8ELb0ES3_jPKlPS6_PKS6_NS0_5tupleIJPlS6_EEENSE_IJSB_SB_EEENS0_18inequality_wrapperIN6hipcub16HIPCUB_304000_NS8EqualityEEESF_JS6_EEE10hipError_tPvRmT3_T4_T5_T6_T7_T9_mT8_P12ihipStream_tbDpT10_ENKUlT_T0_E_clISt17integral_constantIbLb1EES15_IbLb0EEEEDaS11_S12_EUlS11_E_NS1_11comp_targetILNS1_3genE0ELNS1_11target_archE4294967295ELNS1_3gpuE0ELNS1_3repE0EEENS1_30default_config_static_selectorELNS0_4arch9wavefront6targetE0EEEvT1_.num_named_barrier, 0
	.set _ZN7rocprim17ROCPRIM_400000_NS6detail17trampoline_kernelINS0_14default_configENS1_25partition_config_selectorILNS1_17partition_subalgoE8ElNS0_10empty_typeEbEEZZNS1_14partition_implILS5_8ELb0ES3_jPKlPS6_PKS6_NS0_5tupleIJPlS6_EEENSE_IJSB_SB_EEENS0_18inequality_wrapperIN6hipcub16HIPCUB_304000_NS8EqualityEEESF_JS6_EEE10hipError_tPvRmT3_T4_T5_T6_T7_T9_mT8_P12ihipStream_tbDpT10_ENKUlT_T0_E_clISt17integral_constantIbLb1EES15_IbLb0EEEEDaS11_S12_EUlS11_E_NS1_11comp_targetILNS1_3genE0ELNS1_11target_archE4294967295ELNS1_3gpuE0ELNS1_3repE0EEENS1_30default_config_static_selectorELNS0_4arch9wavefront6targetE0EEEvT1_.private_seg_size, 0
	.set _ZN7rocprim17ROCPRIM_400000_NS6detail17trampoline_kernelINS0_14default_configENS1_25partition_config_selectorILNS1_17partition_subalgoE8ElNS0_10empty_typeEbEEZZNS1_14partition_implILS5_8ELb0ES3_jPKlPS6_PKS6_NS0_5tupleIJPlS6_EEENSE_IJSB_SB_EEENS0_18inequality_wrapperIN6hipcub16HIPCUB_304000_NS8EqualityEEESF_JS6_EEE10hipError_tPvRmT3_T4_T5_T6_T7_T9_mT8_P12ihipStream_tbDpT10_ENKUlT_T0_E_clISt17integral_constantIbLb1EES15_IbLb0EEEEDaS11_S12_EUlS11_E_NS1_11comp_targetILNS1_3genE0ELNS1_11target_archE4294967295ELNS1_3gpuE0ELNS1_3repE0EEENS1_30default_config_static_selectorELNS0_4arch9wavefront6targetE0EEEvT1_.uses_vcc, 0
	.set _ZN7rocprim17ROCPRIM_400000_NS6detail17trampoline_kernelINS0_14default_configENS1_25partition_config_selectorILNS1_17partition_subalgoE8ElNS0_10empty_typeEbEEZZNS1_14partition_implILS5_8ELb0ES3_jPKlPS6_PKS6_NS0_5tupleIJPlS6_EEENSE_IJSB_SB_EEENS0_18inequality_wrapperIN6hipcub16HIPCUB_304000_NS8EqualityEEESF_JS6_EEE10hipError_tPvRmT3_T4_T5_T6_T7_T9_mT8_P12ihipStream_tbDpT10_ENKUlT_T0_E_clISt17integral_constantIbLb1EES15_IbLb0EEEEDaS11_S12_EUlS11_E_NS1_11comp_targetILNS1_3genE0ELNS1_11target_archE4294967295ELNS1_3gpuE0ELNS1_3repE0EEENS1_30default_config_static_selectorELNS0_4arch9wavefront6targetE0EEEvT1_.uses_flat_scratch, 0
	.set _ZN7rocprim17ROCPRIM_400000_NS6detail17trampoline_kernelINS0_14default_configENS1_25partition_config_selectorILNS1_17partition_subalgoE8ElNS0_10empty_typeEbEEZZNS1_14partition_implILS5_8ELb0ES3_jPKlPS6_PKS6_NS0_5tupleIJPlS6_EEENSE_IJSB_SB_EEENS0_18inequality_wrapperIN6hipcub16HIPCUB_304000_NS8EqualityEEESF_JS6_EEE10hipError_tPvRmT3_T4_T5_T6_T7_T9_mT8_P12ihipStream_tbDpT10_ENKUlT_T0_E_clISt17integral_constantIbLb1EES15_IbLb0EEEEDaS11_S12_EUlS11_E_NS1_11comp_targetILNS1_3genE0ELNS1_11target_archE4294967295ELNS1_3gpuE0ELNS1_3repE0EEENS1_30default_config_static_selectorELNS0_4arch9wavefront6targetE0EEEvT1_.has_dyn_sized_stack, 0
	.set _ZN7rocprim17ROCPRIM_400000_NS6detail17trampoline_kernelINS0_14default_configENS1_25partition_config_selectorILNS1_17partition_subalgoE8ElNS0_10empty_typeEbEEZZNS1_14partition_implILS5_8ELb0ES3_jPKlPS6_PKS6_NS0_5tupleIJPlS6_EEENSE_IJSB_SB_EEENS0_18inequality_wrapperIN6hipcub16HIPCUB_304000_NS8EqualityEEESF_JS6_EEE10hipError_tPvRmT3_T4_T5_T6_T7_T9_mT8_P12ihipStream_tbDpT10_ENKUlT_T0_E_clISt17integral_constantIbLb1EES15_IbLb0EEEEDaS11_S12_EUlS11_E_NS1_11comp_targetILNS1_3genE0ELNS1_11target_archE4294967295ELNS1_3gpuE0ELNS1_3repE0EEENS1_30default_config_static_selectorELNS0_4arch9wavefront6targetE0EEEvT1_.has_recursion, 0
	.set _ZN7rocprim17ROCPRIM_400000_NS6detail17trampoline_kernelINS0_14default_configENS1_25partition_config_selectorILNS1_17partition_subalgoE8ElNS0_10empty_typeEbEEZZNS1_14partition_implILS5_8ELb0ES3_jPKlPS6_PKS6_NS0_5tupleIJPlS6_EEENSE_IJSB_SB_EEENS0_18inequality_wrapperIN6hipcub16HIPCUB_304000_NS8EqualityEEESF_JS6_EEE10hipError_tPvRmT3_T4_T5_T6_T7_T9_mT8_P12ihipStream_tbDpT10_ENKUlT_T0_E_clISt17integral_constantIbLb1EES15_IbLb0EEEEDaS11_S12_EUlS11_E_NS1_11comp_targetILNS1_3genE0ELNS1_11target_archE4294967295ELNS1_3gpuE0ELNS1_3repE0EEENS1_30default_config_static_selectorELNS0_4arch9wavefront6targetE0EEEvT1_.has_indirect_call, 0
	.section	.AMDGPU.csdata,"",@progbits
; Kernel info:
; codeLenInByte = 4
; TotalNumSgprs: 0
; NumVgprs: 0
; ScratchSize: 0
; MemoryBound: 0
; FloatMode: 240
; IeeeMode: 1
; LDSByteSize: 0 bytes/workgroup (compile time only)
; SGPRBlocks: 0
; VGPRBlocks: 0
; NumSGPRsForWavesPerEU: 1
; NumVGPRsForWavesPerEU: 1
; NamedBarCnt: 0
; Occupancy: 16
; WaveLimiterHint : 0
; COMPUTE_PGM_RSRC2:SCRATCH_EN: 0
; COMPUTE_PGM_RSRC2:USER_SGPR: 2
; COMPUTE_PGM_RSRC2:TRAP_HANDLER: 0
; COMPUTE_PGM_RSRC2:TGID_X_EN: 1
; COMPUTE_PGM_RSRC2:TGID_Y_EN: 0
; COMPUTE_PGM_RSRC2:TGID_Z_EN: 0
; COMPUTE_PGM_RSRC2:TIDIG_COMP_CNT: 0
	.section	.text._ZN7rocprim17ROCPRIM_400000_NS6detail17trampoline_kernelINS0_14default_configENS1_25partition_config_selectorILNS1_17partition_subalgoE8ElNS0_10empty_typeEbEEZZNS1_14partition_implILS5_8ELb0ES3_jPKlPS6_PKS6_NS0_5tupleIJPlS6_EEENSE_IJSB_SB_EEENS0_18inequality_wrapperIN6hipcub16HIPCUB_304000_NS8EqualityEEESF_JS6_EEE10hipError_tPvRmT3_T4_T5_T6_T7_T9_mT8_P12ihipStream_tbDpT10_ENKUlT_T0_E_clISt17integral_constantIbLb1EES15_IbLb0EEEEDaS11_S12_EUlS11_E_NS1_11comp_targetILNS1_3genE5ELNS1_11target_archE942ELNS1_3gpuE9ELNS1_3repE0EEENS1_30default_config_static_selectorELNS0_4arch9wavefront6targetE0EEEvT1_,"axG",@progbits,_ZN7rocprim17ROCPRIM_400000_NS6detail17trampoline_kernelINS0_14default_configENS1_25partition_config_selectorILNS1_17partition_subalgoE8ElNS0_10empty_typeEbEEZZNS1_14partition_implILS5_8ELb0ES3_jPKlPS6_PKS6_NS0_5tupleIJPlS6_EEENSE_IJSB_SB_EEENS0_18inequality_wrapperIN6hipcub16HIPCUB_304000_NS8EqualityEEESF_JS6_EEE10hipError_tPvRmT3_T4_T5_T6_T7_T9_mT8_P12ihipStream_tbDpT10_ENKUlT_T0_E_clISt17integral_constantIbLb1EES15_IbLb0EEEEDaS11_S12_EUlS11_E_NS1_11comp_targetILNS1_3genE5ELNS1_11target_archE942ELNS1_3gpuE9ELNS1_3repE0EEENS1_30default_config_static_selectorELNS0_4arch9wavefront6targetE0EEEvT1_,comdat
	.protected	_ZN7rocprim17ROCPRIM_400000_NS6detail17trampoline_kernelINS0_14default_configENS1_25partition_config_selectorILNS1_17partition_subalgoE8ElNS0_10empty_typeEbEEZZNS1_14partition_implILS5_8ELb0ES3_jPKlPS6_PKS6_NS0_5tupleIJPlS6_EEENSE_IJSB_SB_EEENS0_18inequality_wrapperIN6hipcub16HIPCUB_304000_NS8EqualityEEESF_JS6_EEE10hipError_tPvRmT3_T4_T5_T6_T7_T9_mT8_P12ihipStream_tbDpT10_ENKUlT_T0_E_clISt17integral_constantIbLb1EES15_IbLb0EEEEDaS11_S12_EUlS11_E_NS1_11comp_targetILNS1_3genE5ELNS1_11target_archE942ELNS1_3gpuE9ELNS1_3repE0EEENS1_30default_config_static_selectorELNS0_4arch9wavefront6targetE0EEEvT1_ ; -- Begin function _ZN7rocprim17ROCPRIM_400000_NS6detail17trampoline_kernelINS0_14default_configENS1_25partition_config_selectorILNS1_17partition_subalgoE8ElNS0_10empty_typeEbEEZZNS1_14partition_implILS5_8ELb0ES3_jPKlPS6_PKS6_NS0_5tupleIJPlS6_EEENSE_IJSB_SB_EEENS0_18inequality_wrapperIN6hipcub16HIPCUB_304000_NS8EqualityEEESF_JS6_EEE10hipError_tPvRmT3_T4_T5_T6_T7_T9_mT8_P12ihipStream_tbDpT10_ENKUlT_T0_E_clISt17integral_constantIbLb1EES15_IbLb0EEEEDaS11_S12_EUlS11_E_NS1_11comp_targetILNS1_3genE5ELNS1_11target_archE942ELNS1_3gpuE9ELNS1_3repE0EEENS1_30default_config_static_selectorELNS0_4arch9wavefront6targetE0EEEvT1_
	.globl	_ZN7rocprim17ROCPRIM_400000_NS6detail17trampoline_kernelINS0_14default_configENS1_25partition_config_selectorILNS1_17partition_subalgoE8ElNS0_10empty_typeEbEEZZNS1_14partition_implILS5_8ELb0ES3_jPKlPS6_PKS6_NS0_5tupleIJPlS6_EEENSE_IJSB_SB_EEENS0_18inequality_wrapperIN6hipcub16HIPCUB_304000_NS8EqualityEEESF_JS6_EEE10hipError_tPvRmT3_T4_T5_T6_T7_T9_mT8_P12ihipStream_tbDpT10_ENKUlT_T0_E_clISt17integral_constantIbLb1EES15_IbLb0EEEEDaS11_S12_EUlS11_E_NS1_11comp_targetILNS1_3genE5ELNS1_11target_archE942ELNS1_3gpuE9ELNS1_3repE0EEENS1_30default_config_static_selectorELNS0_4arch9wavefront6targetE0EEEvT1_
	.p2align	8
	.type	_ZN7rocprim17ROCPRIM_400000_NS6detail17trampoline_kernelINS0_14default_configENS1_25partition_config_selectorILNS1_17partition_subalgoE8ElNS0_10empty_typeEbEEZZNS1_14partition_implILS5_8ELb0ES3_jPKlPS6_PKS6_NS0_5tupleIJPlS6_EEENSE_IJSB_SB_EEENS0_18inequality_wrapperIN6hipcub16HIPCUB_304000_NS8EqualityEEESF_JS6_EEE10hipError_tPvRmT3_T4_T5_T6_T7_T9_mT8_P12ihipStream_tbDpT10_ENKUlT_T0_E_clISt17integral_constantIbLb1EES15_IbLb0EEEEDaS11_S12_EUlS11_E_NS1_11comp_targetILNS1_3genE5ELNS1_11target_archE942ELNS1_3gpuE9ELNS1_3repE0EEENS1_30default_config_static_selectorELNS0_4arch9wavefront6targetE0EEEvT1_,@function
_ZN7rocprim17ROCPRIM_400000_NS6detail17trampoline_kernelINS0_14default_configENS1_25partition_config_selectorILNS1_17partition_subalgoE8ElNS0_10empty_typeEbEEZZNS1_14partition_implILS5_8ELb0ES3_jPKlPS6_PKS6_NS0_5tupleIJPlS6_EEENSE_IJSB_SB_EEENS0_18inequality_wrapperIN6hipcub16HIPCUB_304000_NS8EqualityEEESF_JS6_EEE10hipError_tPvRmT3_T4_T5_T6_T7_T9_mT8_P12ihipStream_tbDpT10_ENKUlT_T0_E_clISt17integral_constantIbLb1EES15_IbLb0EEEEDaS11_S12_EUlS11_E_NS1_11comp_targetILNS1_3genE5ELNS1_11target_archE942ELNS1_3gpuE9ELNS1_3repE0EEENS1_30default_config_static_selectorELNS0_4arch9wavefront6targetE0EEEvT1_: ; @_ZN7rocprim17ROCPRIM_400000_NS6detail17trampoline_kernelINS0_14default_configENS1_25partition_config_selectorILNS1_17partition_subalgoE8ElNS0_10empty_typeEbEEZZNS1_14partition_implILS5_8ELb0ES3_jPKlPS6_PKS6_NS0_5tupleIJPlS6_EEENSE_IJSB_SB_EEENS0_18inequality_wrapperIN6hipcub16HIPCUB_304000_NS8EqualityEEESF_JS6_EEE10hipError_tPvRmT3_T4_T5_T6_T7_T9_mT8_P12ihipStream_tbDpT10_ENKUlT_T0_E_clISt17integral_constantIbLb1EES15_IbLb0EEEEDaS11_S12_EUlS11_E_NS1_11comp_targetILNS1_3genE5ELNS1_11target_archE942ELNS1_3gpuE9ELNS1_3repE0EEENS1_30default_config_static_selectorELNS0_4arch9wavefront6targetE0EEEvT1_
; %bb.0:
	.section	.rodata,"a",@progbits
	.p2align	6, 0x0
	.amdhsa_kernel _ZN7rocprim17ROCPRIM_400000_NS6detail17trampoline_kernelINS0_14default_configENS1_25partition_config_selectorILNS1_17partition_subalgoE8ElNS0_10empty_typeEbEEZZNS1_14partition_implILS5_8ELb0ES3_jPKlPS6_PKS6_NS0_5tupleIJPlS6_EEENSE_IJSB_SB_EEENS0_18inequality_wrapperIN6hipcub16HIPCUB_304000_NS8EqualityEEESF_JS6_EEE10hipError_tPvRmT3_T4_T5_T6_T7_T9_mT8_P12ihipStream_tbDpT10_ENKUlT_T0_E_clISt17integral_constantIbLb1EES15_IbLb0EEEEDaS11_S12_EUlS11_E_NS1_11comp_targetILNS1_3genE5ELNS1_11target_archE942ELNS1_3gpuE9ELNS1_3repE0EEENS1_30default_config_static_selectorELNS0_4arch9wavefront6targetE0EEEvT1_
		.amdhsa_group_segment_fixed_size 0
		.amdhsa_private_segment_fixed_size 0
		.amdhsa_kernarg_size 112
		.amdhsa_user_sgpr_count 2
		.amdhsa_user_sgpr_dispatch_ptr 0
		.amdhsa_user_sgpr_queue_ptr 0
		.amdhsa_user_sgpr_kernarg_segment_ptr 1
		.amdhsa_user_sgpr_dispatch_id 0
		.amdhsa_user_sgpr_kernarg_preload_length 0
		.amdhsa_user_sgpr_kernarg_preload_offset 0
		.amdhsa_user_sgpr_private_segment_size 0
		.amdhsa_wavefront_size32 1
		.amdhsa_uses_dynamic_stack 0
		.amdhsa_enable_private_segment 0
		.amdhsa_system_sgpr_workgroup_id_x 1
		.amdhsa_system_sgpr_workgroup_id_y 0
		.amdhsa_system_sgpr_workgroup_id_z 0
		.amdhsa_system_sgpr_workgroup_info 0
		.amdhsa_system_vgpr_workitem_id 0
		.amdhsa_next_free_vgpr 1
		.amdhsa_next_free_sgpr 1
		.amdhsa_named_barrier_count 0
		.amdhsa_reserve_vcc 0
		.amdhsa_float_round_mode_32 0
		.amdhsa_float_round_mode_16_64 0
		.amdhsa_float_denorm_mode_32 3
		.amdhsa_float_denorm_mode_16_64 3
		.amdhsa_fp16_overflow 0
		.amdhsa_memory_ordered 1
		.amdhsa_forward_progress 1
		.amdhsa_inst_pref_size 0
		.amdhsa_round_robin_scheduling 0
		.amdhsa_exception_fp_ieee_invalid_op 0
		.amdhsa_exception_fp_denorm_src 0
		.amdhsa_exception_fp_ieee_div_zero 0
		.amdhsa_exception_fp_ieee_overflow 0
		.amdhsa_exception_fp_ieee_underflow 0
		.amdhsa_exception_fp_ieee_inexact 0
		.amdhsa_exception_int_div_zero 0
	.end_amdhsa_kernel
	.section	.text._ZN7rocprim17ROCPRIM_400000_NS6detail17trampoline_kernelINS0_14default_configENS1_25partition_config_selectorILNS1_17partition_subalgoE8ElNS0_10empty_typeEbEEZZNS1_14partition_implILS5_8ELb0ES3_jPKlPS6_PKS6_NS0_5tupleIJPlS6_EEENSE_IJSB_SB_EEENS0_18inequality_wrapperIN6hipcub16HIPCUB_304000_NS8EqualityEEESF_JS6_EEE10hipError_tPvRmT3_T4_T5_T6_T7_T9_mT8_P12ihipStream_tbDpT10_ENKUlT_T0_E_clISt17integral_constantIbLb1EES15_IbLb0EEEEDaS11_S12_EUlS11_E_NS1_11comp_targetILNS1_3genE5ELNS1_11target_archE942ELNS1_3gpuE9ELNS1_3repE0EEENS1_30default_config_static_selectorELNS0_4arch9wavefront6targetE0EEEvT1_,"axG",@progbits,_ZN7rocprim17ROCPRIM_400000_NS6detail17trampoline_kernelINS0_14default_configENS1_25partition_config_selectorILNS1_17partition_subalgoE8ElNS0_10empty_typeEbEEZZNS1_14partition_implILS5_8ELb0ES3_jPKlPS6_PKS6_NS0_5tupleIJPlS6_EEENSE_IJSB_SB_EEENS0_18inequality_wrapperIN6hipcub16HIPCUB_304000_NS8EqualityEEESF_JS6_EEE10hipError_tPvRmT3_T4_T5_T6_T7_T9_mT8_P12ihipStream_tbDpT10_ENKUlT_T0_E_clISt17integral_constantIbLb1EES15_IbLb0EEEEDaS11_S12_EUlS11_E_NS1_11comp_targetILNS1_3genE5ELNS1_11target_archE942ELNS1_3gpuE9ELNS1_3repE0EEENS1_30default_config_static_selectorELNS0_4arch9wavefront6targetE0EEEvT1_,comdat
.Lfunc_end243:
	.size	_ZN7rocprim17ROCPRIM_400000_NS6detail17trampoline_kernelINS0_14default_configENS1_25partition_config_selectorILNS1_17partition_subalgoE8ElNS0_10empty_typeEbEEZZNS1_14partition_implILS5_8ELb0ES3_jPKlPS6_PKS6_NS0_5tupleIJPlS6_EEENSE_IJSB_SB_EEENS0_18inequality_wrapperIN6hipcub16HIPCUB_304000_NS8EqualityEEESF_JS6_EEE10hipError_tPvRmT3_T4_T5_T6_T7_T9_mT8_P12ihipStream_tbDpT10_ENKUlT_T0_E_clISt17integral_constantIbLb1EES15_IbLb0EEEEDaS11_S12_EUlS11_E_NS1_11comp_targetILNS1_3genE5ELNS1_11target_archE942ELNS1_3gpuE9ELNS1_3repE0EEENS1_30default_config_static_selectorELNS0_4arch9wavefront6targetE0EEEvT1_, .Lfunc_end243-_ZN7rocprim17ROCPRIM_400000_NS6detail17trampoline_kernelINS0_14default_configENS1_25partition_config_selectorILNS1_17partition_subalgoE8ElNS0_10empty_typeEbEEZZNS1_14partition_implILS5_8ELb0ES3_jPKlPS6_PKS6_NS0_5tupleIJPlS6_EEENSE_IJSB_SB_EEENS0_18inequality_wrapperIN6hipcub16HIPCUB_304000_NS8EqualityEEESF_JS6_EEE10hipError_tPvRmT3_T4_T5_T6_T7_T9_mT8_P12ihipStream_tbDpT10_ENKUlT_T0_E_clISt17integral_constantIbLb1EES15_IbLb0EEEEDaS11_S12_EUlS11_E_NS1_11comp_targetILNS1_3genE5ELNS1_11target_archE942ELNS1_3gpuE9ELNS1_3repE0EEENS1_30default_config_static_selectorELNS0_4arch9wavefront6targetE0EEEvT1_
                                        ; -- End function
	.set _ZN7rocprim17ROCPRIM_400000_NS6detail17trampoline_kernelINS0_14default_configENS1_25partition_config_selectorILNS1_17partition_subalgoE8ElNS0_10empty_typeEbEEZZNS1_14partition_implILS5_8ELb0ES3_jPKlPS6_PKS6_NS0_5tupleIJPlS6_EEENSE_IJSB_SB_EEENS0_18inequality_wrapperIN6hipcub16HIPCUB_304000_NS8EqualityEEESF_JS6_EEE10hipError_tPvRmT3_T4_T5_T6_T7_T9_mT8_P12ihipStream_tbDpT10_ENKUlT_T0_E_clISt17integral_constantIbLb1EES15_IbLb0EEEEDaS11_S12_EUlS11_E_NS1_11comp_targetILNS1_3genE5ELNS1_11target_archE942ELNS1_3gpuE9ELNS1_3repE0EEENS1_30default_config_static_selectorELNS0_4arch9wavefront6targetE0EEEvT1_.num_vgpr, 0
	.set _ZN7rocprim17ROCPRIM_400000_NS6detail17trampoline_kernelINS0_14default_configENS1_25partition_config_selectorILNS1_17partition_subalgoE8ElNS0_10empty_typeEbEEZZNS1_14partition_implILS5_8ELb0ES3_jPKlPS6_PKS6_NS0_5tupleIJPlS6_EEENSE_IJSB_SB_EEENS0_18inequality_wrapperIN6hipcub16HIPCUB_304000_NS8EqualityEEESF_JS6_EEE10hipError_tPvRmT3_T4_T5_T6_T7_T9_mT8_P12ihipStream_tbDpT10_ENKUlT_T0_E_clISt17integral_constantIbLb1EES15_IbLb0EEEEDaS11_S12_EUlS11_E_NS1_11comp_targetILNS1_3genE5ELNS1_11target_archE942ELNS1_3gpuE9ELNS1_3repE0EEENS1_30default_config_static_selectorELNS0_4arch9wavefront6targetE0EEEvT1_.num_agpr, 0
	.set _ZN7rocprim17ROCPRIM_400000_NS6detail17trampoline_kernelINS0_14default_configENS1_25partition_config_selectorILNS1_17partition_subalgoE8ElNS0_10empty_typeEbEEZZNS1_14partition_implILS5_8ELb0ES3_jPKlPS6_PKS6_NS0_5tupleIJPlS6_EEENSE_IJSB_SB_EEENS0_18inequality_wrapperIN6hipcub16HIPCUB_304000_NS8EqualityEEESF_JS6_EEE10hipError_tPvRmT3_T4_T5_T6_T7_T9_mT8_P12ihipStream_tbDpT10_ENKUlT_T0_E_clISt17integral_constantIbLb1EES15_IbLb0EEEEDaS11_S12_EUlS11_E_NS1_11comp_targetILNS1_3genE5ELNS1_11target_archE942ELNS1_3gpuE9ELNS1_3repE0EEENS1_30default_config_static_selectorELNS0_4arch9wavefront6targetE0EEEvT1_.numbered_sgpr, 0
	.set _ZN7rocprim17ROCPRIM_400000_NS6detail17trampoline_kernelINS0_14default_configENS1_25partition_config_selectorILNS1_17partition_subalgoE8ElNS0_10empty_typeEbEEZZNS1_14partition_implILS5_8ELb0ES3_jPKlPS6_PKS6_NS0_5tupleIJPlS6_EEENSE_IJSB_SB_EEENS0_18inequality_wrapperIN6hipcub16HIPCUB_304000_NS8EqualityEEESF_JS6_EEE10hipError_tPvRmT3_T4_T5_T6_T7_T9_mT8_P12ihipStream_tbDpT10_ENKUlT_T0_E_clISt17integral_constantIbLb1EES15_IbLb0EEEEDaS11_S12_EUlS11_E_NS1_11comp_targetILNS1_3genE5ELNS1_11target_archE942ELNS1_3gpuE9ELNS1_3repE0EEENS1_30default_config_static_selectorELNS0_4arch9wavefront6targetE0EEEvT1_.num_named_barrier, 0
	.set _ZN7rocprim17ROCPRIM_400000_NS6detail17trampoline_kernelINS0_14default_configENS1_25partition_config_selectorILNS1_17partition_subalgoE8ElNS0_10empty_typeEbEEZZNS1_14partition_implILS5_8ELb0ES3_jPKlPS6_PKS6_NS0_5tupleIJPlS6_EEENSE_IJSB_SB_EEENS0_18inequality_wrapperIN6hipcub16HIPCUB_304000_NS8EqualityEEESF_JS6_EEE10hipError_tPvRmT3_T4_T5_T6_T7_T9_mT8_P12ihipStream_tbDpT10_ENKUlT_T0_E_clISt17integral_constantIbLb1EES15_IbLb0EEEEDaS11_S12_EUlS11_E_NS1_11comp_targetILNS1_3genE5ELNS1_11target_archE942ELNS1_3gpuE9ELNS1_3repE0EEENS1_30default_config_static_selectorELNS0_4arch9wavefront6targetE0EEEvT1_.private_seg_size, 0
	.set _ZN7rocprim17ROCPRIM_400000_NS6detail17trampoline_kernelINS0_14default_configENS1_25partition_config_selectorILNS1_17partition_subalgoE8ElNS0_10empty_typeEbEEZZNS1_14partition_implILS5_8ELb0ES3_jPKlPS6_PKS6_NS0_5tupleIJPlS6_EEENSE_IJSB_SB_EEENS0_18inequality_wrapperIN6hipcub16HIPCUB_304000_NS8EqualityEEESF_JS6_EEE10hipError_tPvRmT3_T4_T5_T6_T7_T9_mT8_P12ihipStream_tbDpT10_ENKUlT_T0_E_clISt17integral_constantIbLb1EES15_IbLb0EEEEDaS11_S12_EUlS11_E_NS1_11comp_targetILNS1_3genE5ELNS1_11target_archE942ELNS1_3gpuE9ELNS1_3repE0EEENS1_30default_config_static_selectorELNS0_4arch9wavefront6targetE0EEEvT1_.uses_vcc, 0
	.set _ZN7rocprim17ROCPRIM_400000_NS6detail17trampoline_kernelINS0_14default_configENS1_25partition_config_selectorILNS1_17partition_subalgoE8ElNS0_10empty_typeEbEEZZNS1_14partition_implILS5_8ELb0ES3_jPKlPS6_PKS6_NS0_5tupleIJPlS6_EEENSE_IJSB_SB_EEENS0_18inequality_wrapperIN6hipcub16HIPCUB_304000_NS8EqualityEEESF_JS6_EEE10hipError_tPvRmT3_T4_T5_T6_T7_T9_mT8_P12ihipStream_tbDpT10_ENKUlT_T0_E_clISt17integral_constantIbLb1EES15_IbLb0EEEEDaS11_S12_EUlS11_E_NS1_11comp_targetILNS1_3genE5ELNS1_11target_archE942ELNS1_3gpuE9ELNS1_3repE0EEENS1_30default_config_static_selectorELNS0_4arch9wavefront6targetE0EEEvT1_.uses_flat_scratch, 0
	.set _ZN7rocprim17ROCPRIM_400000_NS6detail17trampoline_kernelINS0_14default_configENS1_25partition_config_selectorILNS1_17partition_subalgoE8ElNS0_10empty_typeEbEEZZNS1_14partition_implILS5_8ELb0ES3_jPKlPS6_PKS6_NS0_5tupleIJPlS6_EEENSE_IJSB_SB_EEENS0_18inequality_wrapperIN6hipcub16HIPCUB_304000_NS8EqualityEEESF_JS6_EEE10hipError_tPvRmT3_T4_T5_T6_T7_T9_mT8_P12ihipStream_tbDpT10_ENKUlT_T0_E_clISt17integral_constantIbLb1EES15_IbLb0EEEEDaS11_S12_EUlS11_E_NS1_11comp_targetILNS1_3genE5ELNS1_11target_archE942ELNS1_3gpuE9ELNS1_3repE0EEENS1_30default_config_static_selectorELNS0_4arch9wavefront6targetE0EEEvT1_.has_dyn_sized_stack, 0
	.set _ZN7rocprim17ROCPRIM_400000_NS6detail17trampoline_kernelINS0_14default_configENS1_25partition_config_selectorILNS1_17partition_subalgoE8ElNS0_10empty_typeEbEEZZNS1_14partition_implILS5_8ELb0ES3_jPKlPS6_PKS6_NS0_5tupleIJPlS6_EEENSE_IJSB_SB_EEENS0_18inequality_wrapperIN6hipcub16HIPCUB_304000_NS8EqualityEEESF_JS6_EEE10hipError_tPvRmT3_T4_T5_T6_T7_T9_mT8_P12ihipStream_tbDpT10_ENKUlT_T0_E_clISt17integral_constantIbLb1EES15_IbLb0EEEEDaS11_S12_EUlS11_E_NS1_11comp_targetILNS1_3genE5ELNS1_11target_archE942ELNS1_3gpuE9ELNS1_3repE0EEENS1_30default_config_static_selectorELNS0_4arch9wavefront6targetE0EEEvT1_.has_recursion, 0
	.set _ZN7rocprim17ROCPRIM_400000_NS6detail17trampoline_kernelINS0_14default_configENS1_25partition_config_selectorILNS1_17partition_subalgoE8ElNS0_10empty_typeEbEEZZNS1_14partition_implILS5_8ELb0ES3_jPKlPS6_PKS6_NS0_5tupleIJPlS6_EEENSE_IJSB_SB_EEENS0_18inequality_wrapperIN6hipcub16HIPCUB_304000_NS8EqualityEEESF_JS6_EEE10hipError_tPvRmT3_T4_T5_T6_T7_T9_mT8_P12ihipStream_tbDpT10_ENKUlT_T0_E_clISt17integral_constantIbLb1EES15_IbLb0EEEEDaS11_S12_EUlS11_E_NS1_11comp_targetILNS1_3genE5ELNS1_11target_archE942ELNS1_3gpuE9ELNS1_3repE0EEENS1_30default_config_static_selectorELNS0_4arch9wavefront6targetE0EEEvT1_.has_indirect_call, 0
	.section	.AMDGPU.csdata,"",@progbits
; Kernel info:
; codeLenInByte = 0
; TotalNumSgprs: 0
; NumVgprs: 0
; ScratchSize: 0
; MemoryBound: 0
; FloatMode: 240
; IeeeMode: 1
; LDSByteSize: 0 bytes/workgroup (compile time only)
; SGPRBlocks: 0
; VGPRBlocks: 0
; NumSGPRsForWavesPerEU: 1
; NumVGPRsForWavesPerEU: 1
; NamedBarCnt: 0
; Occupancy: 16
; WaveLimiterHint : 0
; COMPUTE_PGM_RSRC2:SCRATCH_EN: 0
; COMPUTE_PGM_RSRC2:USER_SGPR: 2
; COMPUTE_PGM_RSRC2:TRAP_HANDLER: 0
; COMPUTE_PGM_RSRC2:TGID_X_EN: 1
; COMPUTE_PGM_RSRC2:TGID_Y_EN: 0
; COMPUTE_PGM_RSRC2:TGID_Z_EN: 0
; COMPUTE_PGM_RSRC2:TIDIG_COMP_CNT: 0
	.section	.text._ZN7rocprim17ROCPRIM_400000_NS6detail17trampoline_kernelINS0_14default_configENS1_25partition_config_selectorILNS1_17partition_subalgoE8ElNS0_10empty_typeEbEEZZNS1_14partition_implILS5_8ELb0ES3_jPKlPS6_PKS6_NS0_5tupleIJPlS6_EEENSE_IJSB_SB_EEENS0_18inequality_wrapperIN6hipcub16HIPCUB_304000_NS8EqualityEEESF_JS6_EEE10hipError_tPvRmT3_T4_T5_T6_T7_T9_mT8_P12ihipStream_tbDpT10_ENKUlT_T0_E_clISt17integral_constantIbLb1EES15_IbLb0EEEEDaS11_S12_EUlS11_E_NS1_11comp_targetILNS1_3genE4ELNS1_11target_archE910ELNS1_3gpuE8ELNS1_3repE0EEENS1_30default_config_static_selectorELNS0_4arch9wavefront6targetE0EEEvT1_,"axG",@progbits,_ZN7rocprim17ROCPRIM_400000_NS6detail17trampoline_kernelINS0_14default_configENS1_25partition_config_selectorILNS1_17partition_subalgoE8ElNS0_10empty_typeEbEEZZNS1_14partition_implILS5_8ELb0ES3_jPKlPS6_PKS6_NS0_5tupleIJPlS6_EEENSE_IJSB_SB_EEENS0_18inequality_wrapperIN6hipcub16HIPCUB_304000_NS8EqualityEEESF_JS6_EEE10hipError_tPvRmT3_T4_T5_T6_T7_T9_mT8_P12ihipStream_tbDpT10_ENKUlT_T0_E_clISt17integral_constantIbLb1EES15_IbLb0EEEEDaS11_S12_EUlS11_E_NS1_11comp_targetILNS1_3genE4ELNS1_11target_archE910ELNS1_3gpuE8ELNS1_3repE0EEENS1_30default_config_static_selectorELNS0_4arch9wavefront6targetE0EEEvT1_,comdat
	.protected	_ZN7rocprim17ROCPRIM_400000_NS6detail17trampoline_kernelINS0_14default_configENS1_25partition_config_selectorILNS1_17partition_subalgoE8ElNS0_10empty_typeEbEEZZNS1_14partition_implILS5_8ELb0ES3_jPKlPS6_PKS6_NS0_5tupleIJPlS6_EEENSE_IJSB_SB_EEENS0_18inequality_wrapperIN6hipcub16HIPCUB_304000_NS8EqualityEEESF_JS6_EEE10hipError_tPvRmT3_T4_T5_T6_T7_T9_mT8_P12ihipStream_tbDpT10_ENKUlT_T0_E_clISt17integral_constantIbLb1EES15_IbLb0EEEEDaS11_S12_EUlS11_E_NS1_11comp_targetILNS1_3genE4ELNS1_11target_archE910ELNS1_3gpuE8ELNS1_3repE0EEENS1_30default_config_static_selectorELNS0_4arch9wavefront6targetE0EEEvT1_ ; -- Begin function _ZN7rocprim17ROCPRIM_400000_NS6detail17trampoline_kernelINS0_14default_configENS1_25partition_config_selectorILNS1_17partition_subalgoE8ElNS0_10empty_typeEbEEZZNS1_14partition_implILS5_8ELb0ES3_jPKlPS6_PKS6_NS0_5tupleIJPlS6_EEENSE_IJSB_SB_EEENS0_18inequality_wrapperIN6hipcub16HIPCUB_304000_NS8EqualityEEESF_JS6_EEE10hipError_tPvRmT3_T4_T5_T6_T7_T9_mT8_P12ihipStream_tbDpT10_ENKUlT_T0_E_clISt17integral_constantIbLb1EES15_IbLb0EEEEDaS11_S12_EUlS11_E_NS1_11comp_targetILNS1_3genE4ELNS1_11target_archE910ELNS1_3gpuE8ELNS1_3repE0EEENS1_30default_config_static_selectorELNS0_4arch9wavefront6targetE0EEEvT1_
	.globl	_ZN7rocprim17ROCPRIM_400000_NS6detail17trampoline_kernelINS0_14default_configENS1_25partition_config_selectorILNS1_17partition_subalgoE8ElNS0_10empty_typeEbEEZZNS1_14partition_implILS5_8ELb0ES3_jPKlPS6_PKS6_NS0_5tupleIJPlS6_EEENSE_IJSB_SB_EEENS0_18inequality_wrapperIN6hipcub16HIPCUB_304000_NS8EqualityEEESF_JS6_EEE10hipError_tPvRmT3_T4_T5_T6_T7_T9_mT8_P12ihipStream_tbDpT10_ENKUlT_T0_E_clISt17integral_constantIbLb1EES15_IbLb0EEEEDaS11_S12_EUlS11_E_NS1_11comp_targetILNS1_3genE4ELNS1_11target_archE910ELNS1_3gpuE8ELNS1_3repE0EEENS1_30default_config_static_selectorELNS0_4arch9wavefront6targetE0EEEvT1_
	.p2align	8
	.type	_ZN7rocprim17ROCPRIM_400000_NS6detail17trampoline_kernelINS0_14default_configENS1_25partition_config_selectorILNS1_17partition_subalgoE8ElNS0_10empty_typeEbEEZZNS1_14partition_implILS5_8ELb0ES3_jPKlPS6_PKS6_NS0_5tupleIJPlS6_EEENSE_IJSB_SB_EEENS0_18inequality_wrapperIN6hipcub16HIPCUB_304000_NS8EqualityEEESF_JS6_EEE10hipError_tPvRmT3_T4_T5_T6_T7_T9_mT8_P12ihipStream_tbDpT10_ENKUlT_T0_E_clISt17integral_constantIbLb1EES15_IbLb0EEEEDaS11_S12_EUlS11_E_NS1_11comp_targetILNS1_3genE4ELNS1_11target_archE910ELNS1_3gpuE8ELNS1_3repE0EEENS1_30default_config_static_selectorELNS0_4arch9wavefront6targetE0EEEvT1_,@function
_ZN7rocprim17ROCPRIM_400000_NS6detail17trampoline_kernelINS0_14default_configENS1_25partition_config_selectorILNS1_17partition_subalgoE8ElNS0_10empty_typeEbEEZZNS1_14partition_implILS5_8ELb0ES3_jPKlPS6_PKS6_NS0_5tupleIJPlS6_EEENSE_IJSB_SB_EEENS0_18inequality_wrapperIN6hipcub16HIPCUB_304000_NS8EqualityEEESF_JS6_EEE10hipError_tPvRmT3_T4_T5_T6_T7_T9_mT8_P12ihipStream_tbDpT10_ENKUlT_T0_E_clISt17integral_constantIbLb1EES15_IbLb0EEEEDaS11_S12_EUlS11_E_NS1_11comp_targetILNS1_3genE4ELNS1_11target_archE910ELNS1_3gpuE8ELNS1_3repE0EEENS1_30default_config_static_selectorELNS0_4arch9wavefront6targetE0EEEvT1_: ; @_ZN7rocprim17ROCPRIM_400000_NS6detail17trampoline_kernelINS0_14default_configENS1_25partition_config_selectorILNS1_17partition_subalgoE8ElNS0_10empty_typeEbEEZZNS1_14partition_implILS5_8ELb0ES3_jPKlPS6_PKS6_NS0_5tupleIJPlS6_EEENSE_IJSB_SB_EEENS0_18inequality_wrapperIN6hipcub16HIPCUB_304000_NS8EqualityEEESF_JS6_EEE10hipError_tPvRmT3_T4_T5_T6_T7_T9_mT8_P12ihipStream_tbDpT10_ENKUlT_T0_E_clISt17integral_constantIbLb1EES15_IbLb0EEEEDaS11_S12_EUlS11_E_NS1_11comp_targetILNS1_3genE4ELNS1_11target_archE910ELNS1_3gpuE8ELNS1_3repE0EEENS1_30default_config_static_selectorELNS0_4arch9wavefront6targetE0EEEvT1_
; %bb.0:
	.section	.rodata,"a",@progbits
	.p2align	6, 0x0
	.amdhsa_kernel _ZN7rocprim17ROCPRIM_400000_NS6detail17trampoline_kernelINS0_14default_configENS1_25partition_config_selectorILNS1_17partition_subalgoE8ElNS0_10empty_typeEbEEZZNS1_14partition_implILS5_8ELb0ES3_jPKlPS6_PKS6_NS0_5tupleIJPlS6_EEENSE_IJSB_SB_EEENS0_18inequality_wrapperIN6hipcub16HIPCUB_304000_NS8EqualityEEESF_JS6_EEE10hipError_tPvRmT3_T4_T5_T6_T7_T9_mT8_P12ihipStream_tbDpT10_ENKUlT_T0_E_clISt17integral_constantIbLb1EES15_IbLb0EEEEDaS11_S12_EUlS11_E_NS1_11comp_targetILNS1_3genE4ELNS1_11target_archE910ELNS1_3gpuE8ELNS1_3repE0EEENS1_30default_config_static_selectorELNS0_4arch9wavefront6targetE0EEEvT1_
		.amdhsa_group_segment_fixed_size 0
		.amdhsa_private_segment_fixed_size 0
		.amdhsa_kernarg_size 112
		.amdhsa_user_sgpr_count 2
		.amdhsa_user_sgpr_dispatch_ptr 0
		.amdhsa_user_sgpr_queue_ptr 0
		.amdhsa_user_sgpr_kernarg_segment_ptr 1
		.amdhsa_user_sgpr_dispatch_id 0
		.amdhsa_user_sgpr_kernarg_preload_length 0
		.amdhsa_user_sgpr_kernarg_preload_offset 0
		.amdhsa_user_sgpr_private_segment_size 0
		.amdhsa_wavefront_size32 1
		.amdhsa_uses_dynamic_stack 0
		.amdhsa_enable_private_segment 0
		.amdhsa_system_sgpr_workgroup_id_x 1
		.amdhsa_system_sgpr_workgroup_id_y 0
		.amdhsa_system_sgpr_workgroup_id_z 0
		.amdhsa_system_sgpr_workgroup_info 0
		.amdhsa_system_vgpr_workitem_id 0
		.amdhsa_next_free_vgpr 1
		.amdhsa_next_free_sgpr 1
		.amdhsa_named_barrier_count 0
		.amdhsa_reserve_vcc 0
		.amdhsa_float_round_mode_32 0
		.amdhsa_float_round_mode_16_64 0
		.amdhsa_float_denorm_mode_32 3
		.amdhsa_float_denorm_mode_16_64 3
		.amdhsa_fp16_overflow 0
		.amdhsa_memory_ordered 1
		.amdhsa_forward_progress 1
		.amdhsa_inst_pref_size 0
		.amdhsa_round_robin_scheduling 0
		.amdhsa_exception_fp_ieee_invalid_op 0
		.amdhsa_exception_fp_denorm_src 0
		.amdhsa_exception_fp_ieee_div_zero 0
		.amdhsa_exception_fp_ieee_overflow 0
		.amdhsa_exception_fp_ieee_underflow 0
		.amdhsa_exception_fp_ieee_inexact 0
		.amdhsa_exception_int_div_zero 0
	.end_amdhsa_kernel
	.section	.text._ZN7rocprim17ROCPRIM_400000_NS6detail17trampoline_kernelINS0_14default_configENS1_25partition_config_selectorILNS1_17partition_subalgoE8ElNS0_10empty_typeEbEEZZNS1_14partition_implILS5_8ELb0ES3_jPKlPS6_PKS6_NS0_5tupleIJPlS6_EEENSE_IJSB_SB_EEENS0_18inequality_wrapperIN6hipcub16HIPCUB_304000_NS8EqualityEEESF_JS6_EEE10hipError_tPvRmT3_T4_T5_T6_T7_T9_mT8_P12ihipStream_tbDpT10_ENKUlT_T0_E_clISt17integral_constantIbLb1EES15_IbLb0EEEEDaS11_S12_EUlS11_E_NS1_11comp_targetILNS1_3genE4ELNS1_11target_archE910ELNS1_3gpuE8ELNS1_3repE0EEENS1_30default_config_static_selectorELNS0_4arch9wavefront6targetE0EEEvT1_,"axG",@progbits,_ZN7rocprim17ROCPRIM_400000_NS6detail17trampoline_kernelINS0_14default_configENS1_25partition_config_selectorILNS1_17partition_subalgoE8ElNS0_10empty_typeEbEEZZNS1_14partition_implILS5_8ELb0ES3_jPKlPS6_PKS6_NS0_5tupleIJPlS6_EEENSE_IJSB_SB_EEENS0_18inequality_wrapperIN6hipcub16HIPCUB_304000_NS8EqualityEEESF_JS6_EEE10hipError_tPvRmT3_T4_T5_T6_T7_T9_mT8_P12ihipStream_tbDpT10_ENKUlT_T0_E_clISt17integral_constantIbLb1EES15_IbLb0EEEEDaS11_S12_EUlS11_E_NS1_11comp_targetILNS1_3genE4ELNS1_11target_archE910ELNS1_3gpuE8ELNS1_3repE0EEENS1_30default_config_static_selectorELNS0_4arch9wavefront6targetE0EEEvT1_,comdat
.Lfunc_end244:
	.size	_ZN7rocprim17ROCPRIM_400000_NS6detail17trampoline_kernelINS0_14default_configENS1_25partition_config_selectorILNS1_17partition_subalgoE8ElNS0_10empty_typeEbEEZZNS1_14partition_implILS5_8ELb0ES3_jPKlPS6_PKS6_NS0_5tupleIJPlS6_EEENSE_IJSB_SB_EEENS0_18inequality_wrapperIN6hipcub16HIPCUB_304000_NS8EqualityEEESF_JS6_EEE10hipError_tPvRmT3_T4_T5_T6_T7_T9_mT8_P12ihipStream_tbDpT10_ENKUlT_T0_E_clISt17integral_constantIbLb1EES15_IbLb0EEEEDaS11_S12_EUlS11_E_NS1_11comp_targetILNS1_3genE4ELNS1_11target_archE910ELNS1_3gpuE8ELNS1_3repE0EEENS1_30default_config_static_selectorELNS0_4arch9wavefront6targetE0EEEvT1_, .Lfunc_end244-_ZN7rocprim17ROCPRIM_400000_NS6detail17trampoline_kernelINS0_14default_configENS1_25partition_config_selectorILNS1_17partition_subalgoE8ElNS0_10empty_typeEbEEZZNS1_14partition_implILS5_8ELb0ES3_jPKlPS6_PKS6_NS0_5tupleIJPlS6_EEENSE_IJSB_SB_EEENS0_18inequality_wrapperIN6hipcub16HIPCUB_304000_NS8EqualityEEESF_JS6_EEE10hipError_tPvRmT3_T4_T5_T6_T7_T9_mT8_P12ihipStream_tbDpT10_ENKUlT_T0_E_clISt17integral_constantIbLb1EES15_IbLb0EEEEDaS11_S12_EUlS11_E_NS1_11comp_targetILNS1_3genE4ELNS1_11target_archE910ELNS1_3gpuE8ELNS1_3repE0EEENS1_30default_config_static_selectorELNS0_4arch9wavefront6targetE0EEEvT1_
                                        ; -- End function
	.set _ZN7rocprim17ROCPRIM_400000_NS6detail17trampoline_kernelINS0_14default_configENS1_25partition_config_selectorILNS1_17partition_subalgoE8ElNS0_10empty_typeEbEEZZNS1_14partition_implILS5_8ELb0ES3_jPKlPS6_PKS6_NS0_5tupleIJPlS6_EEENSE_IJSB_SB_EEENS0_18inequality_wrapperIN6hipcub16HIPCUB_304000_NS8EqualityEEESF_JS6_EEE10hipError_tPvRmT3_T4_T5_T6_T7_T9_mT8_P12ihipStream_tbDpT10_ENKUlT_T0_E_clISt17integral_constantIbLb1EES15_IbLb0EEEEDaS11_S12_EUlS11_E_NS1_11comp_targetILNS1_3genE4ELNS1_11target_archE910ELNS1_3gpuE8ELNS1_3repE0EEENS1_30default_config_static_selectorELNS0_4arch9wavefront6targetE0EEEvT1_.num_vgpr, 0
	.set _ZN7rocprim17ROCPRIM_400000_NS6detail17trampoline_kernelINS0_14default_configENS1_25partition_config_selectorILNS1_17partition_subalgoE8ElNS0_10empty_typeEbEEZZNS1_14partition_implILS5_8ELb0ES3_jPKlPS6_PKS6_NS0_5tupleIJPlS6_EEENSE_IJSB_SB_EEENS0_18inequality_wrapperIN6hipcub16HIPCUB_304000_NS8EqualityEEESF_JS6_EEE10hipError_tPvRmT3_T4_T5_T6_T7_T9_mT8_P12ihipStream_tbDpT10_ENKUlT_T0_E_clISt17integral_constantIbLb1EES15_IbLb0EEEEDaS11_S12_EUlS11_E_NS1_11comp_targetILNS1_3genE4ELNS1_11target_archE910ELNS1_3gpuE8ELNS1_3repE0EEENS1_30default_config_static_selectorELNS0_4arch9wavefront6targetE0EEEvT1_.num_agpr, 0
	.set _ZN7rocprim17ROCPRIM_400000_NS6detail17trampoline_kernelINS0_14default_configENS1_25partition_config_selectorILNS1_17partition_subalgoE8ElNS0_10empty_typeEbEEZZNS1_14partition_implILS5_8ELb0ES3_jPKlPS6_PKS6_NS0_5tupleIJPlS6_EEENSE_IJSB_SB_EEENS0_18inequality_wrapperIN6hipcub16HIPCUB_304000_NS8EqualityEEESF_JS6_EEE10hipError_tPvRmT3_T4_T5_T6_T7_T9_mT8_P12ihipStream_tbDpT10_ENKUlT_T0_E_clISt17integral_constantIbLb1EES15_IbLb0EEEEDaS11_S12_EUlS11_E_NS1_11comp_targetILNS1_3genE4ELNS1_11target_archE910ELNS1_3gpuE8ELNS1_3repE0EEENS1_30default_config_static_selectorELNS0_4arch9wavefront6targetE0EEEvT1_.numbered_sgpr, 0
	.set _ZN7rocprim17ROCPRIM_400000_NS6detail17trampoline_kernelINS0_14default_configENS1_25partition_config_selectorILNS1_17partition_subalgoE8ElNS0_10empty_typeEbEEZZNS1_14partition_implILS5_8ELb0ES3_jPKlPS6_PKS6_NS0_5tupleIJPlS6_EEENSE_IJSB_SB_EEENS0_18inequality_wrapperIN6hipcub16HIPCUB_304000_NS8EqualityEEESF_JS6_EEE10hipError_tPvRmT3_T4_T5_T6_T7_T9_mT8_P12ihipStream_tbDpT10_ENKUlT_T0_E_clISt17integral_constantIbLb1EES15_IbLb0EEEEDaS11_S12_EUlS11_E_NS1_11comp_targetILNS1_3genE4ELNS1_11target_archE910ELNS1_3gpuE8ELNS1_3repE0EEENS1_30default_config_static_selectorELNS0_4arch9wavefront6targetE0EEEvT1_.num_named_barrier, 0
	.set _ZN7rocprim17ROCPRIM_400000_NS6detail17trampoline_kernelINS0_14default_configENS1_25partition_config_selectorILNS1_17partition_subalgoE8ElNS0_10empty_typeEbEEZZNS1_14partition_implILS5_8ELb0ES3_jPKlPS6_PKS6_NS0_5tupleIJPlS6_EEENSE_IJSB_SB_EEENS0_18inequality_wrapperIN6hipcub16HIPCUB_304000_NS8EqualityEEESF_JS6_EEE10hipError_tPvRmT3_T4_T5_T6_T7_T9_mT8_P12ihipStream_tbDpT10_ENKUlT_T0_E_clISt17integral_constantIbLb1EES15_IbLb0EEEEDaS11_S12_EUlS11_E_NS1_11comp_targetILNS1_3genE4ELNS1_11target_archE910ELNS1_3gpuE8ELNS1_3repE0EEENS1_30default_config_static_selectorELNS0_4arch9wavefront6targetE0EEEvT1_.private_seg_size, 0
	.set _ZN7rocprim17ROCPRIM_400000_NS6detail17trampoline_kernelINS0_14default_configENS1_25partition_config_selectorILNS1_17partition_subalgoE8ElNS0_10empty_typeEbEEZZNS1_14partition_implILS5_8ELb0ES3_jPKlPS6_PKS6_NS0_5tupleIJPlS6_EEENSE_IJSB_SB_EEENS0_18inequality_wrapperIN6hipcub16HIPCUB_304000_NS8EqualityEEESF_JS6_EEE10hipError_tPvRmT3_T4_T5_T6_T7_T9_mT8_P12ihipStream_tbDpT10_ENKUlT_T0_E_clISt17integral_constantIbLb1EES15_IbLb0EEEEDaS11_S12_EUlS11_E_NS1_11comp_targetILNS1_3genE4ELNS1_11target_archE910ELNS1_3gpuE8ELNS1_3repE0EEENS1_30default_config_static_selectorELNS0_4arch9wavefront6targetE0EEEvT1_.uses_vcc, 0
	.set _ZN7rocprim17ROCPRIM_400000_NS6detail17trampoline_kernelINS0_14default_configENS1_25partition_config_selectorILNS1_17partition_subalgoE8ElNS0_10empty_typeEbEEZZNS1_14partition_implILS5_8ELb0ES3_jPKlPS6_PKS6_NS0_5tupleIJPlS6_EEENSE_IJSB_SB_EEENS0_18inequality_wrapperIN6hipcub16HIPCUB_304000_NS8EqualityEEESF_JS6_EEE10hipError_tPvRmT3_T4_T5_T6_T7_T9_mT8_P12ihipStream_tbDpT10_ENKUlT_T0_E_clISt17integral_constantIbLb1EES15_IbLb0EEEEDaS11_S12_EUlS11_E_NS1_11comp_targetILNS1_3genE4ELNS1_11target_archE910ELNS1_3gpuE8ELNS1_3repE0EEENS1_30default_config_static_selectorELNS0_4arch9wavefront6targetE0EEEvT1_.uses_flat_scratch, 0
	.set _ZN7rocprim17ROCPRIM_400000_NS6detail17trampoline_kernelINS0_14default_configENS1_25partition_config_selectorILNS1_17partition_subalgoE8ElNS0_10empty_typeEbEEZZNS1_14partition_implILS5_8ELb0ES3_jPKlPS6_PKS6_NS0_5tupleIJPlS6_EEENSE_IJSB_SB_EEENS0_18inequality_wrapperIN6hipcub16HIPCUB_304000_NS8EqualityEEESF_JS6_EEE10hipError_tPvRmT3_T4_T5_T6_T7_T9_mT8_P12ihipStream_tbDpT10_ENKUlT_T0_E_clISt17integral_constantIbLb1EES15_IbLb0EEEEDaS11_S12_EUlS11_E_NS1_11comp_targetILNS1_3genE4ELNS1_11target_archE910ELNS1_3gpuE8ELNS1_3repE0EEENS1_30default_config_static_selectorELNS0_4arch9wavefront6targetE0EEEvT1_.has_dyn_sized_stack, 0
	.set _ZN7rocprim17ROCPRIM_400000_NS6detail17trampoline_kernelINS0_14default_configENS1_25partition_config_selectorILNS1_17partition_subalgoE8ElNS0_10empty_typeEbEEZZNS1_14partition_implILS5_8ELb0ES3_jPKlPS6_PKS6_NS0_5tupleIJPlS6_EEENSE_IJSB_SB_EEENS0_18inequality_wrapperIN6hipcub16HIPCUB_304000_NS8EqualityEEESF_JS6_EEE10hipError_tPvRmT3_T4_T5_T6_T7_T9_mT8_P12ihipStream_tbDpT10_ENKUlT_T0_E_clISt17integral_constantIbLb1EES15_IbLb0EEEEDaS11_S12_EUlS11_E_NS1_11comp_targetILNS1_3genE4ELNS1_11target_archE910ELNS1_3gpuE8ELNS1_3repE0EEENS1_30default_config_static_selectorELNS0_4arch9wavefront6targetE0EEEvT1_.has_recursion, 0
	.set _ZN7rocprim17ROCPRIM_400000_NS6detail17trampoline_kernelINS0_14default_configENS1_25partition_config_selectorILNS1_17partition_subalgoE8ElNS0_10empty_typeEbEEZZNS1_14partition_implILS5_8ELb0ES3_jPKlPS6_PKS6_NS0_5tupleIJPlS6_EEENSE_IJSB_SB_EEENS0_18inequality_wrapperIN6hipcub16HIPCUB_304000_NS8EqualityEEESF_JS6_EEE10hipError_tPvRmT3_T4_T5_T6_T7_T9_mT8_P12ihipStream_tbDpT10_ENKUlT_T0_E_clISt17integral_constantIbLb1EES15_IbLb0EEEEDaS11_S12_EUlS11_E_NS1_11comp_targetILNS1_3genE4ELNS1_11target_archE910ELNS1_3gpuE8ELNS1_3repE0EEENS1_30default_config_static_selectorELNS0_4arch9wavefront6targetE0EEEvT1_.has_indirect_call, 0
	.section	.AMDGPU.csdata,"",@progbits
; Kernel info:
; codeLenInByte = 0
; TotalNumSgprs: 0
; NumVgprs: 0
; ScratchSize: 0
; MemoryBound: 0
; FloatMode: 240
; IeeeMode: 1
; LDSByteSize: 0 bytes/workgroup (compile time only)
; SGPRBlocks: 0
; VGPRBlocks: 0
; NumSGPRsForWavesPerEU: 1
; NumVGPRsForWavesPerEU: 1
; NamedBarCnt: 0
; Occupancy: 16
; WaveLimiterHint : 0
; COMPUTE_PGM_RSRC2:SCRATCH_EN: 0
; COMPUTE_PGM_RSRC2:USER_SGPR: 2
; COMPUTE_PGM_RSRC2:TRAP_HANDLER: 0
; COMPUTE_PGM_RSRC2:TGID_X_EN: 1
; COMPUTE_PGM_RSRC2:TGID_Y_EN: 0
; COMPUTE_PGM_RSRC2:TGID_Z_EN: 0
; COMPUTE_PGM_RSRC2:TIDIG_COMP_CNT: 0
	.section	.text._ZN7rocprim17ROCPRIM_400000_NS6detail17trampoline_kernelINS0_14default_configENS1_25partition_config_selectorILNS1_17partition_subalgoE8ElNS0_10empty_typeEbEEZZNS1_14partition_implILS5_8ELb0ES3_jPKlPS6_PKS6_NS0_5tupleIJPlS6_EEENSE_IJSB_SB_EEENS0_18inequality_wrapperIN6hipcub16HIPCUB_304000_NS8EqualityEEESF_JS6_EEE10hipError_tPvRmT3_T4_T5_T6_T7_T9_mT8_P12ihipStream_tbDpT10_ENKUlT_T0_E_clISt17integral_constantIbLb1EES15_IbLb0EEEEDaS11_S12_EUlS11_E_NS1_11comp_targetILNS1_3genE3ELNS1_11target_archE908ELNS1_3gpuE7ELNS1_3repE0EEENS1_30default_config_static_selectorELNS0_4arch9wavefront6targetE0EEEvT1_,"axG",@progbits,_ZN7rocprim17ROCPRIM_400000_NS6detail17trampoline_kernelINS0_14default_configENS1_25partition_config_selectorILNS1_17partition_subalgoE8ElNS0_10empty_typeEbEEZZNS1_14partition_implILS5_8ELb0ES3_jPKlPS6_PKS6_NS0_5tupleIJPlS6_EEENSE_IJSB_SB_EEENS0_18inequality_wrapperIN6hipcub16HIPCUB_304000_NS8EqualityEEESF_JS6_EEE10hipError_tPvRmT3_T4_T5_T6_T7_T9_mT8_P12ihipStream_tbDpT10_ENKUlT_T0_E_clISt17integral_constantIbLb1EES15_IbLb0EEEEDaS11_S12_EUlS11_E_NS1_11comp_targetILNS1_3genE3ELNS1_11target_archE908ELNS1_3gpuE7ELNS1_3repE0EEENS1_30default_config_static_selectorELNS0_4arch9wavefront6targetE0EEEvT1_,comdat
	.protected	_ZN7rocprim17ROCPRIM_400000_NS6detail17trampoline_kernelINS0_14default_configENS1_25partition_config_selectorILNS1_17partition_subalgoE8ElNS0_10empty_typeEbEEZZNS1_14partition_implILS5_8ELb0ES3_jPKlPS6_PKS6_NS0_5tupleIJPlS6_EEENSE_IJSB_SB_EEENS0_18inequality_wrapperIN6hipcub16HIPCUB_304000_NS8EqualityEEESF_JS6_EEE10hipError_tPvRmT3_T4_T5_T6_T7_T9_mT8_P12ihipStream_tbDpT10_ENKUlT_T0_E_clISt17integral_constantIbLb1EES15_IbLb0EEEEDaS11_S12_EUlS11_E_NS1_11comp_targetILNS1_3genE3ELNS1_11target_archE908ELNS1_3gpuE7ELNS1_3repE0EEENS1_30default_config_static_selectorELNS0_4arch9wavefront6targetE0EEEvT1_ ; -- Begin function _ZN7rocprim17ROCPRIM_400000_NS6detail17trampoline_kernelINS0_14default_configENS1_25partition_config_selectorILNS1_17partition_subalgoE8ElNS0_10empty_typeEbEEZZNS1_14partition_implILS5_8ELb0ES3_jPKlPS6_PKS6_NS0_5tupleIJPlS6_EEENSE_IJSB_SB_EEENS0_18inequality_wrapperIN6hipcub16HIPCUB_304000_NS8EqualityEEESF_JS6_EEE10hipError_tPvRmT3_T4_T5_T6_T7_T9_mT8_P12ihipStream_tbDpT10_ENKUlT_T0_E_clISt17integral_constantIbLb1EES15_IbLb0EEEEDaS11_S12_EUlS11_E_NS1_11comp_targetILNS1_3genE3ELNS1_11target_archE908ELNS1_3gpuE7ELNS1_3repE0EEENS1_30default_config_static_selectorELNS0_4arch9wavefront6targetE0EEEvT1_
	.globl	_ZN7rocprim17ROCPRIM_400000_NS6detail17trampoline_kernelINS0_14default_configENS1_25partition_config_selectorILNS1_17partition_subalgoE8ElNS0_10empty_typeEbEEZZNS1_14partition_implILS5_8ELb0ES3_jPKlPS6_PKS6_NS0_5tupleIJPlS6_EEENSE_IJSB_SB_EEENS0_18inequality_wrapperIN6hipcub16HIPCUB_304000_NS8EqualityEEESF_JS6_EEE10hipError_tPvRmT3_T4_T5_T6_T7_T9_mT8_P12ihipStream_tbDpT10_ENKUlT_T0_E_clISt17integral_constantIbLb1EES15_IbLb0EEEEDaS11_S12_EUlS11_E_NS1_11comp_targetILNS1_3genE3ELNS1_11target_archE908ELNS1_3gpuE7ELNS1_3repE0EEENS1_30default_config_static_selectorELNS0_4arch9wavefront6targetE0EEEvT1_
	.p2align	8
	.type	_ZN7rocprim17ROCPRIM_400000_NS6detail17trampoline_kernelINS0_14default_configENS1_25partition_config_selectorILNS1_17partition_subalgoE8ElNS0_10empty_typeEbEEZZNS1_14partition_implILS5_8ELb0ES3_jPKlPS6_PKS6_NS0_5tupleIJPlS6_EEENSE_IJSB_SB_EEENS0_18inequality_wrapperIN6hipcub16HIPCUB_304000_NS8EqualityEEESF_JS6_EEE10hipError_tPvRmT3_T4_T5_T6_T7_T9_mT8_P12ihipStream_tbDpT10_ENKUlT_T0_E_clISt17integral_constantIbLb1EES15_IbLb0EEEEDaS11_S12_EUlS11_E_NS1_11comp_targetILNS1_3genE3ELNS1_11target_archE908ELNS1_3gpuE7ELNS1_3repE0EEENS1_30default_config_static_selectorELNS0_4arch9wavefront6targetE0EEEvT1_,@function
_ZN7rocprim17ROCPRIM_400000_NS6detail17trampoline_kernelINS0_14default_configENS1_25partition_config_selectorILNS1_17partition_subalgoE8ElNS0_10empty_typeEbEEZZNS1_14partition_implILS5_8ELb0ES3_jPKlPS6_PKS6_NS0_5tupleIJPlS6_EEENSE_IJSB_SB_EEENS0_18inequality_wrapperIN6hipcub16HIPCUB_304000_NS8EqualityEEESF_JS6_EEE10hipError_tPvRmT3_T4_T5_T6_T7_T9_mT8_P12ihipStream_tbDpT10_ENKUlT_T0_E_clISt17integral_constantIbLb1EES15_IbLb0EEEEDaS11_S12_EUlS11_E_NS1_11comp_targetILNS1_3genE3ELNS1_11target_archE908ELNS1_3gpuE7ELNS1_3repE0EEENS1_30default_config_static_selectorELNS0_4arch9wavefront6targetE0EEEvT1_: ; @_ZN7rocprim17ROCPRIM_400000_NS6detail17trampoline_kernelINS0_14default_configENS1_25partition_config_selectorILNS1_17partition_subalgoE8ElNS0_10empty_typeEbEEZZNS1_14partition_implILS5_8ELb0ES3_jPKlPS6_PKS6_NS0_5tupleIJPlS6_EEENSE_IJSB_SB_EEENS0_18inequality_wrapperIN6hipcub16HIPCUB_304000_NS8EqualityEEESF_JS6_EEE10hipError_tPvRmT3_T4_T5_T6_T7_T9_mT8_P12ihipStream_tbDpT10_ENKUlT_T0_E_clISt17integral_constantIbLb1EES15_IbLb0EEEEDaS11_S12_EUlS11_E_NS1_11comp_targetILNS1_3genE3ELNS1_11target_archE908ELNS1_3gpuE7ELNS1_3repE0EEENS1_30default_config_static_selectorELNS0_4arch9wavefront6targetE0EEEvT1_
; %bb.0:
	.section	.rodata,"a",@progbits
	.p2align	6, 0x0
	.amdhsa_kernel _ZN7rocprim17ROCPRIM_400000_NS6detail17trampoline_kernelINS0_14default_configENS1_25partition_config_selectorILNS1_17partition_subalgoE8ElNS0_10empty_typeEbEEZZNS1_14partition_implILS5_8ELb0ES3_jPKlPS6_PKS6_NS0_5tupleIJPlS6_EEENSE_IJSB_SB_EEENS0_18inequality_wrapperIN6hipcub16HIPCUB_304000_NS8EqualityEEESF_JS6_EEE10hipError_tPvRmT3_T4_T5_T6_T7_T9_mT8_P12ihipStream_tbDpT10_ENKUlT_T0_E_clISt17integral_constantIbLb1EES15_IbLb0EEEEDaS11_S12_EUlS11_E_NS1_11comp_targetILNS1_3genE3ELNS1_11target_archE908ELNS1_3gpuE7ELNS1_3repE0EEENS1_30default_config_static_selectorELNS0_4arch9wavefront6targetE0EEEvT1_
		.amdhsa_group_segment_fixed_size 0
		.amdhsa_private_segment_fixed_size 0
		.amdhsa_kernarg_size 112
		.amdhsa_user_sgpr_count 2
		.amdhsa_user_sgpr_dispatch_ptr 0
		.amdhsa_user_sgpr_queue_ptr 0
		.amdhsa_user_sgpr_kernarg_segment_ptr 1
		.amdhsa_user_sgpr_dispatch_id 0
		.amdhsa_user_sgpr_kernarg_preload_length 0
		.amdhsa_user_sgpr_kernarg_preload_offset 0
		.amdhsa_user_sgpr_private_segment_size 0
		.amdhsa_wavefront_size32 1
		.amdhsa_uses_dynamic_stack 0
		.amdhsa_enable_private_segment 0
		.amdhsa_system_sgpr_workgroup_id_x 1
		.amdhsa_system_sgpr_workgroup_id_y 0
		.amdhsa_system_sgpr_workgroup_id_z 0
		.amdhsa_system_sgpr_workgroup_info 0
		.amdhsa_system_vgpr_workitem_id 0
		.amdhsa_next_free_vgpr 1
		.amdhsa_next_free_sgpr 1
		.amdhsa_named_barrier_count 0
		.amdhsa_reserve_vcc 0
		.amdhsa_float_round_mode_32 0
		.amdhsa_float_round_mode_16_64 0
		.amdhsa_float_denorm_mode_32 3
		.amdhsa_float_denorm_mode_16_64 3
		.amdhsa_fp16_overflow 0
		.amdhsa_memory_ordered 1
		.amdhsa_forward_progress 1
		.amdhsa_inst_pref_size 0
		.amdhsa_round_robin_scheduling 0
		.amdhsa_exception_fp_ieee_invalid_op 0
		.amdhsa_exception_fp_denorm_src 0
		.amdhsa_exception_fp_ieee_div_zero 0
		.amdhsa_exception_fp_ieee_overflow 0
		.amdhsa_exception_fp_ieee_underflow 0
		.amdhsa_exception_fp_ieee_inexact 0
		.amdhsa_exception_int_div_zero 0
	.end_amdhsa_kernel
	.section	.text._ZN7rocprim17ROCPRIM_400000_NS6detail17trampoline_kernelINS0_14default_configENS1_25partition_config_selectorILNS1_17partition_subalgoE8ElNS0_10empty_typeEbEEZZNS1_14partition_implILS5_8ELb0ES3_jPKlPS6_PKS6_NS0_5tupleIJPlS6_EEENSE_IJSB_SB_EEENS0_18inequality_wrapperIN6hipcub16HIPCUB_304000_NS8EqualityEEESF_JS6_EEE10hipError_tPvRmT3_T4_T5_T6_T7_T9_mT8_P12ihipStream_tbDpT10_ENKUlT_T0_E_clISt17integral_constantIbLb1EES15_IbLb0EEEEDaS11_S12_EUlS11_E_NS1_11comp_targetILNS1_3genE3ELNS1_11target_archE908ELNS1_3gpuE7ELNS1_3repE0EEENS1_30default_config_static_selectorELNS0_4arch9wavefront6targetE0EEEvT1_,"axG",@progbits,_ZN7rocprim17ROCPRIM_400000_NS6detail17trampoline_kernelINS0_14default_configENS1_25partition_config_selectorILNS1_17partition_subalgoE8ElNS0_10empty_typeEbEEZZNS1_14partition_implILS5_8ELb0ES3_jPKlPS6_PKS6_NS0_5tupleIJPlS6_EEENSE_IJSB_SB_EEENS0_18inequality_wrapperIN6hipcub16HIPCUB_304000_NS8EqualityEEESF_JS6_EEE10hipError_tPvRmT3_T4_T5_T6_T7_T9_mT8_P12ihipStream_tbDpT10_ENKUlT_T0_E_clISt17integral_constantIbLb1EES15_IbLb0EEEEDaS11_S12_EUlS11_E_NS1_11comp_targetILNS1_3genE3ELNS1_11target_archE908ELNS1_3gpuE7ELNS1_3repE0EEENS1_30default_config_static_selectorELNS0_4arch9wavefront6targetE0EEEvT1_,comdat
.Lfunc_end245:
	.size	_ZN7rocprim17ROCPRIM_400000_NS6detail17trampoline_kernelINS0_14default_configENS1_25partition_config_selectorILNS1_17partition_subalgoE8ElNS0_10empty_typeEbEEZZNS1_14partition_implILS5_8ELb0ES3_jPKlPS6_PKS6_NS0_5tupleIJPlS6_EEENSE_IJSB_SB_EEENS0_18inequality_wrapperIN6hipcub16HIPCUB_304000_NS8EqualityEEESF_JS6_EEE10hipError_tPvRmT3_T4_T5_T6_T7_T9_mT8_P12ihipStream_tbDpT10_ENKUlT_T0_E_clISt17integral_constantIbLb1EES15_IbLb0EEEEDaS11_S12_EUlS11_E_NS1_11comp_targetILNS1_3genE3ELNS1_11target_archE908ELNS1_3gpuE7ELNS1_3repE0EEENS1_30default_config_static_selectorELNS0_4arch9wavefront6targetE0EEEvT1_, .Lfunc_end245-_ZN7rocprim17ROCPRIM_400000_NS6detail17trampoline_kernelINS0_14default_configENS1_25partition_config_selectorILNS1_17partition_subalgoE8ElNS0_10empty_typeEbEEZZNS1_14partition_implILS5_8ELb0ES3_jPKlPS6_PKS6_NS0_5tupleIJPlS6_EEENSE_IJSB_SB_EEENS0_18inequality_wrapperIN6hipcub16HIPCUB_304000_NS8EqualityEEESF_JS6_EEE10hipError_tPvRmT3_T4_T5_T6_T7_T9_mT8_P12ihipStream_tbDpT10_ENKUlT_T0_E_clISt17integral_constantIbLb1EES15_IbLb0EEEEDaS11_S12_EUlS11_E_NS1_11comp_targetILNS1_3genE3ELNS1_11target_archE908ELNS1_3gpuE7ELNS1_3repE0EEENS1_30default_config_static_selectorELNS0_4arch9wavefront6targetE0EEEvT1_
                                        ; -- End function
	.set _ZN7rocprim17ROCPRIM_400000_NS6detail17trampoline_kernelINS0_14default_configENS1_25partition_config_selectorILNS1_17partition_subalgoE8ElNS0_10empty_typeEbEEZZNS1_14partition_implILS5_8ELb0ES3_jPKlPS6_PKS6_NS0_5tupleIJPlS6_EEENSE_IJSB_SB_EEENS0_18inequality_wrapperIN6hipcub16HIPCUB_304000_NS8EqualityEEESF_JS6_EEE10hipError_tPvRmT3_T4_T5_T6_T7_T9_mT8_P12ihipStream_tbDpT10_ENKUlT_T0_E_clISt17integral_constantIbLb1EES15_IbLb0EEEEDaS11_S12_EUlS11_E_NS1_11comp_targetILNS1_3genE3ELNS1_11target_archE908ELNS1_3gpuE7ELNS1_3repE0EEENS1_30default_config_static_selectorELNS0_4arch9wavefront6targetE0EEEvT1_.num_vgpr, 0
	.set _ZN7rocprim17ROCPRIM_400000_NS6detail17trampoline_kernelINS0_14default_configENS1_25partition_config_selectorILNS1_17partition_subalgoE8ElNS0_10empty_typeEbEEZZNS1_14partition_implILS5_8ELb0ES3_jPKlPS6_PKS6_NS0_5tupleIJPlS6_EEENSE_IJSB_SB_EEENS0_18inequality_wrapperIN6hipcub16HIPCUB_304000_NS8EqualityEEESF_JS6_EEE10hipError_tPvRmT3_T4_T5_T6_T7_T9_mT8_P12ihipStream_tbDpT10_ENKUlT_T0_E_clISt17integral_constantIbLb1EES15_IbLb0EEEEDaS11_S12_EUlS11_E_NS1_11comp_targetILNS1_3genE3ELNS1_11target_archE908ELNS1_3gpuE7ELNS1_3repE0EEENS1_30default_config_static_selectorELNS0_4arch9wavefront6targetE0EEEvT1_.num_agpr, 0
	.set _ZN7rocprim17ROCPRIM_400000_NS6detail17trampoline_kernelINS0_14default_configENS1_25partition_config_selectorILNS1_17partition_subalgoE8ElNS0_10empty_typeEbEEZZNS1_14partition_implILS5_8ELb0ES3_jPKlPS6_PKS6_NS0_5tupleIJPlS6_EEENSE_IJSB_SB_EEENS0_18inequality_wrapperIN6hipcub16HIPCUB_304000_NS8EqualityEEESF_JS6_EEE10hipError_tPvRmT3_T4_T5_T6_T7_T9_mT8_P12ihipStream_tbDpT10_ENKUlT_T0_E_clISt17integral_constantIbLb1EES15_IbLb0EEEEDaS11_S12_EUlS11_E_NS1_11comp_targetILNS1_3genE3ELNS1_11target_archE908ELNS1_3gpuE7ELNS1_3repE0EEENS1_30default_config_static_selectorELNS0_4arch9wavefront6targetE0EEEvT1_.numbered_sgpr, 0
	.set _ZN7rocprim17ROCPRIM_400000_NS6detail17trampoline_kernelINS0_14default_configENS1_25partition_config_selectorILNS1_17partition_subalgoE8ElNS0_10empty_typeEbEEZZNS1_14partition_implILS5_8ELb0ES3_jPKlPS6_PKS6_NS0_5tupleIJPlS6_EEENSE_IJSB_SB_EEENS0_18inequality_wrapperIN6hipcub16HIPCUB_304000_NS8EqualityEEESF_JS6_EEE10hipError_tPvRmT3_T4_T5_T6_T7_T9_mT8_P12ihipStream_tbDpT10_ENKUlT_T0_E_clISt17integral_constantIbLb1EES15_IbLb0EEEEDaS11_S12_EUlS11_E_NS1_11comp_targetILNS1_3genE3ELNS1_11target_archE908ELNS1_3gpuE7ELNS1_3repE0EEENS1_30default_config_static_selectorELNS0_4arch9wavefront6targetE0EEEvT1_.num_named_barrier, 0
	.set _ZN7rocprim17ROCPRIM_400000_NS6detail17trampoline_kernelINS0_14default_configENS1_25partition_config_selectorILNS1_17partition_subalgoE8ElNS0_10empty_typeEbEEZZNS1_14partition_implILS5_8ELb0ES3_jPKlPS6_PKS6_NS0_5tupleIJPlS6_EEENSE_IJSB_SB_EEENS0_18inequality_wrapperIN6hipcub16HIPCUB_304000_NS8EqualityEEESF_JS6_EEE10hipError_tPvRmT3_T4_T5_T6_T7_T9_mT8_P12ihipStream_tbDpT10_ENKUlT_T0_E_clISt17integral_constantIbLb1EES15_IbLb0EEEEDaS11_S12_EUlS11_E_NS1_11comp_targetILNS1_3genE3ELNS1_11target_archE908ELNS1_3gpuE7ELNS1_3repE0EEENS1_30default_config_static_selectorELNS0_4arch9wavefront6targetE0EEEvT1_.private_seg_size, 0
	.set _ZN7rocprim17ROCPRIM_400000_NS6detail17trampoline_kernelINS0_14default_configENS1_25partition_config_selectorILNS1_17partition_subalgoE8ElNS0_10empty_typeEbEEZZNS1_14partition_implILS5_8ELb0ES3_jPKlPS6_PKS6_NS0_5tupleIJPlS6_EEENSE_IJSB_SB_EEENS0_18inequality_wrapperIN6hipcub16HIPCUB_304000_NS8EqualityEEESF_JS6_EEE10hipError_tPvRmT3_T4_T5_T6_T7_T9_mT8_P12ihipStream_tbDpT10_ENKUlT_T0_E_clISt17integral_constantIbLb1EES15_IbLb0EEEEDaS11_S12_EUlS11_E_NS1_11comp_targetILNS1_3genE3ELNS1_11target_archE908ELNS1_3gpuE7ELNS1_3repE0EEENS1_30default_config_static_selectorELNS0_4arch9wavefront6targetE0EEEvT1_.uses_vcc, 0
	.set _ZN7rocprim17ROCPRIM_400000_NS6detail17trampoline_kernelINS0_14default_configENS1_25partition_config_selectorILNS1_17partition_subalgoE8ElNS0_10empty_typeEbEEZZNS1_14partition_implILS5_8ELb0ES3_jPKlPS6_PKS6_NS0_5tupleIJPlS6_EEENSE_IJSB_SB_EEENS0_18inequality_wrapperIN6hipcub16HIPCUB_304000_NS8EqualityEEESF_JS6_EEE10hipError_tPvRmT3_T4_T5_T6_T7_T9_mT8_P12ihipStream_tbDpT10_ENKUlT_T0_E_clISt17integral_constantIbLb1EES15_IbLb0EEEEDaS11_S12_EUlS11_E_NS1_11comp_targetILNS1_3genE3ELNS1_11target_archE908ELNS1_3gpuE7ELNS1_3repE0EEENS1_30default_config_static_selectorELNS0_4arch9wavefront6targetE0EEEvT1_.uses_flat_scratch, 0
	.set _ZN7rocprim17ROCPRIM_400000_NS6detail17trampoline_kernelINS0_14default_configENS1_25partition_config_selectorILNS1_17partition_subalgoE8ElNS0_10empty_typeEbEEZZNS1_14partition_implILS5_8ELb0ES3_jPKlPS6_PKS6_NS0_5tupleIJPlS6_EEENSE_IJSB_SB_EEENS0_18inequality_wrapperIN6hipcub16HIPCUB_304000_NS8EqualityEEESF_JS6_EEE10hipError_tPvRmT3_T4_T5_T6_T7_T9_mT8_P12ihipStream_tbDpT10_ENKUlT_T0_E_clISt17integral_constantIbLb1EES15_IbLb0EEEEDaS11_S12_EUlS11_E_NS1_11comp_targetILNS1_3genE3ELNS1_11target_archE908ELNS1_3gpuE7ELNS1_3repE0EEENS1_30default_config_static_selectorELNS0_4arch9wavefront6targetE0EEEvT1_.has_dyn_sized_stack, 0
	.set _ZN7rocprim17ROCPRIM_400000_NS6detail17trampoline_kernelINS0_14default_configENS1_25partition_config_selectorILNS1_17partition_subalgoE8ElNS0_10empty_typeEbEEZZNS1_14partition_implILS5_8ELb0ES3_jPKlPS6_PKS6_NS0_5tupleIJPlS6_EEENSE_IJSB_SB_EEENS0_18inequality_wrapperIN6hipcub16HIPCUB_304000_NS8EqualityEEESF_JS6_EEE10hipError_tPvRmT3_T4_T5_T6_T7_T9_mT8_P12ihipStream_tbDpT10_ENKUlT_T0_E_clISt17integral_constantIbLb1EES15_IbLb0EEEEDaS11_S12_EUlS11_E_NS1_11comp_targetILNS1_3genE3ELNS1_11target_archE908ELNS1_3gpuE7ELNS1_3repE0EEENS1_30default_config_static_selectorELNS0_4arch9wavefront6targetE0EEEvT1_.has_recursion, 0
	.set _ZN7rocprim17ROCPRIM_400000_NS6detail17trampoline_kernelINS0_14default_configENS1_25partition_config_selectorILNS1_17partition_subalgoE8ElNS0_10empty_typeEbEEZZNS1_14partition_implILS5_8ELb0ES3_jPKlPS6_PKS6_NS0_5tupleIJPlS6_EEENSE_IJSB_SB_EEENS0_18inequality_wrapperIN6hipcub16HIPCUB_304000_NS8EqualityEEESF_JS6_EEE10hipError_tPvRmT3_T4_T5_T6_T7_T9_mT8_P12ihipStream_tbDpT10_ENKUlT_T0_E_clISt17integral_constantIbLb1EES15_IbLb0EEEEDaS11_S12_EUlS11_E_NS1_11comp_targetILNS1_3genE3ELNS1_11target_archE908ELNS1_3gpuE7ELNS1_3repE0EEENS1_30default_config_static_selectorELNS0_4arch9wavefront6targetE0EEEvT1_.has_indirect_call, 0
	.section	.AMDGPU.csdata,"",@progbits
; Kernel info:
; codeLenInByte = 0
; TotalNumSgprs: 0
; NumVgprs: 0
; ScratchSize: 0
; MemoryBound: 0
; FloatMode: 240
; IeeeMode: 1
; LDSByteSize: 0 bytes/workgroup (compile time only)
; SGPRBlocks: 0
; VGPRBlocks: 0
; NumSGPRsForWavesPerEU: 1
; NumVGPRsForWavesPerEU: 1
; NamedBarCnt: 0
; Occupancy: 16
; WaveLimiterHint : 0
; COMPUTE_PGM_RSRC2:SCRATCH_EN: 0
; COMPUTE_PGM_RSRC2:USER_SGPR: 2
; COMPUTE_PGM_RSRC2:TRAP_HANDLER: 0
; COMPUTE_PGM_RSRC2:TGID_X_EN: 1
; COMPUTE_PGM_RSRC2:TGID_Y_EN: 0
; COMPUTE_PGM_RSRC2:TGID_Z_EN: 0
; COMPUTE_PGM_RSRC2:TIDIG_COMP_CNT: 0
	.section	.text._ZN7rocprim17ROCPRIM_400000_NS6detail17trampoline_kernelINS0_14default_configENS1_25partition_config_selectorILNS1_17partition_subalgoE8ElNS0_10empty_typeEbEEZZNS1_14partition_implILS5_8ELb0ES3_jPKlPS6_PKS6_NS0_5tupleIJPlS6_EEENSE_IJSB_SB_EEENS0_18inequality_wrapperIN6hipcub16HIPCUB_304000_NS8EqualityEEESF_JS6_EEE10hipError_tPvRmT3_T4_T5_T6_T7_T9_mT8_P12ihipStream_tbDpT10_ENKUlT_T0_E_clISt17integral_constantIbLb1EES15_IbLb0EEEEDaS11_S12_EUlS11_E_NS1_11comp_targetILNS1_3genE2ELNS1_11target_archE906ELNS1_3gpuE6ELNS1_3repE0EEENS1_30default_config_static_selectorELNS0_4arch9wavefront6targetE0EEEvT1_,"axG",@progbits,_ZN7rocprim17ROCPRIM_400000_NS6detail17trampoline_kernelINS0_14default_configENS1_25partition_config_selectorILNS1_17partition_subalgoE8ElNS0_10empty_typeEbEEZZNS1_14partition_implILS5_8ELb0ES3_jPKlPS6_PKS6_NS0_5tupleIJPlS6_EEENSE_IJSB_SB_EEENS0_18inequality_wrapperIN6hipcub16HIPCUB_304000_NS8EqualityEEESF_JS6_EEE10hipError_tPvRmT3_T4_T5_T6_T7_T9_mT8_P12ihipStream_tbDpT10_ENKUlT_T0_E_clISt17integral_constantIbLb1EES15_IbLb0EEEEDaS11_S12_EUlS11_E_NS1_11comp_targetILNS1_3genE2ELNS1_11target_archE906ELNS1_3gpuE6ELNS1_3repE0EEENS1_30default_config_static_selectorELNS0_4arch9wavefront6targetE0EEEvT1_,comdat
	.protected	_ZN7rocprim17ROCPRIM_400000_NS6detail17trampoline_kernelINS0_14default_configENS1_25partition_config_selectorILNS1_17partition_subalgoE8ElNS0_10empty_typeEbEEZZNS1_14partition_implILS5_8ELb0ES3_jPKlPS6_PKS6_NS0_5tupleIJPlS6_EEENSE_IJSB_SB_EEENS0_18inequality_wrapperIN6hipcub16HIPCUB_304000_NS8EqualityEEESF_JS6_EEE10hipError_tPvRmT3_T4_T5_T6_T7_T9_mT8_P12ihipStream_tbDpT10_ENKUlT_T0_E_clISt17integral_constantIbLb1EES15_IbLb0EEEEDaS11_S12_EUlS11_E_NS1_11comp_targetILNS1_3genE2ELNS1_11target_archE906ELNS1_3gpuE6ELNS1_3repE0EEENS1_30default_config_static_selectorELNS0_4arch9wavefront6targetE0EEEvT1_ ; -- Begin function _ZN7rocprim17ROCPRIM_400000_NS6detail17trampoline_kernelINS0_14default_configENS1_25partition_config_selectorILNS1_17partition_subalgoE8ElNS0_10empty_typeEbEEZZNS1_14partition_implILS5_8ELb0ES3_jPKlPS6_PKS6_NS0_5tupleIJPlS6_EEENSE_IJSB_SB_EEENS0_18inequality_wrapperIN6hipcub16HIPCUB_304000_NS8EqualityEEESF_JS6_EEE10hipError_tPvRmT3_T4_T5_T6_T7_T9_mT8_P12ihipStream_tbDpT10_ENKUlT_T0_E_clISt17integral_constantIbLb1EES15_IbLb0EEEEDaS11_S12_EUlS11_E_NS1_11comp_targetILNS1_3genE2ELNS1_11target_archE906ELNS1_3gpuE6ELNS1_3repE0EEENS1_30default_config_static_selectorELNS0_4arch9wavefront6targetE0EEEvT1_
	.globl	_ZN7rocprim17ROCPRIM_400000_NS6detail17trampoline_kernelINS0_14default_configENS1_25partition_config_selectorILNS1_17partition_subalgoE8ElNS0_10empty_typeEbEEZZNS1_14partition_implILS5_8ELb0ES3_jPKlPS6_PKS6_NS0_5tupleIJPlS6_EEENSE_IJSB_SB_EEENS0_18inequality_wrapperIN6hipcub16HIPCUB_304000_NS8EqualityEEESF_JS6_EEE10hipError_tPvRmT3_T4_T5_T6_T7_T9_mT8_P12ihipStream_tbDpT10_ENKUlT_T0_E_clISt17integral_constantIbLb1EES15_IbLb0EEEEDaS11_S12_EUlS11_E_NS1_11comp_targetILNS1_3genE2ELNS1_11target_archE906ELNS1_3gpuE6ELNS1_3repE0EEENS1_30default_config_static_selectorELNS0_4arch9wavefront6targetE0EEEvT1_
	.p2align	8
	.type	_ZN7rocprim17ROCPRIM_400000_NS6detail17trampoline_kernelINS0_14default_configENS1_25partition_config_selectorILNS1_17partition_subalgoE8ElNS0_10empty_typeEbEEZZNS1_14partition_implILS5_8ELb0ES3_jPKlPS6_PKS6_NS0_5tupleIJPlS6_EEENSE_IJSB_SB_EEENS0_18inequality_wrapperIN6hipcub16HIPCUB_304000_NS8EqualityEEESF_JS6_EEE10hipError_tPvRmT3_T4_T5_T6_T7_T9_mT8_P12ihipStream_tbDpT10_ENKUlT_T0_E_clISt17integral_constantIbLb1EES15_IbLb0EEEEDaS11_S12_EUlS11_E_NS1_11comp_targetILNS1_3genE2ELNS1_11target_archE906ELNS1_3gpuE6ELNS1_3repE0EEENS1_30default_config_static_selectorELNS0_4arch9wavefront6targetE0EEEvT1_,@function
_ZN7rocprim17ROCPRIM_400000_NS6detail17trampoline_kernelINS0_14default_configENS1_25partition_config_selectorILNS1_17partition_subalgoE8ElNS0_10empty_typeEbEEZZNS1_14partition_implILS5_8ELb0ES3_jPKlPS6_PKS6_NS0_5tupleIJPlS6_EEENSE_IJSB_SB_EEENS0_18inequality_wrapperIN6hipcub16HIPCUB_304000_NS8EqualityEEESF_JS6_EEE10hipError_tPvRmT3_T4_T5_T6_T7_T9_mT8_P12ihipStream_tbDpT10_ENKUlT_T0_E_clISt17integral_constantIbLb1EES15_IbLb0EEEEDaS11_S12_EUlS11_E_NS1_11comp_targetILNS1_3genE2ELNS1_11target_archE906ELNS1_3gpuE6ELNS1_3repE0EEENS1_30default_config_static_selectorELNS0_4arch9wavefront6targetE0EEEvT1_: ; @_ZN7rocprim17ROCPRIM_400000_NS6detail17trampoline_kernelINS0_14default_configENS1_25partition_config_selectorILNS1_17partition_subalgoE8ElNS0_10empty_typeEbEEZZNS1_14partition_implILS5_8ELb0ES3_jPKlPS6_PKS6_NS0_5tupleIJPlS6_EEENSE_IJSB_SB_EEENS0_18inequality_wrapperIN6hipcub16HIPCUB_304000_NS8EqualityEEESF_JS6_EEE10hipError_tPvRmT3_T4_T5_T6_T7_T9_mT8_P12ihipStream_tbDpT10_ENKUlT_T0_E_clISt17integral_constantIbLb1EES15_IbLb0EEEEDaS11_S12_EUlS11_E_NS1_11comp_targetILNS1_3genE2ELNS1_11target_archE906ELNS1_3gpuE6ELNS1_3repE0EEENS1_30default_config_static_selectorELNS0_4arch9wavefront6targetE0EEEvT1_
; %bb.0:
	.section	.rodata,"a",@progbits
	.p2align	6, 0x0
	.amdhsa_kernel _ZN7rocprim17ROCPRIM_400000_NS6detail17trampoline_kernelINS0_14default_configENS1_25partition_config_selectorILNS1_17partition_subalgoE8ElNS0_10empty_typeEbEEZZNS1_14partition_implILS5_8ELb0ES3_jPKlPS6_PKS6_NS0_5tupleIJPlS6_EEENSE_IJSB_SB_EEENS0_18inequality_wrapperIN6hipcub16HIPCUB_304000_NS8EqualityEEESF_JS6_EEE10hipError_tPvRmT3_T4_T5_T6_T7_T9_mT8_P12ihipStream_tbDpT10_ENKUlT_T0_E_clISt17integral_constantIbLb1EES15_IbLb0EEEEDaS11_S12_EUlS11_E_NS1_11comp_targetILNS1_3genE2ELNS1_11target_archE906ELNS1_3gpuE6ELNS1_3repE0EEENS1_30default_config_static_selectorELNS0_4arch9wavefront6targetE0EEEvT1_
		.amdhsa_group_segment_fixed_size 0
		.amdhsa_private_segment_fixed_size 0
		.amdhsa_kernarg_size 112
		.amdhsa_user_sgpr_count 2
		.amdhsa_user_sgpr_dispatch_ptr 0
		.amdhsa_user_sgpr_queue_ptr 0
		.amdhsa_user_sgpr_kernarg_segment_ptr 1
		.amdhsa_user_sgpr_dispatch_id 0
		.amdhsa_user_sgpr_kernarg_preload_length 0
		.amdhsa_user_sgpr_kernarg_preload_offset 0
		.amdhsa_user_sgpr_private_segment_size 0
		.amdhsa_wavefront_size32 1
		.amdhsa_uses_dynamic_stack 0
		.amdhsa_enable_private_segment 0
		.amdhsa_system_sgpr_workgroup_id_x 1
		.amdhsa_system_sgpr_workgroup_id_y 0
		.amdhsa_system_sgpr_workgroup_id_z 0
		.amdhsa_system_sgpr_workgroup_info 0
		.amdhsa_system_vgpr_workitem_id 0
		.amdhsa_next_free_vgpr 1
		.amdhsa_next_free_sgpr 1
		.amdhsa_named_barrier_count 0
		.amdhsa_reserve_vcc 0
		.amdhsa_float_round_mode_32 0
		.amdhsa_float_round_mode_16_64 0
		.amdhsa_float_denorm_mode_32 3
		.amdhsa_float_denorm_mode_16_64 3
		.amdhsa_fp16_overflow 0
		.amdhsa_memory_ordered 1
		.amdhsa_forward_progress 1
		.amdhsa_inst_pref_size 0
		.amdhsa_round_robin_scheduling 0
		.amdhsa_exception_fp_ieee_invalid_op 0
		.amdhsa_exception_fp_denorm_src 0
		.amdhsa_exception_fp_ieee_div_zero 0
		.amdhsa_exception_fp_ieee_overflow 0
		.amdhsa_exception_fp_ieee_underflow 0
		.amdhsa_exception_fp_ieee_inexact 0
		.amdhsa_exception_int_div_zero 0
	.end_amdhsa_kernel
	.section	.text._ZN7rocprim17ROCPRIM_400000_NS6detail17trampoline_kernelINS0_14default_configENS1_25partition_config_selectorILNS1_17partition_subalgoE8ElNS0_10empty_typeEbEEZZNS1_14partition_implILS5_8ELb0ES3_jPKlPS6_PKS6_NS0_5tupleIJPlS6_EEENSE_IJSB_SB_EEENS0_18inequality_wrapperIN6hipcub16HIPCUB_304000_NS8EqualityEEESF_JS6_EEE10hipError_tPvRmT3_T4_T5_T6_T7_T9_mT8_P12ihipStream_tbDpT10_ENKUlT_T0_E_clISt17integral_constantIbLb1EES15_IbLb0EEEEDaS11_S12_EUlS11_E_NS1_11comp_targetILNS1_3genE2ELNS1_11target_archE906ELNS1_3gpuE6ELNS1_3repE0EEENS1_30default_config_static_selectorELNS0_4arch9wavefront6targetE0EEEvT1_,"axG",@progbits,_ZN7rocprim17ROCPRIM_400000_NS6detail17trampoline_kernelINS0_14default_configENS1_25partition_config_selectorILNS1_17partition_subalgoE8ElNS0_10empty_typeEbEEZZNS1_14partition_implILS5_8ELb0ES3_jPKlPS6_PKS6_NS0_5tupleIJPlS6_EEENSE_IJSB_SB_EEENS0_18inequality_wrapperIN6hipcub16HIPCUB_304000_NS8EqualityEEESF_JS6_EEE10hipError_tPvRmT3_T4_T5_T6_T7_T9_mT8_P12ihipStream_tbDpT10_ENKUlT_T0_E_clISt17integral_constantIbLb1EES15_IbLb0EEEEDaS11_S12_EUlS11_E_NS1_11comp_targetILNS1_3genE2ELNS1_11target_archE906ELNS1_3gpuE6ELNS1_3repE0EEENS1_30default_config_static_selectorELNS0_4arch9wavefront6targetE0EEEvT1_,comdat
.Lfunc_end246:
	.size	_ZN7rocprim17ROCPRIM_400000_NS6detail17trampoline_kernelINS0_14default_configENS1_25partition_config_selectorILNS1_17partition_subalgoE8ElNS0_10empty_typeEbEEZZNS1_14partition_implILS5_8ELb0ES3_jPKlPS6_PKS6_NS0_5tupleIJPlS6_EEENSE_IJSB_SB_EEENS0_18inequality_wrapperIN6hipcub16HIPCUB_304000_NS8EqualityEEESF_JS6_EEE10hipError_tPvRmT3_T4_T5_T6_T7_T9_mT8_P12ihipStream_tbDpT10_ENKUlT_T0_E_clISt17integral_constantIbLb1EES15_IbLb0EEEEDaS11_S12_EUlS11_E_NS1_11comp_targetILNS1_3genE2ELNS1_11target_archE906ELNS1_3gpuE6ELNS1_3repE0EEENS1_30default_config_static_selectorELNS0_4arch9wavefront6targetE0EEEvT1_, .Lfunc_end246-_ZN7rocprim17ROCPRIM_400000_NS6detail17trampoline_kernelINS0_14default_configENS1_25partition_config_selectorILNS1_17partition_subalgoE8ElNS0_10empty_typeEbEEZZNS1_14partition_implILS5_8ELb0ES3_jPKlPS6_PKS6_NS0_5tupleIJPlS6_EEENSE_IJSB_SB_EEENS0_18inequality_wrapperIN6hipcub16HIPCUB_304000_NS8EqualityEEESF_JS6_EEE10hipError_tPvRmT3_T4_T5_T6_T7_T9_mT8_P12ihipStream_tbDpT10_ENKUlT_T0_E_clISt17integral_constantIbLb1EES15_IbLb0EEEEDaS11_S12_EUlS11_E_NS1_11comp_targetILNS1_3genE2ELNS1_11target_archE906ELNS1_3gpuE6ELNS1_3repE0EEENS1_30default_config_static_selectorELNS0_4arch9wavefront6targetE0EEEvT1_
                                        ; -- End function
	.set _ZN7rocprim17ROCPRIM_400000_NS6detail17trampoline_kernelINS0_14default_configENS1_25partition_config_selectorILNS1_17partition_subalgoE8ElNS0_10empty_typeEbEEZZNS1_14partition_implILS5_8ELb0ES3_jPKlPS6_PKS6_NS0_5tupleIJPlS6_EEENSE_IJSB_SB_EEENS0_18inequality_wrapperIN6hipcub16HIPCUB_304000_NS8EqualityEEESF_JS6_EEE10hipError_tPvRmT3_T4_T5_T6_T7_T9_mT8_P12ihipStream_tbDpT10_ENKUlT_T0_E_clISt17integral_constantIbLb1EES15_IbLb0EEEEDaS11_S12_EUlS11_E_NS1_11comp_targetILNS1_3genE2ELNS1_11target_archE906ELNS1_3gpuE6ELNS1_3repE0EEENS1_30default_config_static_selectorELNS0_4arch9wavefront6targetE0EEEvT1_.num_vgpr, 0
	.set _ZN7rocprim17ROCPRIM_400000_NS6detail17trampoline_kernelINS0_14default_configENS1_25partition_config_selectorILNS1_17partition_subalgoE8ElNS0_10empty_typeEbEEZZNS1_14partition_implILS5_8ELb0ES3_jPKlPS6_PKS6_NS0_5tupleIJPlS6_EEENSE_IJSB_SB_EEENS0_18inequality_wrapperIN6hipcub16HIPCUB_304000_NS8EqualityEEESF_JS6_EEE10hipError_tPvRmT3_T4_T5_T6_T7_T9_mT8_P12ihipStream_tbDpT10_ENKUlT_T0_E_clISt17integral_constantIbLb1EES15_IbLb0EEEEDaS11_S12_EUlS11_E_NS1_11comp_targetILNS1_3genE2ELNS1_11target_archE906ELNS1_3gpuE6ELNS1_3repE0EEENS1_30default_config_static_selectorELNS0_4arch9wavefront6targetE0EEEvT1_.num_agpr, 0
	.set _ZN7rocprim17ROCPRIM_400000_NS6detail17trampoline_kernelINS0_14default_configENS1_25partition_config_selectorILNS1_17partition_subalgoE8ElNS0_10empty_typeEbEEZZNS1_14partition_implILS5_8ELb0ES3_jPKlPS6_PKS6_NS0_5tupleIJPlS6_EEENSE_IJSB_SB_EEENS0_18inequality_wrapperIN6hipcub16HIPCUB_304000_NS8EqualityEEESF_JS6_EEE10hipError_tPvRmT3_T4_T5_T6_T7_T9_mT8_P12ihipStream_tbDpT10_ENKUlT_T0_E_clISt17integral_constantIbLb1EES15_IbLb0EEEEDaS11_S12_EUlS11_E_NS1_11comp_targetILNS1_3genE2ELNS1_11target_archE906ELNS1_3gpuE6ELNS1_3repE0EEENS1_30default_config_static_selectorELNS0_4arch9wavefront6targetE0EEEvT1_.numbered_sgpr, 0
	.set _ZN7rocprim17ROCPRIM_400000_NS6detail17trampoline_kernelINS0_14default_configENS1_25partition_config_selectorILNS1_17partition_subalgoE8ElNS0_10empty_typeEbEEZZNS1_14partition_implILS5_8ELb0ES3_jPKlPS6_PKS6_NS0_5tupleIJPlS6_EEENSE_IJSB_SB_EEENS0_18inequality_wrapperIN6hipcub16HIPCUB_304000_NS8EqualityEEESF_JS6_EEE10hipError_tPvRmT3_T4_T5_T6_T7_T9_mT8_P12ihipStream_tbDpT10_ENKUlT_T0_E_clISt17integral_constantIbLb1EES15_IbLb0EEEEDaS11_S12_EUlS11_E_NS1_11comp_targetILNS1_3genE2ELNS1_11target_archE906ELNS1_3gpuE6ELNS1_3repE0EEENS1_30default_config_static_selectorELNS0_4arch9wavefront6targetE0EEEvT1_.num_named_barrier, 0
	.set _ZN7rocprim17ROCPRIM_400000_NS6detail17trampoline_kernelINS0_14default_configENS1_25partition_config_selectorILNS1_17partition_subalgoE8ElNS0_10empty_typeEbEEZZNS1_14partition_implILS5_8ELb0ES3_jPKlPS6_PKS6_NS0_5tupleIJPlS6_EEENSE_IJSB_SB_EEENS0_18inequality_wrapperIN6hipcub16HIPCUB_304000_NS8EqualityEEESF_JS6_EEE10hipError_tPvRmT3_T4_T5_T6_T7_T9_mT8_P12ihipStream_tbDpT10_ENKUlT_T0_E_clISt17integral_constantIbLb1EES15_IbLb0EEEEDaS11_S12_EUlS11_E_NS1_11comp_targetILNS1_3genE2ELNS1_11target_archE906ELNS1_3gpuE6ELNS1_3repE0EEENS1_30default_config_static_selectorELNS0_4arch9wavefront6targetE0EEEvT1_.private_seg_size, 0
	.set _ZN7rocprim17ROCPRIM_400000_NS6detail17trampoline_kernelINS0_14default_configENS1_25partition_config_selectorILNS1_17partition_subalgoE8ElNS0_10empty_typeEbEEZZNS1_14partition_implILS5_8ELb0ES3_jPKlPS6_PKS6_NS0_5tupleIJPlS6_EEENSE_IJSB_SB_EEENS0_18inequality_wrapperIN6hipcub16HIPCUB_304000_NS8EqualityEEESF_JS6_EEE10hipError_tPvRmT3_T4_T5_T6_T7_T9_mT8_P12ihipStream_tbDpT10_ENKUlT_T0_E_clISt17integral_constantIbLb1EES15_IbLb0EEEEDaS11_S12_EUlS11_E_NS1_11comp_targetILNS1_3genE2ELNS1_11target_archE906ELNS1_3gpuE6ELNS1_3repE0EEENS1_30default_config_static_selectorELNS0_4arch9wavefront6targetE0EEEvT1_.uses_vcc, 0
	.set _ZN7rocprim17ROCPRIM_400000_NS6detail17trampoline_kernelINS0_14default_configENS1_25partition_config_selectorILNS1_17partition_subalgoE8ElNS0_10empty_typeEbEEZZNS1_14partition_implILS5_8ELb0ES3_jPKlPS6_PKS6_NS0_5tupleIJPlS6_EEENSE_IJSB_SB_EEENS0_18inequality_wrapperIN6hipcub16HIPCUB_304000_NS8EqualityEEESF_JS6_EEE10hipError_tPvRmT3_T4_T5_T6_T7_T9_mT8_P12ihipStream_tbDpT10_ENKUlT_T0_E_clISt17integral_constantIbLb1EES15_IbLb0EEEEDaS11_S12_EUlS11_E_NS1_11comp_targetILNS1_3genE2ELNS1_11target_archE906ELNS1_3gpuE6ELNS1_3repE0EEENS1_30default_config_static_selectorELNS0_4arch9wavefront6targetE0EEEvT1_.uses_flat_scratch, 0
	.set _ZN7rocprim17ROCPRIM_400000_NS6detail17trampoline_kernelINS0_14default_configENS1_25partition_config_selectorILNS1_17partition_subalgoE8ElNS0_10empty_typeEbEEZZNS1_14partition_implILS5_8ELb0ES3_jPKlPS6_PKS6_NS0_5tupleIJPlS6_EEENSE_IJSB_SB_EEENS0_18inequality_wrapperIN6hipcub16HIPCUB_304000_NS8EqualityEEESF_JS6_EEE10hipError_tPvRmT3_T4_T5_T6_T7_T9_mT8_P12ihipStream_tbDpT10_ENKUlT_T0_E_clISt17integral_constantIbLb1EES15_IbLb0EEEEDaS11_S12_EUlS11_E_NS1_11comp_targetILNS1_3genE2ELNS1_11target_archE906ELNS1_3gpuE6ELNS1_3repE0EEENS1_30default_config_static_selectorELNS0_4arch9wavefront6targetE0EEEvT1_.has_dyn_sized_stack, 0
	.set _ZN7rocprim17ROCPRIM_400000_NS6detail17trampoline_kernelINS0_14default_configENS1_25partition_config_selectorILNS1_17partition_subalgoE8ElNS0_10empty_typeEbEEZZNS1_14partition_implILS5_8ELb0ES3_jPKlPS6_PKS6_NS0_5tupleIJPlS6_EEENSE_IJSB_SB_EEENS0_18inequality_wrapperIN6hipcub16HIPCUB_304000_NS8EqualityEEESF_JS6_EEE10hipError_tPvRmT3_T4_T5_T6_T7_T9_mT8_P12ihipStream_tbDpT10_ENKUlT_T0_E_clISt17integral_constantIbLb1EES15_IbLb0EEEEDaS11_S12_EUlS11_E_NS1_11comp_targetILNS1_3genE2ELNS1_11target_archE906ELNS1_3gpuE6ELNS1_3repE0EEENS1_30default_config_static_selectorELNS0_4arch9wavefront6targetE0EEEvT1_.has_recursion, 0
	.set _ZN7rocprim17ROCPRIM_400000_NS6detail17trampoline_kernelINS0_14default_configENS1_25partition_config_selectorILNS1_17partition_subalgoE8ElNS0_10empty_typeEbEEZZNS1_14partition_implILS5_8ELb0ES3_jPKlPS6_PKS6_NS0_5tupleIJPlS6_EEENSE_IJSB_SB_EEENS0_18inequality_wrapperIN6hipcub16HIPCUB_304000_NS8EqualityEEESF_JS6_EEE10hipError_tPvRmT3_T4_T5_T6_T7_T9_mT8_P12ihipStream_tbDpT10_ENKUlT_T0_E_clISt17integral_constantIbLb1EES15_IbLb0EEEEDaS11_S12_EUlS11_E_NS1_11comp_targetILNS1_3genE2ELNS1_11target_archE906ELNS1_3gpuE6ELNS1_3repE0EEENS1_30default_config_static_selectorELNS0_4arch9wavefront6targetE0EEEvT1_.has_indirect_call, 0
	.section	.AMDGPU.csdata,"",@progbits
; Kernel info:
; codeLenInByte = 0
; TotalNumSgprs: 0
; NumVgprs: 0
; ScratchSize: 0
; MemoryBound: 0
; FloatMode: 240
; IeeeMode: 1
; LDSByteSize: 0 bytes/workgroup (compile time only)
; SGPRBlocks: 0
; VGPRBlocks: 0
; NumSGPRsForWavesPerEU: 1
; NumVGPRsForWavesPerEU: 1
; NamedBarCnt: 0
; Occupancy: 16
; WaveLimiterHint : 0
; COMPUTE_PGM_RSRC2:SCRATCH_EN: 0
; COMPUTE_PGM_RSRC2:USER_SGPR: 2
; COMPUTE_PGM_RSRC2:TRAP_HANDLER: 0
; COMPUTE_PGM_RSRC2:TGID_X_EN: 1
; COMPUTE_PGM_RSRC2:TGID_Y_EN: 0
; COMPUTE_PGM_RSRC2:TGID_Z_EN: 0
; COMPUTE_PGM_RSRC2:TIDIG_COMP_CNT: 0
	.section	.text._ZN7rocprim17ROCPRIM_400000_NS6detail17trampoline_kernelINS0_14default_configENS1_25partition_config_selectorILNS1_17partition_subalgoE8ElNS0_10empty_typeEbEEZZNS1_14partition_implILS5_8ELb0ES3_jPKlPS6_PKS6_NS0_5tupleIJPlS6_EEENSE_IJSB_SB_EEENS0_18inequality_wrapperIN6hipcub16HIPCUB_304000_NS8EqualityEEESF_JS6_EEE10hipError_tPvRmT3_T4_T5_T6_T7_T9_mT8_P12ihipStream_tbDpT10_ENKUlT_T0_E_clISt17integral_constantIbLb1EES15_IbLb0EEEEDaS11_S12_EUlS11_E_NS1_11comp_targetILNS1_3genE10ELNS1_11target_archE1200ELNS1_3gpuE4ELNS1_3repE0EEENS1_30default_config_static_selectorELNS0_4arch9wavefront6targetE0EEEvT1_,"axG",@progbits,_ZN7rocprim17ROCPRIM_400000_NS6detail17trampoline_kernelINS0_14default_configENS1_25partition_config_selectorILNS1_17partition_subalgoE8ElNS0_10empty_typeEbEEZZNS1_14partition_implILS5_8ELb0ES3_jPKlPS6_PKS6_NS0_5tupleIJPlS6_EEENSE_IJSB_SB_EEENS0_18inequality_wrapperIN6hipcub16HIPCUB_304000_NS8EqualityEEESF_JS6_EEE10hipError_tPvRmT3_T4_T5_T6_T7_T9_mT8_P12ihipStream_tbDpT10_ENKUlT_T0_E_clISt17integral_constantIbLb1EES15_IbLb0EEEEDaS11_S12_EUlS11_E_NS1_11comp_targetILNS1_3genE10ELNS1_11target_archE1200ELNS1_3gpuE4ELNS1_3repE0EEENS1_30default_config_static_selectorELNS0_4arch9wavefront6targetE0EEEvT1_,comdat
	.protected	_ZN7rocprim17ROCPRIM_400000_NS6detail17trampoline_kernelINS0_14default_configENS1_25partition_config_selectorILNS1_17partition_subalgoE8ElNS0_10empty_typeEbEEZZNS1_14partition_implILS5_8ELb0ES3_jPKlPS6_PKS6_NS0_5tupleIJPlS6_EEENSE_IJSB_SB_EEENS0_18inequality_wrapperIN6hipcub16HIPCUB_304000_NS8EqualityEEESF_JS6_EEE10hipError_tPvRmT3_T4_T5_T6_T7_T9_mT8_P12ihipStream_tbDpT10_ENKUlT_T0_E_clISt17integral_constantIbLb1EES15_IbLb0EEEEDaS11_S12_EUlS11_E_NS1_11comp_targetILNS1_3genE10ELNS1_11target_archE1200ELNS1_3gpuE4ELNS1_3repE0EEENS1_30default_config_static_selectorELNS0_4arch9wavefront6targetE0EEEvT1_ ; -- Begin function _ZN7rocprim17ROCPRIM_400000_NS6detail17trampoline_kernelINS0_14default_configENS1_25partition_config_selectorILNS1_17partition_subalgoE8ElNS0_10empty_typeEbEEZZNS1_14partition_implILS5_8ELb0ES3_jPKlPS6_PKS6_NS0_5tupleIJPlS6_EEENSE_IJSB_SB_EEENS0_18inequality_wrapperIN6hipcub16HIPCUB_304000_NS8EqualityEEESF_JS6_EEE10hipError_tPvRmT3_T4_T5_T6_T7_T9_mT8_P12ihipStream_tbDpT10_ENKUlT_T0_E_clISt17integral_constantIbLb1EES15_IbLb0EEEEDaS11_S12_EUlS11_E_NS1_11comp_targetILNS1_3genE10ELNS1_11target_archE1200ELNS1_3gpuE4ELNS1_3repE0EEENS1_30default_config_static_selectorELNS0_4arch9wavefront6targetE0EEEvT1_
	.globl	_ZN7rocprim17ROCPRIM_400000_NS6detail17trampoline_kernelINS0_14default_configENS1_25partition_config_selectorILNS1_17partition_subalgoE8ElNS0_10empty_typeEbEEZZNS1_14partition_implILS5_8ELb0ES3_jPKlPS6_PKS6_NS0_5tupleIJPlS6_EEENSE_IJSB_SB_EEENS0_18inequality_wrapperIN6hipcub16HIPCUB_304000_NS8EqualityEEESF_JS6_EEE10hipError_tPvRmT3_T4_T5_T6_T7_T9_mT8_P12ihipStream_tbDpT10_ENKUlT_T0_E_clISt17integral_constantIbLb1EES15_IbLb0EEEEDaS11_S12_EUlS11_E_NS1_11comp_targetILNS1_3genE10ELNS1_11target_archE1200ELNS1_3gpuE4ELNS1_3repE0EEENS1_30default_config_static_selectorELNS0_4arch9wavefront6targetE0EEEvT1_
	.p2align	8
	.type	_ZN7rocprim17ROCPRIM_400000_NS6detail17trampoline_kernelINS0_14default_configENS1_25partition_config_selectorILNS1_17partition_subalgoE8ElNS0_10empty_typeEbEEZZNS1_14partition_implILS5_8ELb0ES3_jPKlPS6_PKS6_NS0_5tupleIJPlS6_EEENSE_IJSB_SB_EEENS0_18inequality_wrapperIN6hipcub16HIPCUB_304000_NS8EqualityEEESF_JS6_EEE10hipError_tPvRmT3_T4_T5_T6_T7_T9_mT8_P12ihipStream_tbDpT10_ENKUlT_T0_E_clISt17integral_constantIbLb1EES15_IbLb0EEEEDaS11_S12_EUlS11_E_NS1_11comp_targetILNS1_3genE10ELNS1_11target_archE1200ELNS1_3gpuE4ELNS1_3repE0EEENS1_30default_config_static_selectorELNS0_4arch9wavefront6targetE0EEEvT1_,@function
_ZN7rocprim17ROCPRIM_400000_NS6detail17trampoline_kernelINS0_14default_configENS1_25partition_config_selectorILNS1_17partition_subalgoE8ElNS0_10empty_typeEbEEZZNS1_14partition_implILS5_8ELb0ES3_jPKlPS6_PKS6_NS0_5tupleIJPlS6_EEENSE_IJSB_SB_EEENS0_18inequality_wrapperIN6hipcub16HIPCUB_304000_NS8EqualityEEESF_JS6_EEE10hipError_tPvRmT3_T4_T5_T6_T7_T9_mT8_P12ihipStream_tbDpT10_ENKUlT_T0_E_clISt17integral_constantIbLb1EES15_IbLb0EEEEDaS11_S12_EUlS11_E_NS1_11comp_targetILNS1_3genE10ELNS1_11target_archE1200ELNS1_3gpuE4ELNS1_3repE0EEENS1_30default_config_static_selectorELNS0_4arch9wavefront6targetE0EEEvT1_: ; @_ZN7rocprim17ROCPRIM_400000_NS6detail17trampoline_kernelINS0_14default_configENS1_25partition_config_selectorILNS1_17partition_subalgoE8ElNS0_10empty_typeEbEEZZNS1_14partition_implILS5_8ELb0ES3_jPKlPS6_PKS6_NS0_5tupleIJPlS6_EEENSE_IJSB_SB_EEENS0_18inequality_wrapperIN6hipcub16HIPCUB_304000_NS8EqualityEEESF_JS6_EEE10hipError_tPvRmT3_T4_T5_T6_T7_T9_mT8_P12ihipStream_tbDpT10_ENKUlT_T0_E_clISt17integral_constantIbLb1EES15_IbLb0EEEEDaS11_S12_EUlS11_E_NS1_11comp_targetILNS1_3genE10ELNS1_11target_archE1200ELNS1_3gpuE4ELNS1_3repE0EEENS1_30default_config_static_selectorELNS0_4arch9wavefront6targetE0EEEvT1_
; %bb.0:
	.section	.rodata,"a",@progbits
	.p2align	6, 0x0
	.amdhsa_kernel _ZN7rocprim17ROCPRIM_400000_NS6detail17trampoline_kernelINS0_14default_configENS1_25partition_config_selectorILNS1_17partition_subalgoE8ElNS0_10empty_typeEbEEZZNS1_14partition_implILS5_8ELb0ES3_jPKlPS6_PKS6_NS0_5tupleIJPlS6_EEENSE_IJSB_SB_EEENS0_18inequality_wrapperIN6hipcub16HIPCUB_304000_NS8EqualityEEESF_JS6_EEE10hipError_tPvRmT3_T4_T5_T6_T7_T9_mT8_P12ihipStream_tbDpT10_ENKUlT_T0_E_clISt17integral_constantIbLb1EES15_IbLb0EEEEDaS11_S12_EUlS11_E_NS1_11comp_targetILNS1_3genE10ELNS1_11target_archE1200ELNS1_3gpuE4ELNS1_3repE0EEENS1_30default_config_static_selectorELNS0_4arch9wavefront6targetE0EEEvT1_
		.amdhsa_group_segment_fixed_size 0
		.amdhsa_private_segment_fixed_size 0
		.amdhsa_kernarg_size 112
		.amdhsa_user_sgpr_count 2
		.amdhsa_user_sgpr_dispatch_ptr 0
		.amdhsa_user_sgpr_queue_ptr 0
		.amdhsa_user_sgpr_kernarg_segment_ptr 1
		.amdhsa_user_sgpr_dispatch_id 0
		.amdhsa_user_sgpr_kernarg_preload_length 0
		.amdhsa_user_sgpr_kernarg_preload_offset 0
		.amdhsa_user_sgpr_private_segment_size 0
		.amdhsa_wavefront_size32 1
		.amdhsa_uses_dynamic_stack 0
		.amdhsa_enable_private_segment 0
		.amdhsa_system_sgpr_workgroup_id_x 1
		.amdhsa_system_sgpr_workgroup_id_y 0
		.amdhsa_system_sgpr_workgroup_id_z 0
		.amdhsa_system_sgpr_workgroup_info 0
		.amdhsa_system_vgpr_workitem_id 0
		.amdhsa_next_free_vgpr 1
		.amdhsa_next_free_sgpr 1
		.amdhsa_named_barrier_count 0
		.amdhsa_reserve_vcc 0
		.amdhsa_float_round_mode_32 0
		.amdhsa_float_round_mode_16_64 0
		.amdhsa_float_denorm_mode_32 3
		.amdhsa_float_denorm_mode_16_64 3
		.amdhsa_fp16_overflow 0
		.amdhsa_memory_ordered 1
		.amdhsa_forward_progress 1
		.amdhsa_inst_pref_size 0
		.amdhsa_round_robin_scheduling 0
		.amdhsa_exception_fp_ieee_invalid_op 0
		.amdhsa_exception_fp_denorm_src 0
		.amdhsa_exception_fp_ieee_div_zero 0
		.amdhsa_exception_fp_ieee_overflow 0
		.amdhsa_exception_fp_ieee_underflow 0
		.amdhsa_exception_fp_ieee_inexact 0
		.amdhsa_exception_int_div_zero 0
	.end_amdhsa_kernel
	.section	.text._ZN7rocprim17ROCPRIM_400000_NS6detail17trampoline_kernelINS0_14default_configENS1_25partition_config_selectorILNS1_17partition_subalgoE8ElNS0_10empty_typeEbEEZZNS1_14partition_implILS5_8ELb0ES3_jPKlPS6_PKS6_NS0_5tupleIJPlS6_EEENSE_IJSB_SB_EEENS0_18inequality_wrapperIN6hipcub16HIPCUB_304000_NS8EqualityEEESF_JS6_EEE10hipError_tPvRmT3_T4_T5_T6_T7_T9_mT8_P12ihipStream_tbDpT10_ENKUlT_T0_E_clISt17integral_constantIbLb1EES15_IbLb0EEEEDaS11_S12_EUlS11_E_NS1_11comp_targetILNS1_3genE10ELNS1_11target_archE1200ELNS1_3gpuE4ELNS1_3repE0EEENS1_30default_config_static_selectorELNS0_4arch9wavefront6targetE0EEEvT1_,"axG",@progbits,_ZN7rocprim17ROCPRIM_400000_NS6detail17trampoline_kernelINS0_14default_configENS1_25partition_config_selectorILNS1_17partition_subalgoE8ElNS0_10empty_typeEbEEZZNS1_14partition_implILS5_8ELb0ES3_jPKlPS6_PKS6_NS0_5tupleIJPlS6_EEENSE_IJSB_SB_EEENS0_18inequality_wrapperIN6hipcub16HIPCUB_304000_NS8EqualityEEESF_JS6_EEE10hipError_tPvRmT3_T4_T5_T6_T7_T9_mT8_P12ihipStream_tbDpT10_ENKUlT_T0_E_clISt17integral_constantIbLb1EES15_IbLb0EEEEDaS11_S12_EUlS11_E_NS1_11comp_targetILNS1_3genE10ELNS1_11target_archE1200ELNS1_3gpuE4ELNS1_3repE0EEENS1_30default_config_static_selectorELNS0_4arch9wavefront6targetE0EEEvT1_,comdat
.Lfunc_end247:
	.size	_ZN7rocprim17ROCPRIM_400000_NS6detail17trampoline_kernelINS0_14default_configENS1_25partition_config_selectorILNS1_17partition_subalgoE8ElNS0_10empty_typeEbEEZZNS1_14partition_implILS5_8ELb0ES3_jPKlPS6_PKS6_NS0_5tupleIJPlS6_EEENSE_IJSB_SB_EEENS0_18inequality_wrapperIN6hipcub16HIPCUB_304000_NS8EqualityEEESF_JS6_EEE10hipError_tPvRmT3_T4_T5_T6_T7_T9_mT8_P12ihipStream_tbDpT10_ENKUlT_T0_E_clISt17integral_constantIbLb1EES15_IbLb0EEEEDaS11_S12_EUlS11_E_NS1_11comp_targetILNS1_3genE10ELNS1_11target_archE1200ELNS1_3gpuE4ELNS1_3repE0EEENS1_30default_config_static_selectorELNS0_4arch9wavefront6targetE0EEEvT1_, .Lfunc_end247-_ZN7rocprim17ROCPRIM_400000_NS6detail17trampoline_kernelINS0_14default_configENS1_25partition_config_selectorILNS1_17partition_subalgoE8ElNS0_10empty_typeEbEEZZNS1_14partition_implILS5_8ELb0ES3_jPKlPS6_PKS6_NS0_5tupleIJPlS6_EEENSE_IJSB_SB_EEENS0_18inequality_wrapperIN6hipcub16HIPCUB_304000_NS8EqualityEEESF_JS6_EEE10hipError_tPvRmT3_T4_T5_T6_T7_T9_mT8_P12ihipStream_tbDpT10_ENKUlT_T0_E_clISt17integral_constantIbLb1EES15_IbLb0EEEEDaS11_S12_EUlS11_E_NS1_11comp_targetILNS1_3genE10ELNS1_11target_archE1200ELNS1_3gpuE4ELNS1_3repE0EEENS1_30default_config_static_selectorELNS0_4arch9wavefront6targetE0EEEvT1_
                                        ; -- End function
	.set _ZN7rocprim17ROCPRIM_400000_NS6detail17trampoline_kernelINS0_14default_configENS1_25partition_config_selectorILNS1_17partition_subalgoE8ElNS0_10empty_typeEbEEZZNS1_14partition_implILS5_8ELb0ES3_jPKlPS6_PKS6_NS0_5tupleIJPlS6_EEENSE_IJSB_SB_EEENS0_18inequality_wrapperIN6hipcub16HIPCUB_304000_NS8EqualityEEESF_JS6_EEE10hipError_tPvRmT3_T4_T5_T6_T7_T9_mT8_P12ihipStream_tbDpT10_ENKUlT_T0_E_clISt17integral_constantIbLb1EES15_IbLb0EEEEDaS11_S12_EUlS11_E_NS1_11comp_targetILNS1_3genE10ELNS1_11target_archE1200ELNS1_3gpuE4ELNS1_3repE0EEENS1_30default_config_static_selectorELNS0_4arch9wavefront6targetE0EEEvT1_.num_vgpr, 0
	.set _ZN7rocprim17ROCPRIM_400000_NS6detail17trampoline_kernelINS0_14default_configENS1_25partition_config_selectorILNS1_17partition_subalgoE8ElNS0_10empty_typeEbEEZZNS1_14partition_implILS5_8ELb0ES3_jPKlPS6_PKS6_NS0_5tupleIJPlS6_EEENSE_IJSB_SB_EEENS0_18inequality_wrapperIN6hipcub16HIPCUB_304000_NS8EqualityEEESF_JS6_EEE10hipError_tPvRmT3_T4_T5_T6_T7_T9_mT8_P12ihipStream_tbDpT10_ENKUlT_T0_E_clISt17integral_constantIbLb1EES15_IbLb0EEEEDaS11_S12_EUlS11_E_NS1_11comp_targetILNS1_3genE10ELNS1_11target_archE1200ELNS1_3gpuE4ELNS1_3repE0EEENS1_30default_config_static_selectorELNS0_4arch9wavefront6targetE0EEEvT1_.num_agpr, 0
	.set _ZN7rocprim17ROCPRIM_400000_NS6detail17trampoline_kernelINS0_14default_configENS1_25partition_config_selectorILNS1_17partition_subalgoE8ElNS0_10empty_typeEbEEZZNS1_14partition_implILS5_8ELb0ES3_jPKlPS6_PKS6_NS0_5tupleIJPlS6_EEENSE_IJSB_SB_EEENS0_18inequality_wrapperIN6hipcub16HIPCUB_304000_NS8EqualityEEESF_JS6_EEE10hipError_tPvRmT3_T4_T5_T6_T7_T9_mT8_P12ihipStream_tbDpT10_ENKUlT_T0_E_clISt17integral_constantIbLb1EES15_IbLb0EEEEDaS11_S12_EUlS11_E_NS1_11comp_targetILNS1_3genE10ELNS1_11target_archE1200ELNS1_3gpuE4ELNS1_3repE0EEENS1_30default_config_static_selectorELNS0_4arch9wavefront6targetE0EEEvT1_.numbered_sgpr, 0
	.set _ZN7rocprim17ROCPRIM_400000_NS6detail17trampoline_kernelINS0_14default_configENS1_25partition_config_selectorILNS1_17partition_subalgoE8ElNS0_10empty_typeEbEEZZNS1_14partition_implILS5_8ELb0ES3_jPKlPS6_PKS6_NS0_5tupleIJPlS6_EEENSE_IJSB_SB_EEENS0_18inequality_wrapperIN6hipcub16HIPCUB_304000_NS8EqualityEEESF_JS6_EEE10hipError_tPvRmT3_T4_T5_T6_T7_T9_mT8_P12ihipStream_tbDpT10_ENKUlT_T0_E_clISt17integral_constantIbLb1EES15_IbLb0EEEEDaS11_S12_EUlS11_E_NS1_11comp_targetILNS1_3genE10ELNS1_11target_archE1200ELNS1_3gpuE4ELNS1_3repE0EEENS1_30default_config_static_selectorELNS0_4arch9wavefront6targetE0EEEvT1_.num_named_barrier, 0
	.set _ZN7rocprim17ROCPRIM_400000_NS6detail17trampoline_kernelINS0_14default_configENS1_25partition_config_selectorILNS1_17partition_subalgoE8ElNS0_10empty_typeEbEEZZNS1_14partition_implILS5_8ELb0ES3_jPKlPS6_PKS6_NS0_5tupleIJPlS6_EEENSE_IJSB_SB_EEENS0_18inequality_wrapperIN6hipcub16HIPCUB_304000_NS8EqualityEEESF_JS6_EEE10hipError_tPvRmT3_T4_T5_T6_T7_T9_mT8_P12ihipStream_tbDpT10_ENKUlT_T0_E_clISt17integral_constantIbLb1EES15_IbLb0EEEEDaS11_S12_EUlS11_E_NS1_11comp_targetILNS1_3genE10ELNS1_11target_archE1200ELNS1_3gpuE4ELNS1_3repE0EEENS1_30default_config_static_selectorELNS0_4arch9wavefront6targetE0EEEvT1_.private_seg_size, 0
	.set _ZN7rocprim17ROCPRIM_400000_NS6detail17trampoline_kernelINS0_14default_configENS1_25partition_config_selectorILNS1_17partition_subalgoE8ElNS0_10empty_typeEbEEZZNS1_14partition_implILS5_8ELb0ES3_jPKlPS6_PKS6_NS0_5tupleIJPlS6_EEENSE_IJSB_SB_EEENS0_18inequality_wrapperIN6hipcub16HIPCUB_304000_NS8EqualityEEESF_JS6_EEE10hipError_tPvRmT3_T4_T5_T6_T7_T9_mT8_P12ihipStream_tbDpT10_ENKUlT_T0_E_clISt17integral_constantIbLb1EES15_IbLb0EEEEDaS11_S12_EUlS11_E_NS1_11comp_targetILNS1_3genE10ELNS1_11target_archE1200ELNS1_3gpuE4ELNS1_3repE0EEENS1_30default_config_static_selectorELNS0_4arch9wavefront6targetE0EEEvT1_.uses_vcc, 0
	.set _ZN7rocprim17ROCPRIM_400000_NS6detail17trampoline_kernelINS0_14default_configENS1_25partition_config_selectorILNS1_17partition_subalgoE8ElNS0_10empty_typeEbEEZZNS1_14partition_implILS5_8ELb0ES3_jPKlPS6_PKS6_NS0_5tupleIJPlS6_EEENSE_IJSB_SB_EEENS0_18inequality_wrapperIN6hipcub16HIPCUB_304000_NS8EqualityEEESF_JS6_EEE10hipError_tPvRmT3_T4_T5_T6_T7_T9_mT8_P12ihipStream_tbDpT10_ENKUlT_T0_E_clISt17integral_constantIbLb1EES15_IbLb0EEEEDaS11_S12_EUlS11_E_NS1_11comp_targetILNS1_3genE10ELNS1_11target_archE1200ELNS1_3gpuE4ELNS1_3repE0EEENS1_30default_config_static_selectorELNS0_4arch9wavefront6targetE0EEEvT1_.uses_flat_scratch, 0
	.set _ZN7rocprim17ROCPRIM_400000_NS6detail17trampoline_kernelINS0_14default_configENS1_25partition_config_selectorILNS1_17partition_subalgoE8ElNS0_10empty_typeEbEEZZNS1_14partition_implILS5_8ELb0ES3_jPKlPS6_PKS6_NS0_5tupleIJPlS6_EEENSE_IJSB_SB_EEENS0_18inequality_wrapperIN6hipcub16HIPCUB_304000_NS8EqualityEEESF_JS6_EEE10hipError_tPvRmT3_T4_T5_T6_T7_T9_mT8_P12ihipStream_tbDpT10_ENKUlT_T0_E_clISt17integral_constantIbLb1EES15_IbLb0EEEEDaS11_S12_EUlS11_E_NS1_11comp_targetILNS1_3genE10ELNS1_11target_archE1200ELNS1_3gpuE4ELNS1_3repE0EEENS1_30default_config_static_selectorELNS0_4arch9wavefront6targetE0EEEvT1_.has_dyn_sized_stack, 0
	.set _ZN7rocprim17ROCPRIM_400000_NS6detail17trampoline_kernelINS0_14default_configENS1_25partition_config_selectorILNS1_17partition_subalgoE8ElNS0_10empty_typeEbEEZZNS1_14partition_implILS5_8ELb0ES3_jPKlPS6_PKS6_NS0_5tupleIJPlS6_EEENSE_IJSB_SB_EEENS0_18inequality_wrapperIN6hipcub16HIPCUB_304000_NS8EqualityEEESF_JS6_EEE10hipError_tPvRmT3_T4_T5_T6_T7_T9_mT8_P12ihipStream_tbDpT10_ENKUlT_T0_E_clISt17integral_constantIbLb1EES15_IbLb0EEEEDaS11_S12_EUlS11_E_NS1_11comp_targetILNS1_3genE10ELNS1_11target_archE1200ELNS1_3gpuE4ELNS1_3repE0EEENS1_30default_config_static_selectorELNS0_4arch9wavefront6targetE0EEEvT1_.has_recursion, 0
	.set _ZN7rocprim17ROCPRIM_400000_NS6detail17trampoline_kernelINS0_14default_configENS1_25partition_config_selectorILNS1_17partition_subalgoE8ElNS0_10empty_typeEbEEZZNS1_14partition_implILS5_8ELb0ES3_jPKlPS6_PKS6_NS0_5tupleIJPlS6_EEENSE_IJSB_SB_EEENS0_18inequality_wrapperIN6hipcub16HIPCUB_304000_NS8EqualityEEESF_JS6_EEE10hipError_tPvRmT3_T4_T5_T6_T7_T9_mT8_P12ihipStream_tbDpT10_ENKUlT_T0_E_clISt17integral_constantIbLb1EES15_IbLb0EEEEDaS11_S12_EUlS11_E_NS1_11comp_targetILNS1_3genE10ELNS1_11target_archE1200ELNS1_3gpuE4ELNS1_3repE0EEENS1_30default_config_static_selectorELNS0_4arch9wavefront6targetE0EEEvT1_.has_indirect_call, 0
	.section	.AMDGPU.csdata,"",@progbits
; Kernel info:
; codeLenInByte = 0
; TotalNumSgprs: 0
; NumVgprs: 0
; ScratchSize: 0
; MemoryBound: 0
; FloatMode: 240
; IeeeMode: 1
; LDSByteSize: 0 bytes/workgroup (compile time only)
; SGPRBlocks: 0
; VGPRBlocks: 0
; NumSGPRsForWavesPerEU: 1
; NumVGPRsForWavesPerEU: 1
; NamedBarCnt: 0
; Occupancy: 16
; WaveLimiterHint : 0
; COMPUTE_PGM_RSRC2:SCRATCH_EN: 0
; COMPUTE_PGM_RSRC2:USER_SGPR: 2
; COMPUTE_PGM_RSRC2:TRAP_HANDLER: 0
; COMPUTE_PGM_RSRC2:TGID_X_EN: 1
; COMPUTE_PGM_RSRC2:TGID_Y_EN: 0
; COMPUTE_PGM_RSRC2:TGID_Z_EN: 0
; COMPUTE_PGM_RSRC2:TIDIG_COMP_CNT: 0
	.section	.text._ZN7rocprim17ROCPRIM_400000_NS6detail17trampoline_kernelINS0_14default_configENS1_25partition_config_selectorILNS1_17partition_subalgoE8ElNS0_10empty_typeEbEEZZNS1_14partition_implILS5_8ELb0ES3_jPKlPS6_PKS6_NS0_5tupleIJPlS6_EEENSE_IJSB_SB_EEENS0_18inequality_wrapperIN6hipcub16HIPCUB_304000_NS8EqualityEEESF_JS6_EEE10hipError_tPvRmT3_T4_T5_T6_T7_T9_mT8_P12ihipStream_tbDpT10_ENKUlT_T0_E_clISt17integral_constantIbLb1EES15_IbLb0EEEEDaS11_S12_EUlS11_E_NS1_11comp_targetILNS1_3genE9ELNS1_11target_archE1100ELNS1_3gpuE3ELNS1_3repE0EEENS1_30default_config_static_selectorELNS0_4arch9wavefront6targetE0EEEvT1_,"axG",@progbits,_ZN7rocprim17ROCPRIM_400000_NS6detail17trampoline_kernelINS0_14default_configENS1_25partition_config_selectorILNS1_17partition_subalgoE8ElNS0_10empty_typeEbEEZZNS1_14partition_implILS5_8ELb0ES3_jPKlPS6_PKS6_NS0_5tupleIJPlS6_EEENSE_IJSB_SB_EEENS0_18inequality_wrapperIN6hipcub16HIPCUB_304000_NS8EqualityEEESF_JS6_EEE10hipError_tPvRmT3_T4_T5_T6_T7_T9_mT8_P12ihipStream_tbDpT10_ENKUlT_T0_E_clISt17integral_constantIbLb1EES15_IbLb0EEEEDaS11_S12_EUlS11_E_NS1_11comp_targetILNS1_3genE9ELNS1_11target_archE1100ELNS1_3gpuE3ELNS1_3repE0EEENS1_30default_config_static_selectorELNS0_4arch9wavefront6targetE0EEEvT1_,comdat
	.protected	_ZN7rocprim17ROCPRIM_400000_NS6detail17trampoline_kernelINS0_14default_configENS1_25partition_config_selectorILNS1_17partition_subalgoE8ElNS0_10empty_typeEbEEZZNS1_14partition_implILS5_8ELb0ES3_jPKlPS6_PKS6_NS0_5tupleIJPlS6_EEENSE_IJSB_SB_EEENS0_18inequality_wrapperIN6hipcub16HIPCUB_304000_NS8EqualityEEESF_JS6_EEE10hipError_tPvRmT3_T4_T5_T6_T7_T9_mT8_P12ihipStream_tbDpT10_ENKUlT_T0_E_clISt17integral_constantIbLb1EES15_IbLb0EEEEDaS11_S12_EUlS11_E_NS1_11comp_targetILNS1_3genE9ELNS1_11target_archE1100ELNS1_3gpuE3ELNS1_3repE0EEENS1_30default_config_static_selectorELNS0_4arch9wavefront6targetE0EEEvT1_ ; -- Begin function _ZN7rocprim17ROCPRIM_400000_NS6detail17trampoline_kernelINS0_14default_configENS1_25partition_config_selectorILNS1_17partition_subalgoE8ElNS0_10empty_typeEbEEZZNS1_14partition_implILS5_8ELb0ES3_jPKlPS6_PKS6_NS0_5tupleIJPlS6_EEENSE_IJSB_SB_EEENS0_18inequality_wrapperIN6hipcub16HIPCUB_304000_NS8EqualityEEESF_JS6_EEE10hipError_tPvRmT3_T4_T5_T6_T7_T9_mT8_P12ihipStream_tbDpT10_ENKUlT_T0_E_clISt17integral_constantIbLb1EES15_IbLb0EEEEDaS11_S12_EUlS11_E_NS1_11comp_targetILNS1_3genE9ELNS1_11target_archE1100ELNS1_3gpuE3ELNS1_3repE0EEENS1_30default_config_static_selectorELNS0_4arch9wavefront6targetE0EEEvT1_
	.globl	_ZN7rocprim17ROCPRIM_400000_NS6detail17trampoline_kernelINS0_14default_configENS1_25partition_config_selectorILNS1_17partition_subalgoE8ElNS0_10empty_typeEbEEZZNS1_14partition_implILS5_8ELb0ES3_jPKlPS6_PKS6_NS0_5tupleIJPlS6_EEENSE_IJSB_SB_EEENS0_18inequality_wrapperIN6hipcub16HIPCUB_304000_NS8EqualityEEESF_JS6_EEE10hipError_tPvRmT3_T4_T5_T6_T7_T9_mT8_P12ihipStream_tbDpT10_ENKUlT_T0_E_clISt17integral_constantIbLb1EES15_IbLb0EEEEDaS11_S12_EUlS11_E_NS1_11comp_targetILNS1_3genE9ELNS1_11target_archE1100ELNS1_3gpuE3ELNS1_3repE0EEENS1_30default_config_static_selectorELNS0_4arch9wavefront6targetE0EEEvT1_
	.p2align	8
	.type	_ZN7rocprim17ROCPRIM_400000_NS6detail17trampoline_kernelINS0_14default_configENS1_25partition_config_selectorILNS1_17partition_subalgoE8ElNS0_10empty_typeEbEEZZNS1_14partition_implILS5_8ELb0ES3_jPKlPS6_PKS6_NS0_5tupleIJPlS6_EEENSE_IJSB_SB_EEENS0_18inequality_wrapperIN6hipcub16HIPCUB_304000_NS8EqualityEEESF_JS6_EEE10hipError_tPvRmT3_T4_T5_T6_T7_T9_mT8_P12ihipStream_tbDpT10_ENKUlT_T0_E_clISt17integral_constantIbLb1EES15_IbLb0EEEEDaS11_S12_EUlS11_E_NS1_11comp_targetILNS1_3genE9ELNS1_11target_archE1100ELNS1_3gpuE3ELNS1_3repE0EEENS1_30default_config_static_selectorELNS0_4arch9wavefront6targetE0EEEvT1_,@function
_ZN7rocprim17ROCPRIM_400000_NS6detail17trampoline_kernelINS0_14default_configENS1_25partition_config_selectorILNS1_17partition_subalgoE8ElNS0_10empty_typeEbEEZZNS1_14partition_implILS5_8ELb0ES3_jPKlPS6_PKS6_NS0_5tupleIJPlS6_EEENSE_IJSB_SB_EEENS0_18inequality_wrapperIN6hipcub16HIPCUB_304000_NS8EqualityEEESF_JS6_EEE10hipError_tPvRmT3_T4_T5_T6_T7_T9_mT8_P12ihipStream_tbDpT10_ENKUlT_T0_E_clISt17integral_constantIbLb1EES15_IbLb0EEEEDaS11_S12_EUlS11_E_NS1_11comp_targetILNS1_3genE9ELNS1_11target_archE1100ELNS1_3gpuE3ELNS1_3repE0EEENS1_30default_config_static_selectorELNS0_4arch9wavefront6targetE0EEEvT1_: ; @_ZN7rocprim17ROCPRIM_400000_NS6detail17trampoline_kernelINS0_14default_configENS1_25partition_config_selectorILNS1_17partition_subalgoE8ElNS0_10empty_typeEbEEZZNS1_14partition_implILS5_8ELb0ES3_jPKlPS6_PKS6_NS0_5tupleIJPlS6_EEENSE_IJSB_SB_EEENS0_18inequality_wrapperIN6hipcub16HIPCUB_304000_NS8EqualityEEESF_JS6_EEE10hipError_tPvRmT3_T4_T5_T6_T7_T9_mT8_P12ihipStream_tbDpT10_ENKUlT_T0_E_clISt17integral_constantIbLb1EES15_IbLb0EEEEDaS11_S12_EUlS11_E_NS1_11comp_targetILNS1_3genE9ELNS1_11target_archE1100ELNS1_3gpuE3ELNS1_3repE0EEENS1_30default_config_static_selectorELNS0_4arch9wavefront6targetE0EEEvT1_
; %bb.0:
	.section	.rodata,"a",@progbits
	.p2align	6, 0x0
	.amdhsa_kernel _ZN7rocprim17ROCPRIM_400000_NS6detail17trampoline_kernelINS0_14default_configENS1_25partition_config_selectorILNS1_17partition_subalgoE8ElNS0_10empty_typeEbEEZZNS1_14partition_implILS5_8ELb0ES3_jPKlPS6_PKS6_NS0_5tupleIJPlS6_EEENSE_IJSB_SB_EEENS0_18inequality_wrapperIN6hipcub16HIPCUB_304000_NS8EqualityEEESF_JS6_EEE10hipError_tPvRmT3_T4_T5_T6_T7_T9_mT8_P12ihipStream_tbDpT10_ENKUlT_T0_E_clISt17integral_constantIbLb1EES15_IbLb0EEEEDaS11_S12_EUlS11_E_NS1_11comp_targetILNS1_3genE9ELNS1_11target_archE1100ELNS1_3gpuE3ELNS1_3repE0EEENS1_30default_config_static_selectorELNS0_4arch9wavefront6targetE0EEEvT1_
		.amdhsa_group_segment_fixed_size 0
		.amdhsa_private_segment_fixed_size 0
		.amdhsa_kernarg_size 112
		.amdhsa_user_sgpr_count 2
		.amdhsa_user_sgpr_dispatch_ptr 0
		.amdhsa_user_sgpr_queue_ptr 0
		.amdhsa_user_sgpr_kernarg_segment_ptr 1
		.amdhsa_user_sgpr_dispatch_id 0
		.amdhsa_user_sgpr_kernarg_preload_length 0
		.amdhsa_user_sgpr_kernarg_preload_offset 0
		.amdhsa_user_sgpr_private_segment_size 0
		.amdhsa_wavefront_size32 1
		.amdhsa_uses_dynamic_stack 0
		.amdhsa_enable_private_segment 0
		.amdhsa_system_sgpr_workgroup_id_x 1
		.amdhsa_system_sgpr_workgroup_id_y 0
		.amdhsa_system_sgpr_workgroup_id_z 0
		.amdhsa_system_sgpr_workgroup_info 0
		.amdhsa_system_vgpr_workitem_id 0
		.amdhsa_next_free_vgpr 1
		.amdhsa_next_free_sgpr 1
		.amdhsa_named_barrier_count 0
		.amdhsa_reserve_vcc 0
		.amdhsa_float_round_mode_32 0
		.amdhsa_float_round_mode_16_64 0
		.amdhsa_float_denorm_mode_32 3
		.amdhsa_float_denorm_mode_16_64 3
		.amdhsa_fp16_overflow 0
		.amdhsa_memory_ordered 1
		.amdhsa_forward_progress 1
		.amdhsa_inst_pref_size 0
		.amdhsa_round_robin_scheduling 0
		.amdhsa_exception_fp_ieee_invalid_op 0
		.amdhsa_exception_fp_denorm_src 0
		.amdhsa_exception_fp_ieee_div_zero 0
		.amdhsa_exception_fp_ieee_overflow 0
		.amdhsa_exception_fp_ieee_underflow 0
		.amdhsa_exception_fp_ieee_inexact 0
		.amdhsa_exception_int_div_zero 0
	.end_amdhsa_kernel
	.section	.text._ZN7rocprim17ROCPRIM_400000_NS6detail17trampoline_kernelINS0_14default_configENS1_25partition_config_selectorILNS1_17partition_subalgoE8ElNS0_10empty_typeEbEEZZNS1_14partition_implILS5_8ELb0ES3_jPKlPS6_PKS6_NS0_5tupleIJPlS6_EEENSE_IJSB_SB_EEENS0_18inequality_wrapperIN6hipcub16HIPCUB_304000_NS8EqualityEEESF_JS6_EEE10hipError_tPvRmT3_T4_T5_T6_T7_T9_mT8_P12ihipStream_tbDpT10_ENKUlT_T0_E_clISt17integral_constantIbLb1EES15_IbLb0EEEEDaS11_S12_EUlS11_E_NS1_11comp_targetILNS1_3genE9ELNS1_11target_archE1100ELNS1_3gpuE3ELNS1_3repE0EEENS1_30default_config_static_selectorELNS0_4arch9wavefront6targetE0EEEvT1_,"axG",@progbits,_ZN7rocprim17ROCPRIM_400000_NS6detail17trampoline_kernelINS0_14default_configENS1_25partition_config_selectorILNS1_17partition_subalgoE8ElNS0_10empty_typeEbEEZZNS1_14partition_implILS5_8ELb0ES3_jPKlPS6_PKS6_NS0_5tupleIJPlS6_EEENSE_IJSB_SB_EEENS0_18inequality_wrapperIN6hipcub16HIPCUB_304000_NS8EqualityEEESF_JS6_EEE10hipError_tPvRmT3_T4_T5_T6_T7_T9_mT8_P12ihipStream_tbDpT10_ENKUlT_T0_E_clISt17integral_constantIbLb1EES15_IbLb0EEEEDaS11_S12_EUlS11_E_NS1_11comp_targetILNS1_3genE9ELNS1_11target_archE1100ELNS1_3gpuE3ELNS1_3repE0EEENS1_30default_config_static_selectorELNS0_4arch9wavefront6targetE0EEEvT1_,comdat
.Lfunc_end248:
	.size	_ZN7rocprim17ROCPRIM_400000_NS6detail17trampoline_kernelINS0_14default_configENS1_25partition_config_selectorILNS1_17partition_subalgoE8ElNS0_10empty_typeEbEEZZNS1_14partition_implILS5_8ELb0ES3_jPKlPS6_PKS6_NS0_5tupleIJPlS6_EEENSE_IJSB_SB_EEENS0_18inequality_wrapperIN6hipcub16HIPCUB_304000_NS8EqualityEEESF_JS6_EEE10hipError_tPvRmT3_T4_T5_T6_T7_T9_mT8_P12ihipStream_tbDpT10_ENKUlT_T0_E_clISt17integral_constantIbLb1EES15_IbLb0EEEEDaS11_S12_EUlS11_E_NS1_11comp_targetILNS1_3genE9ELNS1_11target_archE1100ELNS1_3gpuE3ELNS1_3repE0EEENS1_30default_config_static_selectorELNS0_4arch9wavefront6targetE0EEEvT1_, .Lfunc_end248-_ZN7rocprim17ROCPRIM_400000_NS6detail17trampoline_kernelINS0_14default_configENS1_25partition_config_selectorILNS1_17partition_subalgoE8ElNS0_10empty_typeEbEEZZNS1_14partition_implILS5_8ELb0ES3_jPKlPS6_PKS6_NS0_5tupleIJPlS6_EEENSE_IJSB_SB_EEENS0_18inequality_wrapperIN6hipcub16HIPCUB_304000_NS8EqualityEEESF_JS6_EEE10hipError_tPvRmT3_T4_T5_T6_T7_T9_mT8_P12ihipStream_tbDpT10_ENKUlT_T0_E_clISt17integral_constantIbLb1EES15_IbLb0EEEEDaS11_S12_EUlS11_E_NS1_11comp_targetILNS1_3genE9ELNS1_11target_archE1100ELNS1_3gpuE3ELNS1_3repE0EEENS1_30default_config_static_selectorELNS0_4arch9wavefront6targetE0EEEvT1_
                                        ; -- End function
	.set _ZN7rocprim17ROCPRIM_400000_NS6detail17trampoline_kernelINS0_14default_configENS1_25partition_config_selectorILNS1_17partition_subalgoE8ElNS0_10empty_typeEbEEZZNS1_14partition_implILS5_8ELb0ES3_jPKlPS6_PKS6_NS0_5tupleIJPlS6_EEENSE_IJSB_SB_EEENS0_18inequality_wrapperIN6hipcub16HIPCUB_304000_NS8EqualityEEESF_JS6_EEE10hipError_tPvRmT3_T4_T5_T6_T7_T9_mT8_P12ihipStream_tbDpT10_ENKUlT_T0_E_clISt17integral_constantIbLb1EES15_IbLb0EEEEDaS11_S12_EUlS11_E_NS1_11comp_targetILNS1_3genE9ELNS1_11target_archE1100ELNS1_3gpuE3ELNS1_3repE0EEENS1_30default_config_static_selectorELNS0_4arch9wavefront6targetE0EEEvT1_.num_vgpr, 0
	.set _ZN7rocprim17ROCPRIM_400000_NS6detail17trampoline_kernelINS0_14default_configENS1_25partition_config_selectorILNS1_17partition_subalgoE8ElNS0_10empty_typeEbEEZZNS1_14partition_implILS5_8ELb0ES3_jPKlPS6_PKS6_NS0_5tupleIJPlS6_EEENSE_IJSB_SB_EEENS0_18inequality_wrapperIN6hipcub16HIPCUB_304000_NS8EqualityEEESF_JS6_EEE10hipError_tPvRmT3_T4_T5_T6_T7_T9_mT8_P12ihipStream_tbDpT10_ENKUlT_T0_E_clISt17integral_constantIbLb1EES15_IbLb0EEEEDaS11_S12_EUlS11_E_NS1_11comp_targetILNS1_3genE9ELNS1_11target_archE1100ELNS1_3gpuE3ELNS1_3repE0EEENS1_30default_config_static_selectorELNS0_4arch9wavefront6targetE0EEEvT1_.num_agpr, 0
	.set _ZN7rocprim17ROCPRIM_400000_NS6detail17trampoline_kernelINS0_14default_configENS1_25partition_config_selectorILNS1_17partition_subalgoE8ElNS0_10empty_typeEbEEZZNS1_14partition_implILS5_8ELb0ES3_jPKlPS6_PKS6_NS0_5tupleIJPlS6_EEENSE_IJSB_SB_EEENS0_18inequality_wrapperIN6hipcub16HIPCUB_304000_NS8EqualityEEESF_JS6_EEE10hipError_tPvRmT3_T4_T5_T6_T7_T9_mT8_P12ihipStream_tbDpT10_ENKUlT_T0_E_clISt17integral_constantIbLb1EES15_IbLb0EEEEDaS11_S12_EUlS11_E_NS1_11comp_targetILNS1_3genE9ELNS1_11target_archE1100ELNS1_3gpuE3ELNS1_3repE0EEENS1_30default_config_static_selectorELNS0_4arch9wavefront6targetE0EEEvT1_.numbered_sgpr, 0
	.set _ZN7rocprim17ROCPRIM_400000_NS6detail17trampoline_kernelINS0_14default_configENS1_25partition_config_selectorILNS1_17partition_subalgoE8ElNS0_10empty_typeEbEEZZNS1_14partition_implILS5_8ELb0ES3_jPKlPS6_PKS6_NS0_5tupleIJPlS6_EEENSE_IJSB_SB_EEENS0_18inequality_wrapperIN6hipcub16HIPCUB_304000_NS8EqualityEEESF_JS6_EEE10hipError_tPvRmT3_T4_T5_T6_T7_T9_mT8_P12ihipStream_tbDpT10_ENKUlT_T0_E_clISt17integral_constantIbLb1EES15_IbLb0EEEEDaS11_S12_EUlS11_E_NS1_11comp_targetILNS1_3genE9ELNS1_11target_archE1100ELNS1_3gpuE3ELNS1_3repE0EEENS1_30default_config_static_selectorELNS0_4arch9wavefront6targetE0EEEvT1_.num_named_barrier, 0
	.set _ZN7rocprim17ROCPRIM_400000_NS6detail17trampoline_kernelINS0_14default_configENS1_25partition_config_selectorILNS1_17partition_subalgoE8ElNS0_10empty_typeEbEEZZNS1_14partition_implILS5_8ELb0ES3_jPKlPS6_PKS6_NS0_5tupleIJPlS6_EEENSE_IJSB_SB_EEENS0_18inequality_wrapperIN6hipcub16HIPCUB_304000_NS8EqualityEEESF_JS6_EEE10hipError_tPvRmT3_T4_T5_T6_T7_T9_mT8_P12ihipStream_tbDpT10_ENKUlT_T0_E_clISt17integral_constantIbLb1EES15_IbLb0EEEEDaS11_S12_EUlS11_E_NS1_11comp_targetILNS1_3genE9ELNS1_11target_archE1100ELNS1_3gpuE3ELNS1_3repE0EEENS1_30default_config_static_selectorELNS0_4arch9wavefront6targetE0EEEvT1_.private_seg_size, 0
	.set _ZN7rocprim17ROCPRIM_400000_NS6detail17trampoline_kernelINS0_14default_configENS1_25partition_config_selectorILNS1_17partition_subalgoE8ElNS0_10empty_typeEbEEZZNS1_14partition_implILS5_8ELb0ES3_jPKlPS6_PKS6_NS0_5tupleIJPlS6_EEENSE_IJSB_SB_EEENS0_18inequality_wrapperIN6hipcub16HIPCUB_304000_NS8EqualityEEESF_JS6_EEE10hipError_tPvRmT3_T4_T5_T6_T7_T9_mT8_P12ihipStream_tbDpT10_ENKUlT_T0_E_clISt17integral_constantIbLb1EES15_IbLb0EEEEDaS11_S12_EUlS11_E_NS1_11comp_targetILNS1_3genE9ELNS1_11target_archE1100ELNS1_3gpuE3ELNS1_3repE0EEENS1_30default_config_static_selectorELNS0_4arch9wavefront6targetE0EEEvT1_.uses_vcc, 0
	.set _ZN7rocprim17ROCPRIM_400000_NS6detail17trampoline_kernelINS0_14default_configENS1_25partition_config_selectorILNS1_17partition_subalgoE8ElNS0_10empty_typeEbEEZZNS1_14partition_implILS5_8ELb0ES3_jPKlPS6_PKS6_NS0_5tupleIJPlS6_EEENSE_IJSB_SB_EEENS0_18inequality_wrapperIN6hipcub16HIPCUB_304000_NS8EqualityEEESF_JS6_EEE10hipError_tPvRmT3_T4_T5_T6_T7_T9_mT8_P12ihipStream_tbDpT10_ENKUlT_T0_E_clISt17integral_constantIbLb1EES15_IbLb0EEEEDaS11_S12_EUlS11_E_NS1_11comp_targetILNS1_3genE9ELNS1_11target_archE1100ELNS1_3gpuE3ELNS1_3repE0EEENS1_30default_config_static_selectorELNS0_4arch9wavefront6targetE0EEEvT1_.uses_flat_scratch, 0
	.set _ZN7rocprim17ROCPRIM_400000_NS6detail17trampoline_kernelINS0_14default_configENS1_25partition_config_selectorILNS1_17partition_subalgoE8ElNS0_10empty_typeEbEEZZNS1_14partition_implILS5_8ELb0ES3_jPKlPS6_PKS6_NS0_5tupleIJPlS6_EEENSE_IJSB_SB_EEENS0_18inequality_wrapperIN6hipcub16HIPCUB_304000_NS8EqualityEEESF_JS6_EEE10hipError_tPvRmT3_T4_T5_T6_T7_T9_mT8_P12ihipStream_tbDpT10_ENKUlT_T0_E_clISt17integral_constantIbLb1EES15_IbLb0EEEEDaS11_S12_EUlS11_E_NS1_11comp_targetILNS1_3genE9ELNS1_11target_archE1100ELNS1_3gpuE3ELNS1_3repE0EEENS1_30default_config_static_selectorELNS0_4arch9wavefront6targetE0EEEvT1_.has_dyn_sized_stack, 0
	.set _ZN7rocprim17ROCPRIM_400000_NS6detail17trampoline_kernelINS0_14default_configENS1_25partition_config_selectorILNS1_17partition_subalgoE8ElNS0_10empty_typeEbEEZZNS1_14partition_implILS5_8ELb0ES3_jPKlPS6_PKS6_NS0_5tupleIJPlS6_EEENSE_IJSB_SB_EEENS0_18inequality_wrapperIN6hipcub16HIPCUB_304000_NS8EqualityEEESF_JS6_EEE10hipError_tPvRmT3_T4_T5_T6_T7_T9_mT8_P12ihipStream_tbDpT10_ENKUlT_T0_E_clISt17integral_constantIbLb1EES15_IbLb0EEEEDaS11_S12_EUlS11_E_NS1_11comp_targetILNS1_3genE9ELNS1_11target_archE1100ELNS1_3gpuE3ELNS1_3repE0EEENS1_30default_config_static_selectorELNS0_4arch9wavefront6targetE0EEEvT1_.has_recursion, 0
	.set _ZN7rocprim17ROCPRIM_400000_NS6detail17trampoline_kernelINS0_14default_configENS1_25partition_config_selectorILNS1_17partition_subalgoE8ElNS0_10empty_typeEbEEZZNS1_14partition_implILS5_8ELb0ES3_jPKlPS6_PKS6_NS0_5tupleIJPlS6_EEENSE_IJSB_SB_EEENS0_18inequality_wrapperIN6hipcub16HIPCUB_304000_NS8EqualityEEESF_JS6_EEE10hipError_tPvRmT3_T4_T5_T6_T7_T9_mT8_P12ihipStream_tbDpT10_ENKUlT_T0_E_clISt17integral_constantIbLb1EES15_IbLb0EEEEDaS11_S12_EUlS11_E_NS1_11comp_targetILNS1_3genE9ELNS1_11target_archE1100ELNS1_3gpuE3ELNS1_3repE0EEENS1_30default_config_static_selectorELNS0_4arch9wavefront6targetE0EEEvT1_.has_indirect_call, 0
	.section	.AMDGPU.csdata,"",@progbits
; Kernel info:
; codeLenInByte = 0
; TotalNumSgprs: 0
; NumVgprs: 0
; ScratchSize: 0
; MemoryBound: 0
; FloatMode: 240
; IeeeMode: 1
; LDSByteSize: 0 bytes/workgroup (compile time only)
; SGPRBlocks: 0
; VGPRBlocks: 0
; NumSGPRsForWavesPerEU: 1
; NumVGPRsForWavesPerEU: 1
; NamedBarCnt: 0
; Occupancy: 16
; WaveLimiterHint : 0
; COMPUTE_PGM_RSRC2:SCRATCH_EN: 0
; COMPUTE_PGM_RSRC2:USER_SGPR: 2
; COMPUTE_PGM_RSRC2:TRAP_HANDLER: 0
; COMPUTE_PGM_RSRC2:TGID_X_EN: 1
; COMPUTE_PGM_RSRC2:TGID_Y_EN: 0
; COMPUTE_PGM_RSRC2:TGID_Z_EN: 0
; COMPUTE_PGM_RSRC2:TIDIG_COMP_CNT: 0
	.section	.text._ZN7rocprim17ROCPRIM_400000_NS6detail17trampoline_kernelINS0_14default_configENS1_25partition_config_selectorILNS1_17partition_subalgoE8ElNS0_10empty_typeEbEEZZNS1_14partition_implILS5_8ELb0ES3_jPKlPS6_PKS6_NS0_5tupleIJPlS6_EEENSE_IJSB_SB_EEENS0_18inequality_wrapperIN6hipcub16HIPCUB_304000_NS8EqualityEEESF_JS6_EEE10hipError_tPvRmT3_T4_T5_T6_T7_T9_mT8_P12ihipStream_tbDpT10_ENKUlT_T0_E_clISt17integral_constantIbLb1EES15_IbLb0EEEEDaS11_S12_EUlS11_E_NS1_11comp_targetILNS1_3genE8ELNS1_11target_archE1030ELNS1_3gpuE2ELNS1_3repE0EEENS1_30default_config_static_selectorELNS0_4arch9wavefront6targetE0EEEvT1_,"axG",@progbits,_ZN7rocprim17ROCPRIM_400000_NS6detail17trampoline_kernelINS0_14default_configENS1_25partition_config_selectorILNS1_17partition_subalgoE8ElNS0_10empty_typeEbEEZZNS1_14partition_implILS5_8ELb0ES3_jPKlPS6_PKS6_NS0_5tupleIJPlS6_EEENSE_IJSB_SB_EEENS0_18inequality_wrapperIN6hipcub16HIPCUB_304000_NS8EqualityEEESF_JS6_EEE10hipError_tPvRmT3_T4_T5_T6_T7_T9_mT8_P12ihipStream_tbDpT10_ENKUlT_T0_E_clISt17integral_constantIbLb1EES15_IbLb0EEEEDaS11_S12_EUlS11_E_NS1_11comp_targetILNS1_3genE8ELNS1_11target_archE1030ELNS1_3gpuE2ELNS1_3repE0EEENS1_30default_config_static_selectorELNS0_4arch9wavefront6targetE0EEEvT1_,comdat
	.protected	_ZN7rocprim17ROCPRIM_400000_NS6detail17trampoline_kernelINS0_14default_configENS1_25partition_config_selectorILNS1_17partition_subalgoE8ElNS0_10empty_typeEbEEZZNS1_14partition_implILS5_8ELb0ES3_jPKlPS6_PKS6_NS0_5tupleIJPlS6_EEENSE_IJSB_SB_EEENS0_18inequality_wrapperIN6hipcub16HIPCUB_304000_NS8EqualityEEESF_JS6_EEE10hipError_tPvRmT3_T4_T5_T6_T7_T9_mT8_P12ihipStream_tbDpT10_ENKUlT_T0_E_clISt17integral_constantIbLb1EES15_IbLb0EEEEDaS11_S12_EUlS11_E_NS1_11comp_targetILNS1_3genE8ELNS1_11target_archE1030ELNS1_3gpuE2ELNS1_3repE0EEENS1_30default_config_static_selectorELNS0_4arch9wavefront6targetE0EEEvT1_ ; -- Begin function _ZN7rocprim17ROCPRIM_400000_NS6detail17trampoline_kernelINS0_14default_configENS1_25partition_config_selectorILNS1_17partition_subalgoE8ElNS0_10empty_typeEbEEZZNS1_14partition_implILS5_8ELb0ES3_jPKlPS6_PKS6_NS0_5tupleIJPlS6_EEENSE_IJSB_SB_EEENS0_18inequality_wrapperIN6hipcub16HIPCUB_304000_NS8EqualityEEESF_JS6_EEE10hipError_tPvRmT3_T4_T5_T6_T7_T9_mT8_P12ihipStream_tbDpT10_ENKUlT_T0_E_clISt17integral_constantIbLb1EES15_IbLb0EEEEDaS11_S12_EUlS11_E_NS1_11comp_targetILNS1_3genE8ELNS1_11target_archE1030ELNS1_3gpuE2ELNS1_3repE0EEENS1_30default_config_static_selectorELNS0_4arch9wavefront6targetE0EEEvT1_
	.globl	_ZN7rocprim17ROCPRIM_400000_NS6detail17trampoline_kernelINS0_14default_configENS1_25partition_config_selectorILNS1_17partition_subalgoE8ElNS0_10empty_typeEbEEZZNS1_14partition_implILS5_8ELb0ES3_jPKlPS6_PKS6_NS0_5tupleIJPlS6_EEENSE_IJSB_SB_EEENS0_18inequality_wrapperIN6hipcub16HIPCUB_304000_NS8EqualityEEESF_JS6_EEE10hipError_tPvRmT3_T4_T5_T6_T7_T9_mT8_P12ihipStream_tbDpT10_ENKUlT_T0_E_clISt17integral_constantIbLb1EES15_IbLb0EEEEDaS11_S12_EUlS11_E_NS1_11comp_targetILNS1_3genE8ELNS1_11target_archE1030ELNS1_3gpuE2ELNS1_3repE0EEENS1_30default_config_static_selectorELNS0_4arch9wavefront6targetE0EEEvT1_
	.p2align	8
	.type	_ZN7rocprim17ROCPRIM_400000_NS6detail17trampoline_kernelINS0_14default_configENS1_25partition_config_selectorILNS1_17partition_subalgoE8ElNS0_10empty_typeEbEEZZNS1_14partition_implILS5_8ELb0ES3_jPKlPS6_PKS6_NS0_5tupleIJPlS6_EEENSE_IJSB_SB_EEENS0_18inequality_wrapperIN6hipcub16HIPCUB_304000_NS8EqualityEEESF_JS6_EEE10hipError_tPvRmT3_T4_T5_T6_T7_T9_mT8_P12ihipStream_tbDpT10_ENKUlT_T0_E_clISt17integral_constantIbLb1EES15_IbLb0EEEEDaS11_S12_EUlS11_E_NS1_11comp_targetILNS1_3genE8ELNS1_11target_archE1030ELNS1_3gpuE2ELNS1_3repE0EEENS1_30default_config_static_selectorELNS0_4arch9wavefront6targetE0EEEvT1_,@function
_ZN7rocprim17ROCPRIM_400000_NS6detail17trampoline_kernelINS0_14default_configENS1_25partition_config_selectorILNS1_17partition_subalgoE8ElNS0_10empty_typeEbEEZZNS1_14partition_implILS5_8ELb0ES3_jPKlPS6_PKS6_NS0_5tupleIJPlS6_EEENSE_IJSB_SB_EEENS0_18inequality_wrapperIN6hipcub16HIPCUB_304000_NS8EqualityEEESF_JS6_EEE10hipError_tPvRmT3_T4_T5_T6_T7_T9_mT8_P12ihipStream_tbDpT10_ENKUlT_T0_E_clISt17integral_constantIbLb1EES15_IbLb0EEEEDaS11_S12_EUlS11_E_NS1_11comp_targetILNS1_3genE8ELNS1_11target_archE1030ELNS1_3gpuE2ELNS1_3repE0EEENS1_30default_config_static_selectorELNS0_4arch9wavefront6targetE0EEEvT1_: ; @_ZN7rocprim17ROCPRIM_400000_NS6detail17trampoline_kernelINS0_14default_configENS1_25partition_config_selectorILNS1_17partition_subalgoE8ElNS0_10empty_typeEbEEZZNS1_14partition_implILS5_8ELb0ES3_jPKlPS6_PKS6_NS0_5tupleIJPlS6_EEENSE_IJSB_SB_EEENS0_18inequality_wrapperIN6hipcub16HIPCUB_304000_NS8EqualityEEESF_JS6_EEE10hipError_tPvRmT3_T4_T5_T6_T7_T9_mT8_P12ihipStream_tbDpT10_ENKUlT_T0_E_clISt17integral_constantIbLb1EES15_IbLb0EEEEDaS11_S12_EUlS11_E_NS1_11comp_targetILNS1_3genE8ELNS1_11target_archE1030ELNS1_3gpuE2ELNS1_3repE0EEENS1_30default_config_static_selectorELNS0_4arch9wavefront6targetE0EEEvT1_
; %bb.0:
	.section	.rodata,"a",@progbits
	.p2align	6, 0x0
	.amdhsa_kernel _ZN7rocprim17ROCPRIM_400000_NS6detail17trampoline_kernelINS0_14default_configENS1_25partition_config_selectorILNS1_17partition_subalgoE8ElNS0_10empty_typeEbEEZZNS1_14partition_implILS5_8ELb0ES3_jPKlPS6_PKS6_NS0_5tupleIJPlS6_EEENSE_IJSB_SB_EEENS0_18inequality_wrapperIN6hipcub16HIPCUB_304000_NS8EqualityEEESF_JS6_EEE10hipError_tPvRmT3_T4_T5_T6_T7_T9_mT8_P12ihipStream_tbDpT10_ENKUlT_T0_E_clISt17integral_constantIbLb1EES15_IbLb0EEEEDaS11_S12_EUlS11_E_NS1_11comp_targetILNS1_3genE8ELNS1_11target_archE1030ELNS1_3gpuE2ELNS1_3repE0EEENS1_30default_config_static_selectorELNS0_4arch9wavefront6targetE0EEEvT1_
		.amdhsa_group_segment_fixed_size 0
		.amdhsa_private_segment_fixed_size 0
		.amdhsa_kernarg_size 112
		.amdhsa_user_sgpr_count 2
		.amdhsa_user_sgpr_dispatch_ptr 0
		.amdhsa_user_sgpr_queue_ptr 0
		.amdhsa_user_sgpr_kernarg_segment_ptr 1
		.amdhsa_user_sgpr_dispatch_id 0
		.amdhsa_user_sgpr_kernarg_preload_length 0
		.amdhsa_user_sgpr_kernarg_preload_offset 0
		.amdhsa_user_sgpr_private_segment_size 0
		.amdhsa_wavefront_size32 1
		.amdhsa_uses_dynamic_stack 0
		.amdhsa_enable_private_segment 0
		.amdhsa_system_sgpr_workgroup_id_x 1
		.amdhsa_system_sgpr_workgroup_id_y 0
		.amdhsa_system_sgpr_workgroup_id_z 0
		.amdhsa_system_sgpr_workgroup_info 0
		.amdhsa_system_vgpr_workitem_id 0
		.amdhsa_next_free_vgpr 1
		.amdhsa_next_free_sgpr 1
		.amdhsa_named_barrier_count 0
		.amdhsa_reserve_vcc 0
		.amdhsa_float_round_mode_32 0
		.amdhsa_float_round_mode_16_64 0
		.amdhsa_float_denorm_mode_32 3
		.amdhsa_float_denorm_mode_16_64 3
		.amdhsa_fp16_overflow 0
		.amdhsa_memory_ordered 1
		.amdhsa_forward_progress 1
		.amdhsa_inst_pref_size 0
		.amdhsa_round_robin_scheduling 0
		.amdhsa_exception_fp_ieee_invalid_op 0
		.amdhsa_exception_fp_denorm_src 0
		.amdhsa_exception_fp_ieee_div_zero 0
		.amdhsa_exception_fp_ieee_overflow 0
		.amdhsa_exception_fp_ieee_underflow 0
		.amdhsa_exception_fp_ieee_inexact 0
		.amdhsa_exception_int_div_zero 0
	.end_amdhsa_kernel
	.section	.text._ZN7rocprim17ROCPRIM_400000_NS6detail17trampoline_kernelINS0_14default_configENS1_25partition_config_selectorILNS1_17partition_subalgoE8ElNS0_10empty_typeEbEEZZNS1_14partition_implILS5_8ELb0ES3_jPKlPS6_PKS6_NS0_5tupleIJPlS6_EEENSE_IJSB_SB_EEENS0_18inequality_wrapperIN6hipcub16HIPCUB_304000_NS8EqualityEEESF_JS6_EEE10hipError_tPvRmT3_T4_T5_T6_T7_T9_mT8_P12ihipStream_tbDpT10_ENKUlT_T0_E_clISt17integral_constantIbLb1EES15_IbLb0EEEEDaS11_S12_EUlS11_E_NS1_11comp_targetILNS1_3genE8ELNS1_11target_archE1030ELNS1_3gpuE2ELNS1_3repE0EEENS1_30default_config_static_selectorELNS0_4arch9wavefront6targetE0EEEvT1_,"axG",@progbits,_ZN7rocprim17ROCPRIM_400000_NS6detail17trampoline_kernelINS0_14default_configENS1_25partition_config_selectorILNS1_17partition_subalgoE8ElNS0_10empty_typeEbEEZZNS1_14partition_implILS5_8ELb0ES3_jPKlPS6_PKS6_NS0_5tupleIJPlS6_EEENSE_IJSB_SB_EEENS0_18inequality_wrapperIN6hipcub16HIPCUB_304000_NS8EqualityEEESF_JS6_EEE10hipError_tPvRmT3_T4_T5_T6_T7_T9_mT8_P12ihipStream_tbDpT10_ENKUlT_T0_E_clISt17integral_constantIbLb1EES15_IbLb0EEEEDaS11_S12_EUlS11_E_NS1_11comp_targetILNS1_3genE8ELNS1_11target_archE1030ELNS1_3gpuE2ELNS1_3repE0EEENS1_30default_config_static_selectorELNS0_4arch9wavefront6targetE0EEEvT1_,comdat
.Lfunc_end249:
	.size	_ZN7rocprim17ROCPRIM_400000_NS6detail17trampoline_kernelINS0_14default_configENS1_25partition_config_selectorILNS1_17partition_subalgoE8ElNS0_10empty_typeEbEEZZNS1_14partition_implILS5_8ELb0ES3_jPKlPS6_PKS6_NS0_5tupleIJPlS6_EEENSE_IJSB_SB_EEENS0_18inequality_wrapperIN6hipcub16HIPCUB_304000_NS8EqualityEEESF_JS6_EEE10hipError_tPvRmT3_T4_T5_T6_T7_T9_mT8_P12ihipStream_tbDpT10_ENKUlT_T0_E_clISt17integral_constantIbLb1EES15_IbLb0EEEEDaS11_S12_EUlS11_E_NS1_11comp_targetILNS1_3genE8ELNS1_11target_archE1030ELNS1_3gpuE2ELNS1_3repE0EEENS1_30default_config_static_selectorELNS0_4arch9wavefront6targetE0EEEvT1_, .Lfunc_end249-_ZN7rocprim17ROCPRIM_400000_NS6detail17trampoline_kernelINS0_14default_configENS1_25partition_config_selectorILNS1_17partition_subalgoE8ElNS0_10empty_typeEbEEZZNS1_14partition_implILS5_8ELb0ES3_jPKlPS6_PKS6_NS0_5tupleIJPlS6_EEENSE_IJSB_SB_EEENS0_18inequality_wrapperIN6hipcub16HIPCUB_304000_NS8EqualityEEESF_JS6_EEE10hipError_tPvRmT3_T4_T5_T6_T7_T9_mT8_P12ihipStream_tbDpT10_ENKUlT_T0_E_clISt17integral_constantIbLb1EES15_IbLb0EEEEDaS11_S12_EUlS11_E_NS1_11comp_targetILNS1_3genE8ELNS1_11target_archE1030ELNS1_3gpuE2ELNS1_3repE0EEENS1_30default_config_static_selectorELNS0_4arch9wavefront6targetE0EEEvT1_
                                        ; -- End function
	.set _ZN7rocprim17ROCPRIM_400000_NS6detail17trampoline_kernelINS0_14default_configENS1_25partition_config_selectorILNS1_17partition_subalgoE8ElNS0_10empty_typeEbEEZZNS1_14partition_implILS5_8ELb0ES3_jPKlPS6_PKS6_NS0_5tupleIJPlS6_EEENSE_IJSB_SB_EEENS0_18inequality_wrapperIN6hipcub16HIPCUB_304000_NS8EqualityEEESF_JS6_EEE10hipError_tPvRmT3_T4_T5_T6_T7_T9_mT8_P12ihipStream_tbDpT10_ENKUlT_T0_E_clISt17integral_constantIbLb1EES15_IbLb0EEEEDaS11_S12_EUlS11_E_NS1_11comp_targetILNS1_3genE8ELNS1_11target_archE1030ELNS1_3gpuE2ELNS1_3repE0EEENS1_30default_config_static_selectorELNS0_4arch9wavefront6targetE0EEEvT1_.num_vgpr, 0
	.set _ZN7rocprim17ROCPRIM_400000_NS6detail17trampoline_kernelINS0_14default_configENS1_25partition_config_selectorILNS1_17partition_subalgoE8ElNS0_10empty_typeEbEEZZNS1_14partition_implILS5_8ELb0ES3_jPKlPS6_PKS6_NS0_5tupleIJPlS6_EEENSE_IJSB_SB_EEENS0_18inequality_wrapperIN6hipcub16HIPCUB_304000_NS8EqualityEEESF_JS6_EEE10hipError_tPvRmT3_T4_T5_T6_T7_T9_mT8_P12ihipStream_tbDpT10_ENKUlT_T0_E_clISt17integral_constantIbLb1EES15_IbLb0EEEEDaS11_S12_EUlS11_E_NS1_11comp_targetILNS1_3genE8ELNS1_11target_archE1030ELNS1_3gpuE2ELNS1_3repE0EEENS1_30default_config_static_selectorELNS0_4arch9wavefront6targetE0EEEvT1_.num_agpr, 0
	.set _ZN7rocprim17ROCPRIM_400000_NS6detail17trampoline_kernelINS0_14default_configENS1_25partition_config_selectorILNS1_17partition_subalgoE8ElNS0_10empty_typeEbEEZZNS1_14partition_implILS5_8ELb0ES3_jPKlPS6_PKS6_NS0_5tupleIJPlS6_EEENSE_IJSB_SB_EEENS0_18inequality_wrapperIN6hipcub16HIPCUB_304000_NS8EqualityEEESF_JS6_EEE10hipError_tPvRmT3_T4_T5_T6_T7_T9_mT8_P12ihipStream_tbDpT10_ENKUlT_T0_E_clISt17integral_constantIbLb1EES15_IbLb0EEEEDaS11_S12_EUlS11_E_NS1_11comp_targetILNS1_3genE8ELNS1_11target_archE1030ELNS1_3gpuE2ELNS1_3repE0EEENS1_30default_config_static_selectorELNS0_4arch9wavefront6targetE0EEEvT1_.numbered_sgpr, 0
	.set _ZN7rocprim17ROCPRIM_400000_NS6detail17trampoline_kernelINS0_14default_configENS1_25partition_config_selectorILNS1_17partition_subalgoE8ElNS0_10empty_typeEbEEZZNS1_14partition_implILS5_8ELb0ES3_jPKlPS6_PKS6_NS0_5tupleIJPlS6_EEENSE_IJSB_SB_EEENS0_18inequality_wrapperIN6hipcub16HIPCUB_304000_NS8EqualityEEESF_JS6_EEE10hipError_tPvRmT3_T4_T5_T6_T7_T9_mT8_P12ihipStream_tbDpT10_ENKUlT_T0_E_clISt17integral_constantIbLb1EES15_IbLb0EEEEDaS11_S12_EUlS11_E_NS1_11comp_targetILNS1_3genE8ELNS1_11target_archE1030ELNS1_3gpuE2ELNS1_3repE0EEENS1_30default_config_static_selectorELNS0_4arch9wavefront6targetE0EEEvT1_.num_named_barrier, 0
	.set _ZN7rocprim17ROCPRIM_400000_NS6detail17trampoline_kernelINS0_14default_configENS1_25partition_config_selectorILNS1_17partition_subalgoE8ElNS0_10empty_typeEbEEZZNS1_14partition_implILS5_8ELb0ES3_jPKlPS6_PKS6_NS0_5tupleIJPlS6_EEENSE_IJSB_SB_EEENS0_18inequality_wrapperIN6hipcub16HIPCUB_304000_NS8EqualityEEESF_JS6_EEE10hipError_tPvRmT3_T4_T5_T6_T7_T9_mT8_P12ihipStream_tbDpT10_ENKUlT_T0_E_clISt17integral_constantIbLb1EES15_IbLb0EEEEDaS11_S12_EUlS11_E_NS1_11comp_targetILNS1_3genE8ELNS1_11target_archE1030ELNS1_3gpuE2ELNS1_3repE0EEENS1_30default_config_static_selectorELNS0_4arch9wavefront6targetE0EEEvT1_.private_seg_size, 0
	.set _ZN7rocprim17ROCPRIM_400000_NS6detail17trampoline_kernelINS0_14default_configENS1_25partition_config_selectorILNS1_17partition_subalgoE8ElNS0_10empty_typeEbEEZZNS1_14partition_implILS5_8ELb0ES3_jPKlPS6_PKS6_NS0_5tupleIJPlS6_EEENSE_IJSB_SB_EEENS0_18inequality_wrapperIN6hipcub16HIPCUB_304000_NS8EqualityEEESF_JS6_EEE10hipError_tPvRmT3_T4_T5_T6_T7_T9_mT8_P12ihipStream_tbDpT10_ENKUlT_T0_E_clISt17integral_constantIbLb1EES15_IbLb0EEEEDaS11_S12_EUlS11_E_NS1_11comp_targetILNS1_3genE8ELNS1_11target_archE1030ELNS1_3gpuE2ELNS1_3repE0EEENS1_30default_config_static_selectorELNS0_4arch9wavefront6targetE0EEEvT1_.uses_vcc, 0
	.set _ZN7rocprim17ROCPRIM_400000_NS6detail17trampoline_kernelINS0_14default_configENS1_25partition_config_selectorILNS1_17partition_subalgoE8ElNS0_10empty_typeEbEEZZNS1_14partition_implILS5_8ELb0ES3_jPKlPS6_PKS6_NS0_5tupleIJPlS6_EEENSE_IJSB_SB_EEENS0_18inequality_wrapperIN6hipcub16HIPCUB_304000_NS8EqualityEEESF_JS6_EEE10hipError_tPvRmT3_T4_T5_T6_T7_T9_mT8_P12ihipStream_tbDpT10_ENKUlT_T0_E_clISt17integral_constantIbLb1EES15_IbLb0EEEEDaS11_S12_EUlS11_E_NS1_11comp_targetILNS1_3genE8ELNS1_11target_archE1030ELNS1_3gpuE2ELNS1_3repE0EEENS1_30default_config_static_selectorELNS0_4arch9wavefront6targetE0EEEvT1_.uses_flat_scratch, 0
	.set _ZN7rocprim17ROCPRIM_400000_NS6detail17trampoline_kernelINS0_14default_configENS1_25partition_config_selectorILNS1_17partition_subalgoE8ElNS0_10empty_typeEbEEZZNS1_14partition_implILS5_8ELb0ES3_jPKlPS6_PKS6_NS0_5tupleIJPlS6_EEENSE_IJSB_SB_EEENS0_18inequality_wrapperIN6hipcub16HIPCUB_304000_NS8EqualityEEESF_JS6_EEE10hipError_tPvRmT3_T4_T5_T6_T7_T9_mT8_P12ihipStream_tbDpT10_ENKUlT_T0_E_clISt17integral_constantIbLb1EES15_IbLb0EEEEDaS11_S12_EUlS11_E_NS1_11comp_targetILNS1_3genE8ELNS1_11target_archE1030ELNS1_3gpuE2ELNS1_3repE0EEENS1_30default_config_static_selectorELNS0_4arch9wavefront6targetE0EEEvT1_.has_dyn_sized_stack, 0
	.set _ZN7rocprim17ROCPRIM_400000_NS6detail17trampoline_kernelINS0_14default_configENS1_25partition_config_selectorILNS1_17partition_subalgoE8ElNS0_10empty_typeEbEEZZNS1_14partition_implILS5_8ELb0ES3_jPKlPS6_PKS6_NS0_5tupleIJPlS6_EEENSE_IJSB_SB_EEENS0_18inequality_wrapperIN6hipcub16HIPCUB_304000_NS8EqualityEEESF_JS6_EEE10hipError_tPvRmT3_T4_T5_T6_T7_T9_mT8_P12ihipStream_tbDpT10_ENKUlT_T0_E_clISt17integral_constantIbLb1EES15_IbLb0EEEEDaS11_S12_EUlS11_E_NS1_11comp_targetILNS1_3genE8ELNS1_11target_archE1030ELNS1_3gpuE2ELNS1_3repE0EEENS1_30default_config_static_selectorELNS0_4arch9wavefront6targetE0EEEvT1_.has_recursion, 0
	.set _ZN7rocprim17ROCPRIM_400000_NS6detail17trampoline_kernelINS0_14default_configENS1_25partition_config_selectorILNS1_17partition_subalgoE8ElNS0_10empty_typeEbEEZZNS1_14partition_implILS5_8ELb0ES3_jPKlPS6_PKS6_NS0_5tupleIJPlS6_EEENSE_IJSB_SB_EEENS0_18inequality_wrapperIN6hipcub16HIPCUB_304000_NS8EqualityEEESF_JS6_EEE10hipError_tPvRmT3_T4_T5_T6_T7_T9_mT8_P12ihipStream_tbDpT10_ENKUlT_T0_E_clISt17integral_constantIbLb1EES15_IbLb0EEEEDaS11_S12_EUlS11_E_NS1_11comp_targetILNS1_3genE8ELNS1_11target_archE1030ELNS1_3gpuE2ELNS1_3repE0EEENS1_30default_config_static_selectorELNS0_4arch9wavefront6targetE0EEEvT1_.has_indirect_call, 0
	.section	.AMDGPU.csdata,"",@progbits
; Kernel info:
; codeLenInByte = 0
; TotalNumSgprs: 0
; NumVgprs: 0
; ScratchSize: 0
; MemoryBound: 0
; FloatMode: 240
; IeeeMode: 1
; LDSByteSize: 0 bytes/workgroup (compile time only)
; SGPRBlocks: 0
; VGPRBlocks: 0
; NumSGPRsForWavesPerEU: 1
; NumVGPRsForWavesPerEU: 1
; NamedBarCnt: 0
; Occupancy: 16
; WaveLimiterHint : 0
; COMPUTE_PGM_RSRC2:SCRATCH_EN: 0
; COMPUTE_PGM_RSRC2:USER_SGPR: 2
; COMPUTE_PGM_RSRC2:TRAP_HANDLER: 0
; COMPUTE_PGM_RSRC2:TGID_X_EN: 1
; COMPUTE_PGM_RSRC2:TGID_Y_EN: 0
; COMPUTE_PGM_RSRC2:TGID_Z_EN: 0
; COMPUTE_PGM_RSRC2:TIDIG_COMP_CNT: 0
	.section	.text._ZN7rocprim17ROCPRIM_400000_NS6detail17trampoline_kernelINS0_14default_configENS1_25partition_config_selectorILNS1_17partition_subalgoE8ElNS0_10empty_typeEbEEZZNS1_14partition_implILS5_8ELb0ES3_jPKlPS6_PKS6_NS0_5tupleIJPlS6_EEENSE_IJSB_SB_EEENS0_18inequality_wrapperIN6hipcub16HIPCUB_304000_NS8EqualityEEESF_JS6_EEE10hipError_tPvRmT3_T4_T5_T6_T7_T9_mT8_P12ihipStream_tbDpT10_ENKUlT_T0_E_clISt17integral_constantIbLb0EES15_IbLb1EEEEDaS11_S12_EUlS11_E_NS1_11comp_targetILNS1_3genE0ELNS1_11target_archE4294967295ELNS1_3gpuE0ELNS1_3repE0EEENS1_30default_config_static_selectorELNS0_4arch9wavefront6targetE0EEEvT1_,"axG",@progbits,_ZN7rocprim17ROCPRIM_400000_NS6detail17trampoline_kernelINS0_14default_configENS1_25partition_config_selectorILNS1_17partition_subalgoE8ElNS0_10empty_typeEbEEZZNS1_14partition_implILS5_8ELb0ES3_jPKlPS6_PKS6_NS0_5tupleIJPlS6_EEENSE_IJSB_SB_EEENS0_18inequality_wrapperIN6hipcub16HIPCUB_304000_NS8EqualityEEESF_JS6_EEE10hipError_tPvRmT3_T4_T5_T6_T7_T9_mT8_P12ihipStream_tbDpT10_ENKUlT_T0_E_clISt17integral_constantIbLb0EES15_IbLb1EEEEDaS11_S12_EUlS11_E_NS1_11comp_targetILNS1_3genE0ELNS1_11target_archE4294967295ELNS1_3gpuE0ELNS1_3repE0EEENS1_30default_config_static_selectorELNS0_4arch9wavefront6targetE0EEEvT1_,comdat
	.protected	_ZN7rocprim17ROCPRIM_400000_NS6detail17trampoline_kernelINS0_14default_configENS1_25partition_config_selectorILNS1_17partition_subalgoE8ElNS0_10empty_typeEbEEZZNS1_14partition_implILS5_8ELb0ES3_jPKlPS6_PKS6_NS0_5tupleIJPlS6_EEENSE_IJSB_SB_EEENS0_18inequality_wrapperIN6hipcub16HIPCUB_304000_NS8EqualityEEESF_JS6_EEE10hipError_tPvRmT3_T4_T5_T6_T7_T9_mT8_P12ihipStream_tbDpT10_ENKUlT_T0_E_clISt17integral_constantIbLb0EES15_IbLb1EEEEDaS11_S12_EUlS11_E_NS1_11comp_targetILNS1_3genE0ELNS1_11target_archE4294967295ELNS1_3gpuE0ELNS1_3repE0EEENS1_30default_config_static_selectorELNS0_4arch9wavefront6targetE0EEEvT1_ ; -- Begin function _ZN7rocprim17ROCPRIM_400000_NS6detail17trampoline_kernelINS0_14default_configENS1_25partition_config_selectorILNS1_17partition_subalgoE8ElNS0_10empty_typeEbEEZZNS1_14partition_implILS5_8ELb0ES3_jPKlPS6_PKS6_NS0_5tupleIJPlS6_EEENSE_IJSB_SB_EEENS0_18inequality_wrapperIN6hipcub16HIPCUB_304000_NS8EqualityEEESF_JS6_EEE10hipError_tPvRmT3_T4_T5_T6_T7_T9_mT8_P12ihipStream_tbDpT10_ENKUlT_T0_E_clISt17integral_constantIbLb0EES15_IbLb1EEEEDaS11_S12_EUlS11_E_NS1_11comp_targetILNS1_3genE0ELNS1_11target_archE4294967295ELNS1_3gpuE0ELNS1_3repE0EEENS1_30default_config_static_selectorELNS0_4arch9wavefront6targetE0EEEvT1_
	.globl	_ZN7rocprim17ROCPRIM_400000_NS6detail17trampoline_kernelINS0_14default_configENS1_25partition_config_selectorILNS1_17partition_subalgoE8ElNS0_10empty_typeEbEEZZNS1_14partition_implILS5_8ELb0ES3_jPKlPS6_PKS6_NS0_5tupleIJPlS6_EEENSE_IJSB_SB_EEENS0_18inequality_wrapperIN6hipcub16HIPCUB_304000_NS8EqualityEEESF_JS6_EEE10hipError_tPvRmT3_T4_T5_T6_T7_T9_mT8_P12ihipStream_tbDpT10_ENKUlT_T0_E_clISt17integral_constantIbLb0EES15_IbLb1EEEEDaS11_S12_EUlS11_E_NS1_11comp_targetILNS1_3genE0ELNS1_11target_archE4294967295ELNS1_3gpuE0ELNS1_3repE0EEENS1_30default_config_static_selectorELNS0_4arch9wavefront6targetE0EEEvT1_
	.p2align	8
	.type	_ZN7rocprim17ROCPRIM_400000_NS6detail17trampoline_kernelINS0_14default_configENS1_25partition_config_selectorILNS1_17partition_subalgoE8ElNS0_10empty_typeEbEEZZNS1_14partition_implILS5_8ELb0ES3_jPKlPS6_PKS6_NS0_5tupleIJPlS6_EEENSE_IJSB_SB_EEENS0_18inequality_wrapperIN6hipcub16HIPCUB_304000_NS8EqualityEEESF_JS6_EEE10hipError_tPvRmT3_T4_T5_T6_T7_T9_mT8_P12ihipStream_tbDpT10_ENKUlT_T0_E_clISt17integral_constantIbLb0EES15_IbLb1EEEEDaS11_S12_EUlS11_E_NS1_11comp_targetILNS1_3genE0ELNS1_11target_archE4294967295ELNS1_3gpuE0ELNS1_3repE0EEENS1_30default_config_static_selectorELNS0_4arch9wavefront6targetE0EEEvT1_,@function
_ZN7rocprim17ROCPRIM_400000_NS6detail17trampoline_kernelINS0_14default_configENS1_25partition_config_selectorILNS1_17partition_subalgoE8ElNS0_10empty_typeEbEEZZNS1_14partition_implILS5_8ELb0ES3_jPKlPS6_PKS6_NS0_5tupleIJPlS6_EEENSE_IJSB_SB_EEENS0_18inequality_wrapperIN6hipcub16HIPCUB_304000_NS8EqualityEEESF_JS6_EEE10hipError_tPvRmT3_T4_T5_T6_T7_T9_mT8_P12ihipStream_tbDpT10_ENKUlT_T0_E_clISt17integral_constantIbLb0EES15_IbLb1EEEEDaS11_S12_EUlS11_E_NS1_11comp_targetILNS1_3genE0ELNS1_11target_archE4294967295ELNS1_3gpuE0ELNS1_3repE0EEENS1_30default_config_static_selectorELNS0_4arch9wavefront6targetE0EEEvT1_: ; @_ZN7rocprim17ROCPRIM_400000_NS6detail17trampoline_kernelINS0_14default_configENS1_25partition_config_selectorILNS1_17partition_subalgoE8ElNS0_10empty_typeEbEEZZNS1_14partition_implILS5_8ELb0ES3_jPKlPS6_PKS6_NS0_5tupleIJPlS6_EEENSE_IJSB_SB_EEENS0_18inequality_wrapperIN6hipcub16HIPCUB_304000_NS8EqualityEEESF_JS6_EEE10hipError_tPvRmT3_T4_T5_T6_T7_T9_mT8_P12ihipStream_tbDpT10_ENKUlT_T0_E_clISt17integral_constantIbLb0EES15_IbLb1EEEEDaS11_S12_EUlS11_E_NS1_11comp_targetILNS1_3genE0ELNS1_11target_archE4294967295ELNS1_3gpuE0ELNS1_3repE0EEENS1_30default_config_static_selectorELNS0_4arch9wavefront6targetE0EEEvT1_
; %bb.0:
	s_clause 0x2
	s_load_b128 s[12:15], s[0:1], 0x40
	s_load_b64 s[8:9], s[0:1], 0x50
	s_load_b64 s[16:17], s[0:1], 0x60
	v_cmp_ne_u32_e64 s3, 0, v0
	v_cmp_eq_u32_e64 s2, 0, v0
	s_and_saveexec_b32 s4, s2
	s_cbranch_execz .LBB250_4
; %bb.1:
	s_mov_b32 s6, exec_lo
	s_mov_b32 s5, exec_lo
	v_mbcnt_lo_u32_b32 v1, s6, 0
                                        ; implicit-def: $vgpr2
	s_delay_alu instid0(VALU_DEP_1)
	v_cmpx_eq_u32_e32 0, v1
	s_cbranch_execz .LBB250_3
; %bb.2:
	s_load_b64 s[10:11], s[0:1], 0x70
	s_bcnt1_i32_b32 s6, s6
	s_delay_alu instid0(SALU_CYCLE_1)
	v_dual_mov_b32 v2, 0 :: v_dual_mov_b32 v3, s6
	s_wait_xcnt 0x0
	s_wait_kmcnt 0x0
	global_atomic_add_u32 v2, v2, v3, s[10:11] th:TH_ATOMIC_RETURN scope:SCOPE_DEV
.LBB250_3:
	s_wait_xcnt 0x0
	s_or_b32 exec_lo, exec_lo, s5
	s_wait_loadcnt 0x0
	v_readfirstlane_b32 s5, v2
	s_delay_alu instid0(VALU_DEP_1)
	v_dual_mov_b32 v2, 0 :: v_dual_add_nc_u32 v1, s5, v1
	ds_store_b32 v2, v1
.LBB250_4:
	s_or_b32 exec_lo, exec_lo, s4
	v_dual_mov_b32 v3, 0 :: v_dual_lshlrev_b32 v22, 3, v0
	s_clause 0x2
	s_load_b128 s[4:7], s[0:1], 0x8
	s_load_b64 s[10:11], s[0:1], 0x28
	s_load_b32 s18, s[0:1], 0x68
	s_wait_dscnt 0x0
	s_barrier_signal -1
	s_barrier_wait -1
	ds_load_b32 v1, v3
	s_wait_dscnt 0x0
	s_barrier_signal -1
	s_barrier_wait -1
	s_wait_kmcnt 0x0
	global_load_b64 v[4:5], v3, s[14:15]
	s_wait_xcnt 0x0
	s_mov_b32 s15, 0
	s_lshl_b64 s[0:1], s[6:7], 3
	s_mul_i32 s14, s18, 0xe00
	s_add_co_i32 s22, s18, -1
	s_add_nc_u64 s[20:21], s[6:7], s[14:15]
	s_add_co_i32 s14, s14, s6
	v_cmp_le_u64_e64 s15, s[8:9], s[20:21]
	v_mul_lo_u32 v2, 0xe00, v1
	v_readfirstlane_b32 s19, v1
	s_sub_co_i32 s8, s8, s14
	s_add_nc_u64 s[0:1], s[4:5], s[0:1]
	s_cmp_eq_u32 s19, s22
	s_cselect_b32 s9, -1, 0
	s_delay_alu instid0(SALU_CYCLE_1) | instskip(SKIP_2) | instid1(SALU_CYCLE_1)
	s_and_b32 s20, s15, s9
	v_lshlrev_b64_e32 v[2:3], 3, v[2:3]
	s_xor_b32 s18, s20, -1
	s_and_b32 vcc_lo, exec_lo, s18
	s_delay_alu instid0(VALU_DEP_1)
	v_add_nc_u64_e32 v[24:25], s[0:1], v[2:3]
	s_mov_b32 s0, -1
	s_wait_loadcnt 0x0
	v_readfirstlane_b32 s14, v4
	v_readfirstlane_b32 s15, v5
	s_cbranch_vccz .LBB250_6
; %bb.5:
	v_readfirstlane_b32 s0, v24
	v_readfirstlane_b32 s1, v25
	v_lshlrev_b32_e32 v1, 3, v0
	s_clause 0x6
	global_load_b64 v[2:3], v0, s[0:1] scale_offset
	global_load_b64 v[4:5], v0, s[0:1] offset:4096 scale_offset
	global_load_b64 v[6:7], v0, s[0:1] offset:8192 scale_offset
	;; [unrolled: 1-line block ×6, first 2 shown]
	s_wait_xcnt 0x0
	s_mov_b32 s0, 0
	s_wait_loadcnt 0x5
	ds_store_2addr_stride64_b64 v1, v[2:3], v[4:5] offset1:8
	s_wait_loadcnt 0x3
	ds_store_2addr_stride64_b64 v1, v[6:7], v[8:9] offset0:16 offset1:24
	s_wait_loadcnt 0x1
	ds_store_2addr_stride64_b64 v1, v[10:11], v[12:13] offset0:32 offset1:40
	s_wait_loadcnt 0x0
	ds_store_b64 v1, v[14:15] offset:24576
	s_wait_dscnt 0x0
	s_barrier_signal -1
	s_barrier_wait -1
.LBB250_6:
	s_and_not1_b32 vcc_lo, exec_lo, s0
	s_addk_co_i32 s8, 0xe00
	s_cbranch_vccnz .LBB250_22
; %bb.7:
	v_mov_b32_e32 v2, 0
	s_mov_b32 s0, exec_lo
	s_delay_alu instid0(VALU_DEP_1)
	v_dual_mov_b32 v3, v2 :: v_dual_mov_b32 v4, v2
	v_dual_mov_b32 v5, v2 :: v_dual_mov_b32 v6, v2
	;; [unrolled: 1-line block ×6, first 2 shown]
	v_mov_b32_e32 v15, v2
	v_cmpx_gt_u32_e64 s8, v0
	s_cbranch_execz .LBB250_9
; %bb.8:
	v_readfirstlane_b32 s4, v24
	v_readfirstlane_b32 s5, v25
	v_dual_mov_b32 v6, v2 :: v_dual_mov_b32 v7, v2
	v_dual_mov_b32 v8, v2 :: v_dual_mov_b32 v9, v2
	global_load_b64 v[4:5], v0, s[4:5] scale_offset
	v_dual_mov_b32 v10, v2 :: v_dual_mov_b32 v11, v2
	v_dual_mov_b32 v12, v2 :: v_dual_mov_b32 v13, v2
	v_dual_mov_b32 v14, v2 :: v_dual_mov_b32 v15, v2
	v_dual_mov_b32 v16, v2 :: v_dual_mov_b32 v17, v2
	s_wait_loadcnt 0x0
	v_mov_b64_e32 v[2:3], v[4:5]
	v_mov_b64_e32 v[4:5], v[6:7]
	;; [unrolled: 1-line block ×8, first 2 shown]
.LBB250_9:
	s_or_b32 exec_lo, exec_lo, s0
	v_or_b32_e32 v1, 0x200, v0
	s_mov_b32 s0, exec_lo
	s_delay_alu instid0(VALU_DEP_1)
	v_cmpx_gt_u32_e64 s8, v1
	s_cbranch_execz .LBB250_11
; %bb.10:
	v_readfirstlane_b32 s4, v24
	v_readfirstlane_b32 s5, v25
	global_load_b64 v[4:5], v0, s[4:5] offset:4096 scale_offset
.LBB250_11:
	s_wait_xcnt 0x0
	s_or_b32 exec_lo, exec_lo, s0
	v_or_b32_e32 v1, 0x400, v0
	s_mov_b32 s0, exec_lo
	s_delay_alu instid0(VALU_DEP_1)
	v_cmpx_gt_u32_e64 s8, v1
	s_cbranch_execz .LBB250_13
; %bb.12:
	v_readfirstlane_b32 s4, v24
	v_readfirstlane_b32 s5, v25
	global_load_b64 v[6:7], v0, s[4:5] offset:8192 scale_offset
.LBB250_13:
	s_wait_xcnt 0x0
	;; [unrolled: 12-line block ×6, first 2 shown]
	s_or_b32 exec_lo, exec_lo, s0
	v_lshlrev_b32_e32 v1, 3, v0
	s_wait_loadcnt 0x0
	ds_store_2addr_stride64_b64 v1, v[2:3], v[4:5] offset1:8
	ds_store_2addr_stride64_b64 v1, v[6:7], v[8:9] offset0:16 offset1:24
	ds_store_2addr_stride64_b64 v1, v[10:11], v[12:13] offset0:32 offset1:40
	ds_store_b64 v1, v[14:15] offset:24576
	s_wait_dscnt 0x0
	s_barrier_signal -1
	s_barrier_wait -1
.LBB250_22:
	v_mul_u32_u24_e32 v28, 7, v0
	s_cmp_lg_u32 s19, 0
	s_mov_b32 s22, 0
	s_cselect_b32 s21, -1, 0
	s_delay_alu instid0(VALU_DEP_1)
	v_lshlrev_b32_e32 v30, 3, v28
	s_cmp_lg_u64 s[6:7], 0
	ds_load_2addr_b64 v[10:13], v30 offset0:2 offset1:3
	ds_load_2addr_b64 v[6:9], v30 offset0:3 offset1:4
	ds_load_2addr_b64 v[14:17], v30 offset1:1
	ds_load_2addr_b64 v[18:21], v30 offset0:1 offset1:2
	ds_load_2addr_b64 v[2:5], v30 offset0:5 offset1:6
	s_cselect_b32 s0, -1, 0
	s_wait_dscnt 0x0
	s_or_b32 s0, s0, s21
	s_barrier_signal -1
	s_and_b32 vcc_lo, exec_lo, s0
	s_barrier_wait -1
	s_cbranch_vccz .LBB250_27
; %bb.23:
	global_load_b64 v[24:25], v[24:25], off offset:-8
	v_lshlrev_b32_e32 v31, 3, v0
	s_and_b32 vcc_lo, exec_lo, s18
	ds_store_b64 v31, v[4:5]
	s_cbranch_vccz .LBB250_29
; %bb.24:
	s_wait_loadcnt 0x0
	v_mov_b64_e32 v[26:27], v[24:25]
	s_wait_dscnt 0x0
	s_barrier_signal -1
	s_barrier_wait -1
	s_and_saveexec_b32 s0, s3
; %bb.25:
	v_add_nc_u32_e32 v1, -8, v31
	ds_load_b64 v[26:27], v1
; %bb.26:
	s_or_b32 exec_lo, exec_lo, s0
	v_cmp_ne_u64_e32 vcc_lo, v[10:11], v[12:13]
	s_wait_dscnt 0x0
	v_cmp_ne_u64_e64 s0, v[26:27], v[14:15]
	v_cndmask_b32_e64 v1, 0, 1, vcc_lo
	v_cmp_ne_u64_e32 vcc_lo, v[16:17], v[10:11]
	s_delay_alu instid0(VALU_DEP_2) | instskip(SKIP_2) | instid1(VALU_DEP_2)
	v_lshlrev_b16 v1, 8, v1
	v_cndmask_b32_e64 v23, 0, 1, vcc_lo
	v_cmp_ne_u64_e32 vcc_lo, v[14:15], v[16:17]
	v_or_b32_e32 v23, v23, v1
	v_cndmask_b32_e64 v29, 0, 1, vcc_lo
	v_cmp_ne_u64_e32 vcc_lo, v[2:3], v[4:5]
	s_delay_alu instid0(VALU_DEP_3) | instskip(NEXT) | instid1(VALU_DEP_3)
	v_lshlrev_b32_e32 v33, 16, v23
	v_lshlrev_b16 v29, 8, v29
	v_cndmask_b32_e64 v1, 0, 1, vcc_lo
	v_cmp_ne_u64_e32 vcc_lo, v[8:9], v[2:3]
	s_delay_alu instid0(VALU_DEP_3) | instskip(NEXT) | instid1(VALU_DEP_1)
	v_and_b32_e32 v32, 0xffff, v29
	v_or_b32_e32 v27, v32, v33
	v_cndmask_b32_e64 v23, 0, 1, vcc_lo
	v_cmp_ne_u64_e32 vcc_lo, v[12:13], v[8:9]
	v_cndmask_b32_e64 v29, 0, 1, vcc_lo
	s_branch .LBB250_33
.LBB250_27:
                                        ; implicit-def: $sgpr0
                                        ; implicit-def: $vgpr1
                                        ; implicit-def: $vgpr23
                                        ; implicit-def: $vgpr29
                                        ; implicit-def: $vgpr27
	s_branch .LBB250_34
.LBB250_28:
                                        ; implicit-def: $vgpr24
                                        ; implicit-def: $vgpr32
                                        ; implicit-def: $vgpr31
                                        ; implicit-def: $vgpr26
	s_branch .LBB250_42
.LBB250_29:
                                        ; implicit-def: $sgpr0
                                        ; implicit-def: $vgpr1
                                        ; implicit-def: $vgpr23
                                        ; implicit-def: $vgpr29
                                        ; implicit-def: $vgpr27
	s_cbranch_execz .LBB250_33
; %bb.30:
	s_wait_loadcnt_dscnt 0x0
	s_barrier_signal -1
	s_barrier_wait -1
	s_and_saveexec_b32 s0, s3
; %bb.31:
	v_add_nc_u32_e32 v1, -8, v31
	ds_load_b64 v[24:25], v1
; %bb.32:
	s_or_b32 exec_lo, exec_lo, s0
	v_dual_add_nc_u32 v1, 6, v28 :: v_dual_add_nc_u32 v23, 5, v28
	v_dual_add_nc_u32 v26, 3, v28 :: v_dual_add_nc_u32 v27, 2, v28
	v_cmp_ne_u64_e32 vcc_lo, v[2:3], v[4:5]
	s_delay_alu instid0(VALU_DEP_3) | instskip(SKIP_1) | instid1(VALU_DEP_4)
	v_cmp_gt_u32_e64 s0, s8, v1
	v_cmp_ne_u64_e64 s1, v[10:11], v[12:13]
	v_cmp_gt_u32_e64 s5, s8, v26
	v_dual_add_nc_u32 v26, 1, v28 :: v_dual_add_nc_u32 v31, 4, v28
	v_cmp_ne_u64_e64 s4, v[16:17], v[10:11]
	s_and_b32 s0, s0, vcc_lo
	v_cmp_gt_u32_e32 vcc_lo, s8, v27
	v_cndmask_b32_e64 v1, 0, 1, s0
	v_cmp_ne_u64_e64 s0, v[14:15], v[16:17]
	s_and_b32 s1, s5, s1
	v_cmp_ne_u64_e64 s5, v[8:9], v[2:3]
	v_cndmask_b32_e64 v27, 0, 1, s1
	v_cmp_gt_u32_e64 s1, s8, v26
	s_and_b32 s4, vcc_lo, s4
	v_cmp_gt_u32_e32 vcc_lo, s8, v23
	v_cndmask_b32_e64 v26, 0, 1, s4
	v_lshlrev_b16 v27, 8, v27
	s_and_b32 s0, s1, s0
	v_cmp_gt_u32_e64 s4, s8, v28
	v_cndmask_b32_e64 v29, 0, 1, s0
	v_cmp_ne_u64_e64 s0, v[12:13], v[8:9]
	v_or_b32_e32 v26, v26, v27
	s_and_b32 s1, vcc_lo, s5
	v_cmp_gt_u32_e32 vcc_lo, s8, v31
	v_lshlrev_b16 v27, 8, v29
	v_cndmask_b32_e64 v23, 0, 1, s1
	v_lshlrev_b32_e32 v26, 16, v26
	s_wait_dscnt 0x0
	v_cmp_ne_u64_e64 s1, v[24:25], v[14:15]
	s_and_b32 s0, vcc_lo, s0
	v_and_b32_e32 v27, 0xffff, v27
	v_cndmask_b32_e64 v29, 0, 1, s0
	s_delay_alu instid0(VALU_DEP_2)
	v_or_b32_e32 v27, v27, v26
	s_and_b32 s0, s4, s1
.LBB250_33:
	s_mov_b32 s22, -1
	s_cbranch_execnz .LBB250_28
.LBB250_34:
	v_cmp_ne_u64_e64 s0, v[2:3], v[4:5]
	v_mad_i32_i24 v33, 0xffffffd0, v0, v30
	s_and_b32 vcc_lo, exec_lo, s18
	ds_store_b64 v33, v[4:5]
	s_cbranch_vccz .LBB250_38
; %bb.35:
	v_cmp_ne_u64_e32 vcc_lo, v[8:9], v[2:3]
	v_cndmask_b32_e64 v1, 0, 1, s0
	s_wait_loadcnt 0x0
	v_mov_b32_e32 v24, 1
	s_wait_dscnt 0x0
	s_barrier_signal -1
	s_barrier_wait -1
	v_cndmask_b32_e64 v23, 0, 1, vcc_lo
	v_cmp_ne_u64_e32 vcc_lo, v[12:13], v[8:9]
                                        ; implicit-def: $sgpr0
                                        ; implicit-def: $vgpr27
	v_cndmask_b32_e64 v25, 0, 1, vcc_lo
	v_cmp_ne_u64_e32 vcc_lo, v[14:15], v[16:17]
	v_cndmask_b32_e64 v32, 0, 1, vcc_lo
	v_cmp_ne_u64_e32 vcc_lo, v[16:17], v[10:11]
	;; [unrolled: 2-line block ×3, first 2 shown]
	v_cndmask_b32_e64 v26, 0, 1, vcc_lo
	s_and_saveexec_b32 s1, s3
	s_delay_alu instid0(SALU_CYCLE_1)
	s_xor_b32 s1, exec_lo, s1
	s_cbranch_execz .LBB250_37
; %bb.36:
	v_add_nc_u32_e32 v27, -8, v33
	v_lshlrev_b16 v29, 8, v32
	s_or_b32 s22, s22, exec_lo
	ds_load_b64 v[34:35], v27
	v_lshlrev_b16 v27, 8, v26
	s_delay_alu instid0(VALU_DEP_1) | instskip(NEXT) | instid1(VALU_DEP_1)
	v_or_b32_e32 v27, v31, v27
	v_dual_lshlrev_b32 v27, 16, v27 :: v_dual_bitop2_b32 v29, 1, v29 bitop3:0x54
	s_delay_alu instid0(VALU_DEP_1) | instskip(NEXT) | instid1(VALU_DEP_1)
	v_and_b32_e32 v29, 0xffff, v29
	v_or_b32_e32 v27, v29, v27
	s_wait_dscnt 0x0
	v_cmp_ne_u64_e64 s0, v[34:35], v[14:15]
	s_delay_alu instid0(VALU_DEP_2)
	v_perm_b32 v27, v27, v27, 0x3020104
.LBB250_37:
	s_or_b32 exec_lo, exec_lo, s1
	v_mov_b32_e32 v29, v25
	s_branch .LBB250_42
.LBB250_38:
                                        ; implicit-def: $sgpr0
                                        ; implicit-def: $vgpr1
                                        ; implicit-def: $vgpr23
                                        ; implicit-def: $vgpr29
                                        ; implicit-def: $vgpr27
                                        ; implicit-def: $vgpr24
                                        ; implicit-def: $vgpr32
                                        ; implicit-def: $vgpr31
                                        ; implicit-def: $vgpr26
	s_cbranch_execz .LBB250_42
; %bb.39:
	v_dual_add_nc_u32 v1, 4, v28 :: v_dual_add_nc_u32 v23, 6, v28
	v_cmp_ne_u64_e32 vcc_lo, v[12:13], v[8:9]
	s_wait_loadcnt 0x0
	v_dual_add_nc_u32 v24, 5, v28 :: v_dual_add_nc_u32 v25, 3, v28
	s_delay_alu instid0(VALU_DEP_3)
	v_cmp_gt_u32_e64 s0, s8, v1
	v_add_nc_u32_e32 v1, 2, v28
	v_cmp_ne_u64_e64 s1, v[16:17], v[20:21]
	v_cmp_ne_u64_e64 s4, v[10:11], v[6:7]
	v_add_nc_u32_e32 v7, 1, v28
	s_and_b32 s0, s0, vcc_lo
	v_cmp_gt_u32_e32 vcc_lo, s8, v25
	v_cmp_gt_u32_e64 s6, s8, v1
	v_cndmask_b32_e64 v20, 0, 1, s0
	v_cmp_ne_u64_e64 s0, v[2:3], v[4:5]
	v_cmp_gt_u32_e64 s5, s8, v23
	s_and_b32 s4, vcc_lo, s4
	s_and_b32 s1, s6, s1
	v_lshlrev_b16 v1, 8, v20
	v_cndmask_b32_e64 v25, 0, 1, s4
	v_cndmask_b32_e64 v21, 0, 1, s1
	v_cmp_ne_u64_e32 vcc_lo, v[8:9], v[2:3]
	v_cmp_ne_u64_e64 s1, v[14:15], v[18:19]
	s_and_b32 s0, s5, s0
	v_or_b32_e32 v26, v25, v1
	v_lshlrev_b16 v6, 8, v21
	v_cmp_gt_u32_e64 s7, s8, v24
	v_cndmask_b32_e64 v1, 0, 1, s0
	v_cmp_gt_u32_e64 s0, s8, v7
	v_dual_mov_b32 v24, 1 :: v_dual_lshlrev_b32 v7, 16, v26
	v_and_b32_e32 v18, 0xffff, v6
	s_and_b32 s4, s7, vcc_lo
	s_and_b32 s0, s0, s1
	v_cndmask_b32_e64 v23, 0, 1, s4
	v_cndmask_b32_e64 v19, 0, 1, s0
	v_or_b32_e32 v18, v18, v7
	s_wait_dscnt 0x0
	s_barrier_signal -1
	s_barrier_wait -1
                                        ; implicit-def: $sgpr0
                                        ; implicit-def: $vgpr29
                                        ; implicit-def: $vgpr27
	s_and_saveexec_b32 s1, s3
	s_cbranch_execz .LBB250_41
; %bb.40:
	v_lshlrev_b16 v27, 8, v19
	v_add_nc_u32_e32 v29, -8, v33
	v_lshlrev_b16 v25, 8, v25
	v_cmp_gt_u32_e64 s0, s8, v28
	s_or_b32 s22, s22, exec_lo
	v_lshrrev_b32_e32 v27, 8, v27
	ds_load_b64 v[32:33], v29
	v_lshrrev_b32_e32 v25, 8, v25
	v_lshlrev_b16 v29, 8, v23
	v_lshlrev_b16 v27, 8, v27
	s_delay_alu instid0(VALU_DEP_3) | instskip(NEXT) | instid1(VALU_DEP_3)
	v_lshlrev_b16 v25, 8, v25
	v_or_b32_e32 v20, v20, v29
	s_delay_alu instid0(VALU_DEP_2) | instskip(NEXT) | instid1(VALU_DEP_4)
	v_or_b32_e32 v21, v21, v25
	v_or_b32_e32 v25, 1, v27
	s_delay_alu instid0(VALU_DEP_3) | instskip(NEXT) | instid1(VALU_DEP_3)
	v_and_b32_e32 v20, 0xffff, v20
	v_lshlrev_b32_e32 v21, 16, v21
	s_delay_alu instid0(VALU_DEP_3) | instskip(NEXT) | instid1(VALU_DEP_3)
	v_and_b32_e32 v25, 0xffff, v25
	v_lshl_or_b32 v29, v1, 16, v20
	s_wait_dscnt 0x0
	v_cmp_ne_u64_e32 vcc_lo, v[32:33], v[14:15]
	s_delay_alu instid0(VALU_DEP_3) | instskip(NEXT) | instid1(VALU_DEP_1)
	v_or_b32_e32 v21, v25, v21
	v_perm_b32 v27, v21, v21, 0x3020104
	s_and_b32 s0, s0, vcc_lo
.LBB250_41:
	s_or_b32 exec_lo, exec_lo, s1
	v_dual_lshrrev_b32 v25, 24, v7 :: v_dual_bitop2_b32 v32, v19, v6 bitop3:0x54
	v_lshrrev_b32_e32 v31, 8, v18
.LBB250_42:
	s_wait_xcnt 0x0
	s_and_saveexec_b32 s1, s22
	s_cbranch_execz .LBB250_44
; %bb.43:
	v_dual_lshrrev_b32 v26, 24, v27 :: v_dual_lshrrev_b32 v31, 16, v27
	s_wait_loadcnt 0x0
	v_dual_mov_b32 v25, v29 :: v_dual_lshrrev_b32 v32, 8, v27
	v_cndmask_b32_e64 v24, 0, 1, s0
.LBB250_44:
	s_or_b32 exec_lo, exec_lo, s1
	s_delay_alu instid0(SALU_CYCLE_1)
	s_and_not1_b32 vcc_lo, exec_lo, s20
	s_cbranch_vccnz .LBB250_48
; %bb.45:
	s_wait_loadcnt 0x0
	v_perm_b32 v6, v24, v32, 0xc0c0004
	v_perm_b32 v7, v31, v26, 0xc0c0004
	v_cmp_gt_u32_e32 vcc_lo, s8, v28
	v_and_b32_e32 v1, 0xff, v1
	v_perm_b32 v19, v25, v23, 0xc0c0004
	v_add_nc_u32_e32 v18, 1, v28
	v_lshl_or_b32 v6, v7, 16, v6
	s_delay_alu instid0(VALU_DEP_4) | instskip(NEXT) | instid1(VALU_DEP_2)
	v_dual_add_nc_u32 v20, 4, v28 :: v_dual_lshlrev_b32 v1, 16, v1
	v_cndmask_b32_e32 v7, 0, v6, vcc_lo
	s_delay_alu instid0(VALU_DEP_4) | instskip(NEXT) | instid1(VALU_DEP_3)
	v_cmp_gt_u32_e32 vcc_lo, s8, v18
	v_dual_add_nc_u32 v18, 2, v28 :: v_dual_bitop2_b32 v21, v19, v1 bitop3:0x54
	v_bitop3_b32 v1, v19, 0xffff00, v1 bitop3:0xc8
	s_delay_alu instid0(VALU_DEP_4) | instskip(NEXT) | instid1(VALU_DEP_1)
	v_and_b32_e32 v7, 0xff, v7
	v_cndmask_b32_e32 v7, v7, v6, vcc_lo
	s_delay_alu instid0(VALU_DEP_4) | instskip(SKIP_1) | instid1(VALU_DEP_3)
	v_cmp_gt_u32_e32 vcc_lo, s8, v18
	v_add_nc_u32_e32 v18, 5, v28
	v_and_b32_e32 v7, 0xffff, v7
	s_delay_alu instid0(VALU_DEP_2) | instskip(NEXT) | instid1(VALU_DEP_2)
	v_cmp_gt_u32_e64 s0, s8, v18
	v_cndmask_b32_e32 v7, v7, v6, vcc_lo
	v_cmp_gt_u32_e32 vcc_lo, s8, v20
	v_cndmask_b32_e32 v1, v1, v21, vcc_lo
	s_delay_alu instid0(VALU_DEP_3) | instskip(SKIP_2) | instid1(VALU_DEP_3)
	v_and_b32_e32 v7, 0xffffff, v7
	v_add_nc_u32_e32 v19, 3, v28
	s_or_b32 vcc_lo, s0, vcc_lo
	v_and_b32_e32 v1, 0xffff00ff, v1
	s_delay_alu instid0(VALU_DEP_2) | instskip(NEXT) | instid1(VALU_DEP_1)
	v_cmp_gt_u32_e64 s1, s8, v19
	v_dual_cndmask_b32 v7, v7, v6, s1 :: v_dual_cndmask_b32 v25, v1, v21, s0
	s_mov_b32 s0, exec_lo
	s_delay_alu instid0(VALU_DEP_1) | instskip(NEXT) | instid1(VALU_DEP_2)
	v_dual_cndmask_b32 v24, v7, v6, vcc_lo :: v_dual_add_nc_u32 v6, 6, v28
	v_dual_lshrrev_b32 v1, 16, v25 :: v_dual_lshrrev_b32 v23, 8, v25
	s_delay_alu instid0(VALU_DEP_2) | instskip(SKIP_1) | instid1(VALU_DEP_4)
	v_lshrrev_b64 v[26:27], 24, v[24:25]
	v_dual_lshrrev_b32 v31, 16, v24 :: v_dual_lshrrev_b32 v32, 8, v24
	v_cmpx_le_u32_e64 s8, v6
; %bb.46:
	v_mov_b32_e32 v1, 0
; %bb.47:
	s_or_b32 exec_lo, exec_lo, s0
.LBB250_48:
	s_wait_loadcnt 0x0
	v_and_b32_e32 v27, 0xff, v24
	v_and_b32_e32 v33, 0xff, v32
	;; [unrolled: 1-line block ×5, first 2 shown]
	v_mbcnt_lo_u32_b32 v38, -1, 0
	v_and_b32_e32 v37, 0xff, v23
	v_add3_u32 v6, v33, v27, v34
	v_and_b32_e32 v7, 0xff, v1
	s_delay_alu instid0(VALU_DEP_4) | instskip(SKIP_1) | instid1(VALU_DEP_3)
	v_dual_lshrrev_b32 v39, 5, v0 :: v_dual_bitop2_b32 v18, 15, v38 bitop3:0x40
	s_and_b32 vcc_lo, exec_lo, s21
	v_add3_u32 v6, v6, v35, v36
	s_mov_b32 s7, -1
	s_wait_dscnt 0x0
	v_cmp_eq_u32_e64 s0, 0, v18
	v_cmp_lt_u32_e64 s3, 1, v18
	v_add3_u32 v40, v6, v37, v7
	v_and_b32_e32 v6, 16, v38
	v_or_b32_e32 v7, 31, v0
	v_cmp_lt_u32_e64 s4, 3, v18
	v_cmp_lt_u32_e64 s1, 7, v18
	s_barrier_signal -1
	v_cmp_eq_u32_e64 s6, 0, v6
	v_cmp_eq_u32_e64 s5, v0, v7
	s_barrier_wait -1
	s_cbranch_vccz .LBB250_70
; %bb.49:
	v_mov_b32_dpp v6, v40 row_shr:1 row_mask:0xf bank_mask:0xf
	s_delay_alu instid0(VALU_DEP_1) | instskip(NEXT) | instid1(VALU_DEP_1)
	v_cndmask_b32_e64 v6, v6, 0, s0
	v_add_nc_u32_e32 v6, v6, v40
	s_delay_alu instid0(VALU_DEP_1) | instskip(NEXT) | instid1(VALU_DEP_1)
	v_mov_b32_dpp v7, v6 row_shr:2 row_mask:0xf bank_mask:0xf
	v_cndmask_b32_e64 v7, 0, v7, s3
	s_delay_alu instid0(VALU_DEP_1) | instskip(NEXT) | instid1(VALU_DEP_1)
	v_add_nc_u32_e32 v6, v6, v7
	v_mov_b32_dpp v7, v6 row_shr:4 row_mask:0xf bank_mask:0xf
	s_delay_alu instid0(VALU_DEP_1) | instskip(NEXT) | instid1(VALU_DEP_1)
	v_cndmask_b32_e64 v7, 0, v7, s4
	v_add_nc_u32_e32 v6, v6, v7
	s_delay_alu instid0(VALU_DEP_1) | instskip(NEXT) | instid1(VALU_DEP_1)
	v_mov_b32_dpp v7, v6 row_shr:8 row_mask:0xf bank_mask:0xf
	v_cndmask_b32_e64 v7, 0, v7, s1
	s_delay_alu instid0(VALU_DEP_1) | instskip(SKIP_3) | instid1(VALU_DEP_1)
	v_add_nc_u32_e32 v6, v6, v7
	ds_swizzle_b32 v7, v6 offset:swizzle(BROADCAST,32,15)
	s_wait_dscnt 0x0
	v_cndmask_b32_e64 v7, v7, 0, s6
	v_add_nc_u32_e32 v6, v6, v7
	s_and_saveexec_b32 s7, s5
; %bb.50:
	v_lshlrev_b32_e32 v7, 2, v39
	ds_store_b32 v7, v6
; %bb.51:
	s_or_b32 exec_lo, exec_lo, s7
	s_delay_alu instid0(SALU_CYCLE_1)
	s_mov_b32 s7, exec_lo
	s_wait_dscnt 0x0
	s_barrier_signal -1
	s_barrier_wait -1
	v_cmpx_gt_u32_e32 16, v0
	s_cbranch_execz .LBB250_53
; %bb.52:
	v_lshlrev_b32_e32 v7, 2, v0
	ds_load_b32 v18, v7
	s_wait_dscnt 0x0
	v_mov_b32_dpp v19, v18 row_shr:1 row_mask:0xf bank_mask:0xf
	s_delay_alu instid0(VALU_DEP_1) | instskip(NEXT) | instid1(VALU_DEP_1)
	v_cndmask_b32_e64 v19, v19, 0, s0
	v_add_nc_u32_e32 v18, v19, v18
	s_delay_alu instid0(VALU_DEP_1) | instskip(NEXT) | instid1(VALU_DEP_1)
	v_mov_b32_dpp v19, v18 row_shr:2 row_mask:0xf bank_mask:0xf
	v_cndmask_b32_e64 v19, 0, v19, s3
	s_delay_alu instid0(VALU_DEP_1) | instskip(NEXT) | instid1(VALU_DEP_1)
	v_add_nc_u32_e32 v18, v18, v19
	v_mov_b32_dpp v19, v18 row_shr:4 row_mask:0xf bank_mask:0xf
	s_delay_alu instid0(VALU_DEP_1) | instskip(NEXT) | instid1(VALU_DEP_1)
	v_cndmask_b32_e64 v19, 0, v19, s4
	v_add_nc_u32_e32 v18, v18, v19
	s_delay_alu instid0(VALU_DEP_1) | instskip(NEXT) | instid1(VALU_DEP_1)
	v_mov_b32_dpp v19, v18 row_shr:8 row_mask:0xf bank_mask:0xf
	v_cndmask_b32_e64 v19, 0, v19, s1
	s_delay_alu instid0(VALU_DEP_1)
	v_add_nc_u32_e32 v18, v18, v19
	ds_store_b32 v7, v18
.LBB250_53:
	s_or_b32 exec_lo, exec_lo, s7
	s_delay_alu instid0(SALU_CYCLE_1)
	s_mov_b32 s8, exec_lo
	v_cmp_gt_u32_e32 vcc_lo, 32, v0
	s_wait_dscnt 0x0
	s_barrier_signal -1
	s_barrier_wait -1
                                        ; implicit-def: $vgpr41
	v_cmpx_lt_u32_e32 31, v0
	s_cbranch_execz .LBB250_55
; %bb.54:
	v_lshl_add_u32 v7, v39, 2, -4
	ds_load_b32 v41, v7
	s_wait_dscnt 0x0
	v_add_nc_u32_e32 v6, v41, v6
.LBB250_55:
	s_or_b32 exec_lo, exec_lo, s8
	v_sub_co_u32 v7, s7, v38, 1
	s_delay_alu instid0(VALU_DEP_1) | instskip(NEXT) | instid1(VALU_DEP_1)
	v_cmp_gt_i32_e64 s8, 0, v7
	v_cndmask_b32_e64 v7, v7, v38, s8
	s_delay_alu instid0(VALU_DEP_1)
	v_lshlrev_b32_e32 v7, 2, v7
	ds_bpermute_b32 v42, v7, v6
	s_and_saveexec_b32 s8, vcc_lo
	s_cbranch_execz .LBB250_75
; %bb.56:
	v_mov_b32_e32 v29, 0
	ds_load_b32 v6, v29 offset:60
	s_and_saveexec_b32 s20, s7
	s_cbranch_execz .LBB250_58
; %bb.57:
	s_add_co_i32 s21, s19, 32
	s_delay_alu instid0(SALU_CYCLE_1)
	v_dual_mov_b32 v7, 1 :: v_dual_mov_b32 v18, s21
	s_wait_dscnt 0x0
	global_store_b64 v18, v[6:7], s[16:17] scale_offset scope:SCOPE_DEV
.LBB250_58:
	s_wait_xcnt 0x0
	s_or_b32 exec_lo, exec_lo, s20
	v_xad_u32 v18, v38, -1, s19
	s_mov_b32 s21, 0
	s_mov_b32 s20, exec_lo
	s_delay_alu instid0(VALU_DEP_1) | instskip(SKIP_4) | instid1(VALU_DEP_1)
	v_add_nc_u32_e32 v28, 32, v18
	global_load_b64 v[20:21], v28, s[16:17] scale_offset scope:SCOPE_DEV
	s_wait_loadcnt 0x0
	v_and_b32_e32 v7, 0xff, v21
	s_wait_xcnt 0x0
	v_cmpx_eq_u16_e32 0, v7
	s_cbranch_execz .LBB250_62
; %bb.59:
	v_lshl_add_u64 v[28:29], v[28:29], 3, s[16:17]
.LBB250_60:                             ; =>This Inner Loop Header: Depth=1
	global_load_b64 v[20:21], v[28:29], off scope:SCOPE_DEV
	s_wait_loadcnt 0x0
	v_and_b32_e32 v7, 0xff, v21
	s_delay_alu instid0(VALU_DEP_1)
	v_cmp_ne_u16_e32 vcc_lo, 0, v7
	s_or_b32 s21, vcc_lo, s21
	s_wait_xcnt 0x0
	s_and_not1_b32 exec_lo, exec_lo, s21
	s_cbranch_execnz .LBB250_60
; %bb.61:
	s_or_b32 exec_lo, exec_lo, s21
.LBB250_62:
	s_delay_alu instid0(SALU_CYCLE_1)
	s_or_b32 exec_lo, exec_lo, s20
	v_cmp_ne_u32_e32 vcc_lo, 31, v38
	v_lshlrev_b32_e64 v44, v38, -1
	v_lshl_or_b32 v51, v38, 2, 64
	v_dual_add_nc_u32 v46, 2, v38 :: v_dual_add_nc_u32 v48, 4, v38
	v_add_co_ci_u32_e64 v7, null, 0, v38, vcc_lo
	v_dual_add_nc_u32 v50, 8, v38 :: v_dual_add_nc_u32 v52, 16, v38
	s_delay_alu instid0(VALU_DEP_2)
	v_lshlrev_b32_e32 v43, 2, v7
	v_and_b32_e32 v7, 0xff, v21
	ds_bpermute_b32 v19, v43, v20
	v_cmp_eq_u16_e32 vcc_lo, 2, v7
	v_and_or_b32 v7, vcc_lo, v44, 0x80000000
	v_cmp_gt_u32_e32 vcc_lo, 30, v38
	s_delay_alu instid0(VALU_DEP_2) | instskip(SKIP_1) | instid1(VALU_DEP_2)
	v_ctz_i32_b32_e32 v7, v7
	v_cndmask_b32_e64 v28, 0, 2, vcc_lo
	v_cmp_lt_u32_e32 vcc_lo, v38, v7
	s_delay_alu instid0(VALU_DEP_2) | instskip(SKIP_3) | instid1(VALU_DEP_2)
	v_add_lshl_u32 v45, v28, v38, 2
	s_wait_dscnt 0x0
	v_cndmask_b32_e32 v19, 0, v19, vcc_lo
	v_cmp_gt_u32_e32 vcc_lo, 28, v38
	v_add_nc_u32_e32 v19, v19, v20
	v_cndmask_b32_e64 v28, 0, 4, vcc_lo
	v_cmp_le_u32_e32 vcc_lo, v46, v7
	ds_bpermute_b32 v20, v45, v19
	v_add_lshl_u32 v47, v28, v38, 2
	s_wait_dscnt 0x0
	v_cndmask_b32_e32 v20, 0, v20, vcc_lo
	v_cmp_gt_u32_e32 vcc_lo, 24, v38
	v_cndmask_b32_e64 v28, 0, 8, vcc_lo
	v_cmp_le_u32_e32 vcc_lo, v48, v7
	s_delay_alu instid0(VALU_DEP_4) | instskip(NEXT) | instid1(VALU_DEP_3)
	v_add_nc_u32_e32 v19, v19, v20
	v_add_lshl_u32 v49, v28, v38, 2
	ds_bpermute_b32 v20, v47, v19
	s_wait_dscnt 0x0
	v_cndmask_b32_e32 v20, 0, v20, vcc_lo
	v_cmp_le_u32_e32 vcc_lo, v50, v7
	s_delay_alu instid0(VALU_DEP_2) | instskip(SKIP_4) | instid1(VALU_DEP_2)
	v_add_nc_u32_e32 v19, v19, v20
	ds_bpermute_b32 v20, v49, v19
	s_wait_dscnt 0x0
	v_cndmask_b32_e32 v20, 0, v20, vcc_lo
	v_cmp_le_u32_e32 vcc_lo, v52, v7
	v_add_nc_u32_e32 v19, v19, v20
	ds_bpermute_b32 v20, v51, v19
	s_wait_dscnt 0x0
	v_cndmask_b32_e32 v7, 0, v20, vcc_lo
	s_delay_alu instid0(VALU_DEP_1)
	v_dual_mov_b32 v19, 0 :: v_dual_add_nc_u32 v20, v19, v7
	s_branch .LBB250_65
.LBB250_63:                             ;   in Loop: Header=BB250_65 Depth=1
	s_or_b32 exec_lo, exec_lo, s20
	v_and_b32_e32 v28, 0xff, v21
	ds_bpermute_b32 v29, v43, v20
	v_subrev_nc_u32_e32 v18, 32, v18
	s_mov_b32 s20, 0
	v_cmp_eq_u16_e32 vcc_lo, 2, v28
	v_and_or_b32 v28, vcc_lo, v44, 0x80000000
	s_delay_alu instid0(VALU_DEP_1) | instskip(NEXT) | instid1(VALU_DEP_1)
	v_ctz_i32_b32_e32 v28, v28
	v_cmp_lt_u32_e32 vcc_lo, v38, v28
	s_wait_dscnt 0x0
	v_cndmask_b32_e32 v29, 0, v29, vcc_lo
	v_cmp_le_u32_e32 vcc_lo, v46, v28
	s_delay_alu instid0(VALU_DEP_2) | instskip(SKIP_4) | instid1(VALU_DEP_2)
	v_add_nc_u32_e32 v20, v29, v20
	ds_bpermute_b32 v29, v45, v20
	s_wait_dscnt 0x0
	v_cndmask_b32_e32 v29, 0, v29, vcc_lo
	v_cmp_le_u32_e32 vcc_lo, v48, v28
	v_add_nc_u32_e32 v20, v20, v29
	ds_bpermute_b32 v29, v47, v20
	s_wait_dscnt 0x0
	v_cndmask_b32_e32 v29, 0, v29, vcc_lo
	v_cmp_le_u32_e32 vcc_lo, v50, v28
	s_delay_alu instid0(VALU_DEP_2) | instskip(SKIP_4) | instid1(VALU_DEP_2)
	v_add_nc_u32_e32 v20, v20, v29
	ds_bpermute_b32 v29, v49, v20
	s_wait_dscnt 0x0
	v_cndmask_b32_e32 v29, 0, v29, vcc_lo
	v_cmp_le_u32_e32 vcc_lo, v52, v28
	v_add_nc_u32_e32 v20, v20, v29
	ds_bpermute_b32 v29, v51, v20
	s_wait_dscnt 0x0
	v_cndmask_b32_e32 v28, 0, v29, vcc_lo
	s_delay_alu instid0(VALU_DEP_1)
	v_add3_u32 v20, v28, v7, v20
.LBB250_64:                             ;   in Loop: Header=BB250_65 Depth=1
	s_and_b32 vcc_lo, exec_lo, s20
	s_cbranch_vccnz .LBB250_71
.LBB250_65:                             ; =>This Loop Header: Depth=1
                                        ;     Child Loop BB250_68 Depth 2
	v_and_b32_e32 v7, 0xff, v21
	s_mov_b32 s20, -1
                                        ; implicit-def: $vgpr21
	s_delay_alu instid0(VALU_DEP_1)
	v_cmp_ne_u16_e32 vcc_lo, 2, v7
	v_mov_b32_e32 v7, v20
                                        ; implicit-def: $vgpr20
	s_cmp_lg_u32 vcc_lo, exec_lo
	s_cbranch_scc1 .LBB250_64
; %bb.66:                               ;   in Loop: Header=BB250_65 Depth=1
	global_load_b64 v[20:21], v18, s[16:17] scale_offset scope:SCOPE_DEV
	s_mov_b32 s20, exec_lo
	s_wait_loadcnt 0x0
	v_and_b32_e32 v28, 0xff, v21
	s_wait_xcnt 0x0
	s_delay_alu instid0(VALU_DEP_1)
	v_cmpx_eq_u16_e32 0, v28
	s_cbranch_execz .LBB250_63
; %bb.67:                               ;   in Loop: Header=BB250_65 Depth=1
	v_lshl_add_u64 v[28:29], v[18:19], 3, s[16:17]
	s_mov_b32 s21, 0
.LBB250_68:                             ;   Parent Loop BB250_65 Depth=1
                                        ; =>  This Inner Loop Header: Depth=2
	global_load_b64 v[20:21], v[28:29], off scope:SCOPE_DEV
	s_wait_loadcnt 0x0
	v_and_b32_e32 v53, 0xff, v21
	s_delay_alu instid0(VALU_DEP_1)
	v_cmp_ne_u16_e32 vcc_lo, 0, v53
	s_or_b32 s21, vcc_lo, s21
	s_wait_xcnt 0x0
	s_and_not1_b32 exec_lo, exec_lo, s21
	s_cbranch_execnz .LBB250_68
; %bb.69:                               ;   in Loop: Header=BB250_65 Depth=1
	s_or_b32 exec_lo, exec_lo, s21
	s_branch .LBB250_63
.LBB250_70:
                                        ; implicit-def: $vgpr18
                                        ; implicit-def: $vgpr6
                                        ; implicit-def: $vgpr19
                                        ; implicit-def: $vgpr20
                                        ; implicit-def: $vgpr21
                                        ; implicit-def: $vgpr28
                                        ; implicit-def: $vgpr29
                                        ; implicit-def: $vgpr41
                                        ; implicit-def: $vgpr42
	s_and_b32 vcc_lo, exec_lo, s7
	s_cbranch_vccnz .LBB250_76
	s_branch .LBB250_85
.LBB250_71:
	s_and_saveexec_b32 s20, s7
	s_cbranch_execz .LBB250_73
; %bb.72:
	s_add_co_i32 s19, s19, 32
	v_dual_mov_b32 v19, 2 :: v_dual_add_nc_u32 v18, v7, v6
	v_dual_mov_b32 v20, s19 :: v_dual_mov_b32 v21, 0
	global_store_b64 v20, v[18:19], s[16:17] scale_offset scope:SCOPE_DEV
	ds_store_b64 v21, v[6:7] offset:28672
.LBB250_73:
	s_wait_xcnt 0x0
	s_or_b32 exec_lo, exec_lo, s20
	s_delay_alu instid0(SALU_CYCLE_1)
	s_and_b32 exec_lo, exec_lo, s2
; %bb.74:
	v_mov_b32_e32 v6, 0
	ds_store_b32 v6, v7 offset:60
.LBB250_75:
	s_or_b32 exec_lo, exec_lo, s8
	s_wait_dscnt 0x0
	v_dual_mov_b32 v6, 0 :: v_dual_cndmask_b32 v18, v42, v41, s7
	s_wait_storecnt 0x0
	s_barrier_signal -1
	s_barrier_wait -1
	ds_load_b32 v7, v6 offset:60
	v_cndmask_b32_e64 v18, v18, 0, s2
	s_wait_dscnt 0x0
	s_barrier_signal -1
	s_barrier_wait -1
	s_delay_alu instid0(VALU_DEP_1) | instskip(SKIP_2) | instid1(VALU_DEP_1)
	v_add_nc_u32_e32 v42, v7, v18
	ds_load_b64 v[6:7], v6 offset:28672
	v_add_nc_u32_e32 v41, v42, v27
	v_add_nc_u32_e32 v29, v41, v33
	s_delay_alu instid0(VALU_DEP_1) | instskip(SKIP_1) | instid1(VALU_DEP_1)
	v_add_nc_u32_e32 v28, v29, v34
	s_wait_dscnt 0x0
	v_dual_mov_b32 v18, v7 :: v_dual_add_nc_u32 v21, v28, v35
	s_delay_alu instid0(VALU_DEP_1) | instskip(NEXT) | instid1(VALU_DEP_1)
	v_add_nc_u32_e32 v20, v21, v36
	v_add_nc_u32_e32 v19, v20, v37
	s_branch .LBB250_85
.LBB250_76:
	v_mov_b32_dpp v6, v40 row_shr:1 row_mask:0xf bank_mask:0xf
	s_delay_alu instid0(VALU_DEP_1) | instskip(NEXT) | instid1(VALU_DEP_1)
	v_cndmask_b32_e64 v6, v6, 0, s0
	v_add_nc_u32_e32 v6, v6, v40
	s_delay_alu instid0(VALU_DEP_1) | instskip(NEXT) | instid1(VALU_DEP_1)
	v_mov_b32_dpp v7, v6 row_shr:2 row_mask:0xf bank_mask:0xf
	v_cndmask_b32_e64 v7, 0, v7, s3
	s_delay_alu instid0(VALU_DEP_1) | instskip(NEXT) | instid1(VALU_DEP_1)
	v_add_nc_u32_e32 v6, v6, v7
	v_mov_b32_dpp v7, v6 row_shr:4 row_mask:0xf bank_mask:0xf
	s_delay_alu instid0(VALU_DEP_1) | instskip(NEXT) | instid1(VALU_DEP_1)
	v_cndmask_b32_e64 v7, 0, v7, s4
	v_add_nc_u32_e32 v6, v6, v7
	s_delay_alu instid0(VALU_DEP_1) | instskip(NEXT) | instid1(VALU_DEP_1)
	v_mov_b32_dpp v7, v6 row_shr:8 row_mask:0xf bank_mask:0xf
	v_cndmask_b32_e64 v7, 0, v7, s1
	s_delay_alu instid0(VALU_DEP_1) | instskip(SKIP_3) | instid1(VALU_DEP_1)
	v_add_nc_u32_e32 v6, v6, v7
	ds_swizzle_b32 v7, v6 offset:swizzle(BROADCAST,32,15)
	s_wait_dscnt 0x0
	v_cndmask_b32_e64 v7, v7, 0, s6
	v_add_nc_u32_e32 v6, v6, v7
	s_and_saveexec_b32 s6, s5
; %bb.77:
	v_lshlrev_b32_e32 v7, 2, v39
	ds_store_b32 v7, v6
; %bb.78:
	s_or_b32 exec_lo, exec_lo, s6
	s_delay_alu instid0(SALU_CYCLE_1)
	s_mov_b32 s5, exec_lo
	s_wait_dscnt 0x0
	s_barrier_signal -1
	s_barrier_wait -1
	v_cmpx_gt_u32_e32 16, v0
	s_cbranch_execz .LBB250_80
; %bb.79:
	v_mad_i32_i24 v7, 0xffffffcc, v0, v30
	ds_load_b32 v18, v7
	s_wait_dscnt 0x0
	v_mov_b32_dpp v19, v18 row_shr:1 row_mask:0xf bank_mask:0xf
	s_delay_alu instid0(VALU_DEP_1) | instskip(NEXT) | instid1(VALU_DEP_1)
	v_cndmask_b32_e64 v19, v19, 0, s0
	v_add_nc_u32_e32 v18, v19, v18
	s_delay_alu instid0(VALU_DEP_1) | instskip(NEXT) | instid1(VALU_DEP_1)
	v_mov_b32_dpp v19, v18 row_shr:2 row_mask:0xf bank_mask:0xf
	v_cndmask_b32_e64 v19, 0, v19, s3
	s_delay_alu instid0(VALU_DEP_1) | instskip(NEXT) | instid1(VALU_DEP_1)
	v_add_nc_u32_e32 v18, v18, v19
	v_mov_b32_dpp v19, v18 row_shr:4 row_mask:0xf bank_mask:0xf
	s_delay_alu instid0(VALU_DEP_1) | instskip(NEXT) | instid1(VALU_DEP_1)
	v_cndmask_b32_e64 v19, 0, v19, s4
	v_add_nc_u32_e32 v18, v18, v19
	s_delay_alu instid0(VALU_DEP_1) | instskip(NEXT) | instid1(VALU_DEP_1)
	v_mov_b32_dpp v19, v18 row_shr:8 row_mask:0xf bank_mask:0xf
	v_cndmask_b32_e64 v19, 0, v19, s1
	s_delay_alu instid0(VALU_DEP_1)
	v_add_nc_u32_e32 v18, v18, v19
	ds_store_b32 v7, v18
.LBB250_80:
	s_or_b32 exec_lo, exec_lo, s5
	v_dual_mov_b32 v7, 0 :: v_dual_mov_b32 v18, 0
	s_mov_b32 s0, exec_lo
	s_wait_dscnt 0x0
	s_barrier_signal -1
	s_barrier_wait -1
	v_cmpx_lt_u32_e32 31, v0
; %bb.81:
	v_lshl_add_u32 v18, v39, 2, -4
	ds_load_b32 v18, v18
; %bb.82:
	s_or_b32 exec_lo, exec_lo, s0
	v_sub_co_u32 v19, vcc_lo, v38, 1
	s_delay_alu instid0(VALU_DEP_1) | instskip(NEXT) | instid1(VALU_DEP_1)
	v_cmp_gt_i32_e64 s0, 0, v19
	v_cndmask_b32_e64 v19, v19, v38, s0
	s_wait_dscnt 0x0
	s_delay_alu instid0(VALU_DEP_1)
	v_dual_add_nc_u32 v6, v18, v6 :: v_dual_lshlrev_b32 v19, 2, v19
	ds_bpermute_b32 v19, v19, v6
	ds_load_b32 v6, v7 offset:60
	s_and_saveexec_b32 s0, s2
	s_cbranch_execz .LBB250_84
; %bb.83:
	v_dual_mov_b32 v20, 0 :: v_dual_mov_b32 v7, 2
	s_wait_dscnt 0x0
	global_store_b64 v20, v[6:7], s[16:17] offset:256 scope:SCOPE_DEV
.LBB250_84:
	s_wait_xcnt 0x0
	s_or_b32 exec_lo, exec_lo, s0
	s_wait_dscnt 0x1
	v_cndmask_b32_e32 v7, v19, v18, vcc_lo
	s_wait_storecnt_dscnt 0x0
	s_barrier_signal -1
	s_barrier_wait -1
	s_delay_alu instid0(VALU_DEP_1) | instskip(NEXT) | instid1(VALU_DEP_1)
	v_cndmask_b32_e64 v42, v7, 0, s2
	v_dual_mov_b32 v18, 0 :: v_dual_add_nc_u32 v41, v42, v27
	s_delay_alu instid0(VALU_DEP_1) | instskip(NEXT) | instid1(VALU_DEP_1)
	v_add_nc_u32_e32 v29, v41, v33
	v_add_nc_u32_e32 v28, v29, v34
	s_delay_alu instid0(VALU_DEP_1) | instskip(NEXT) | instid1(VALU_DEP_1)
	v_add_nc_u32_e32 v21, v28, v35
	v_add_nc_u32_e32 v20, v21, v36
	s_delay_alu instid0(VALU_DEP_1)
	v_add_nc_u32_e32 v19, v20, v37
.LBB250_85:
	v_and_b32_e32 v7, 1, v24
	v_cmp_gt_u32_e32 vcc_lo, 0x201, v6
	s_mov_b32 s1, -1
	s_delay_alu instid0(VALU_DEP_2)
	v_cmp_eq_u32_e64 s0, 1, v7
	s_cbranch_vccnz .LBB250_89
; %bb.86:
	s_and_b32 vcc_lo, exec_lo, s1
	s_cbranch_vccnz .LBB250_104
.LBB250_87:
	s_and_b32 s0, s2, s9
	s_delay_alu instid0(SALU_CYCLE_1)
	s_and_saveexec_b32 s1, s0
	s_cbranch_execnz .LBB250_121
.LBB250_88:
	s_endpgm
.LBB250_89:
	v_add_nc_u32_e32 v24, v18, v6
	s_delay_alu instid0(VALU_DEP_1) | instskip(SKIP_1) | instid1(SALU_CYCLE_1)
	v_cmp_lt_u32_e32 vcc_lo, v42, v24
	s_or_b32 s1, s18, vcc_lo
	s_and_b32 s1, s1, s0
	s_delay_alu instid0(SALU_CYCLE_1)
	s_and_saveexec_b32 s0, s1
	s_cbranch_execz .LBB250_91
; %bb.90:
	s_lshl_b64 s[4:5], s[14:15], 3
	s_delay_alu instid0(SALU_CYCLE_1)
	s_add_nc_u64 s[4:5], s[10:11], s[4:5]
	global_store_b64 v42, v[14:15], s[4:5] scale_offset
.LBB250_91:
	s_wait_xcnt 0x0
	s_or_b32 exec_lo, exec_lo, s0
	v_and_b32_e32 v27, 1, v32
	v_cmp_lt_u32_e32 vcc_lo, v41, v24
	s_delay_alu instid0(VALU_DEP_2) | instskip(SKIP_1) | instid1(SALU_CYCLE_1)
	v_cmp_eq_u32_e64 s0, 1, v27
	s_or_b32 s1, s18, vcc_lo
	s_and_b32 s1, s1, s0
	s_delay_alu instid0(SALU_CYCLE_1)
	s_and_saveexec_b32 s0, s1
	s_cbranch_execz .LBB250_93
; %bb.92:
	s_lshl_b64 s[4:5], s[14:15], 3
	s_delay_alu instid0(SALU_CYCLE_1)
	s_add_nc_u64 s[4:5], s[10:11], s[4:5]
	global_store_b64 v41, v[16:17], s[4:5] scale_offset
.LBB250_93:
	s_wait_xcnt 0x0
	s_or_b32 exec_lo, exec_lo, s0
	v_and_b32_e32 v27, 1, v31
	v_cmp_lt_u32_e32 vcc_lo, v29, v24
	s_delay_alu instid0(VALU_DEP_2) | instskip(SKIP_1) | instid1(SALU_CYCLE_1)
	v_cmp_eq_u32_e64 s0, 1, v27
	;; [unrolled: 17-line block ×6, first 2 shown]
	s_or_b32 s1, s18, vcc_lo
	s_and_b32 s1, s1, s0
	s_delay_alu instid0(SALU_CYCLE_1)
	s_and_saveexec_b32 s0, s1
	s_cbranch_execz .LBB250_103
; %bb.102:
	s_lshl_b64 s[4:5], s[14:15], 3
	s_delay_alu instid0(SALU_CYCLE_1)
	s_add_nc_u64 s[4:5], s[10:11], s[4:5]
	global_store_b64 v19, v[4:5], s[4:5] scale_offset
.LBB250_103:
	s_wait_xcnt 0x0
	s_or_b32 exec_lo, exec_lo, s0
	s_branch .LBB250_87
.LBB250_104:
	s_mov_b32 s0, exec_lo
	v_cmpx_eq_u32_e32 1, v7
; %bb.105:
	v_sub_nc_u32_e32 v7, v42, v18
	s_delay_alu instid0(VALU_DEP_1)
	v_lshlrev_b32_e32 v7, 3, v7
	ds_store_b64 v7, v[14:15]
; %bb.106:
	s_or_b32 exec_lo, exec_lo, s0
	v_and_b32_e32 v7, 1, v32
	s_mov_b32 s0, exec_lo
	s_delay_alu instid0(VALU_DEP_1)
	v_cmpx_eq_u32_e32 1, v7
; %bb.107:
	v_sub_nc_u32_e32 v7, v41, v18
	s_delay_alu instid0(VALU_DEP_1)
	v_lshlrev_b32_e32 v7, 3, v7
	ds_store_b64 v7, v[16:17]
; %bb.108:
	s_or_b32 exec_lo, exec_lo, s0
	v_and_b32_e32 v7, 1, v31
	s_mov_b32 s0, exec_lo
	s_delay_alu instid0(VALU_DEP_1)
	v_cmpx_eq_u32_e32 1, v7
; %bb.109:
	v_sub_nc_u32_e32 v7, v29, v18
	s_delay_alu instid0(VALU_DEP_1)
	v_lshlrev_b32_e32 v7, 3, v7
	ds_store_b64 v7, v[10:11]
; %bb.110:
	s_or_b32 exec_lo, exec_lo, s0
	v_and_b32_e32 v7, 1, v26
	s_mov_b32 s0, exec_lo
	s_delay_alu instid0(VALU_DEP_1)
	v_cmpx_eq_u32_e32 1, v7
; %bb.111:
	v_sub_nc_u32_e32 v7, v28, v18
	s_delay_alu instid0(VALU_DEP_1)
	v_lshlrev_b32_e32 v7, 3, v7
	ds_store_b64 v7, v[12:13]
; %bb.112:
	s_or_b32 exec_lo, exec_lo, s0
	v_and_b32_e32 v7, 1, v25
	s_mov_b32 s0, exec_lo
	s_delay_alu instid0(VALU_DEP_1)
	v_cmpx_eq_u32_e32 1, v7
; %bb.113:
	v_sub_nc_u32_e32 v7, v21, v18
	s_delay_alu instid0(VALU_DEP_1)
	v_lshlrev_b32_e32 v7, 3, v7
	ds_store_b64 v7, v[8:9]
; %bb.114:
	s_or_b32 exec_lo, exec_lo, s0
	v_and_b32_e32 v7, 1, v23
	s_mov_b32 s0, exec_lo
	s_delay_alu instid0(VALU_DEP_1)
	v_cmpx_eq_u32_e32 1, v7
; %bb.115:
	v_sub_nc_u32_e32 v7, v20, v18
	s_delay_alu instid0(VALU_DEP_1)
	v_lshlrev_b32_e32 v7, 3, v7
	ds_store_b64 v7, v[2:3]
; %bb.116:
	s_or_b32 exec_lo, exec_lo, s0
	v_and_b32_e32 v1, 1, v1
	s_mov_b32 s0, exec_lo
	s_delay_alu instid0(VALU_DEP_1)
	v_cmpx_eq_u32_e32 1, v1
; %bb.117:
	v_sub_nc_u32_e32 v1, v19, v18
	s_delay_alu instid0(VALU_DEP_1)
	v_lshlrev_b32_e32 v1, 3, v1
	ds_store_b64 v1, v[4:5]
; %bb.118:
	s_or_b32 exec_lo, exec_lo, s0
	v_mov_b32_e32 v19, 0
	s_lshl_b64 s[0:1], s[14:15], 3
	s_wait_storecnt_dscnt 0x0
	s_barrier_signal -1
	s_barrier_wait -1
	v_lshlrev_b64_e32 v[2:3], 3, v[18:19]
	v_mov_b32_e32 v23, v19
	s_delay_alu instid0(VALU_DEP_2) | instskip(SKIP_1) | instid1(VALU_DEP_1)
	v_add_nc_u64_e32 v[2:3], s[0:1], v[2:3]
	s_mov_b32 s0, 0
	v_add_nc_u64_e32 v[2:3], s[10:11], v[2:3]
	s_delay_alu instid0(VALU_DEP_1)
	v_add_nc_u64_e32 v[2:3], v[2:3], v[22:23]
.LBB250_119:                            ; =>This Inner Loop Header: Depth=1
	ds_load_b64 v[4:5], v22
	v_add_nc_u32_e32 v0, 0x200, v0
	v_add_nc_u32_e32 v22, 0x1000, v22
	s_delay_alu instid0(VALU_DEP_2)
	v_cmp_ge_u32_e32 vcc_lo, v0, v6
	s_or_b32 s0, vcc_lo, s0
	s_wait_dscnt 0x0
	global_store_b64 v[2:3], v[4:5], off
	s_wait_xcnt 0x0
	v_add_nc_u64_e32 v[2:3], 0x1000, v[2:3]
	s_and_not1_b32 exec_lo, exec_lo, s0
	s_cbranch_execnz .LBB250_119
; %bb.120:
	s_or_b32 exec_lo, exec_lo, s0
	s_and_b32 s0, s2, s9
	s_delay_alu instid0(SALU_CYCLE_1)
	s_and_saveexec_b32 s1, s0
	s_cbranch_execz .LBB250_88
.LBB250_121:
	v_mov_b32_e32 v7, 0
	s_delay_alu instid0(VALU_DEP_1) | instskip(SKIP_1) | instid1(VALU_DEP_1)
	v_add_nc_u64_e32 v[0:1], s[14:15], v[6:7]
	v_mov_b32_e32 v19, v7
	v_add_nc_u64_e32 v[0:1], v[0:1], v[18:19]
	global_store_b64 v7, v[0:1], s[12:13]
	s_endpgm
	.section	.rodata,"a",@progbits
	.p2align	6, 0x0
	.amdhsa_kernel _ZN7rocprim17ROCPRIM_400000_NS6detail17trampoline_kernelINS0_14default_configENS1_25partition_config_selectorILNS1_17partition_subalgoE8ElNS0_10empty_typeEbEEZZNS1_14partition_implILS5_8ELb0ES3_jPKlPS6_PKS6_NS0_5tupleIJPlS6_EEENSE_IJSB_SB_EEENS0_18inequality_wrapperIN6hipcub16HIPCUB_304000_NS8EqualityEEESF_JS6_EEE10hipError_tPvRmT3_T4_T5_T6_T7_T9_mT8_P12ihipStream_tbDpT10_ENKUlT_T0_E_clISt17integral_constantIbLb0EES15_IbLb1EEEEDaS11_S12_EUlS11_E_NS1_11comp_targetILNS1_3genE0ELNS1_11target_archE4294967295ELNS1_3gpuE0ELNS1_3repE0EEENS1_30default_config_static_selectorELNS0_4arch9wavefront6targetE0EEEvT1_
		.amdhsa_group_segment_fixed_size 28680
		.amdhsa_private_segment_fixed_size 0
		.amdhsa_kernarg_size 128
		.amdhsa_user_sgpr_count 2
		.amdhsa_user_sgpr_dispatch_ptr 0
		.amdhsa_user_sgpr_queue_ptr 0
		.amdhsa_user_sgpr_kernarg_segment_ptr 1
		.amdhsa_user_sgpr_dispatch_id 0
		.amdhsa_user_sgpr_kernarg_preload_length 0
		.amdhsa_user_sgpr_kernarg_preload_offset 0
		.amdhsa_user_sgpr_private_segment_size 0
		.amdhsa_wavefront_size32 1
		.amdhsa_uses_dynamic_stack 0
		.amdhsa_enable_private_segment 0
		.amdhsa_system_sgpr_workgroup_id_x 1
		.amdhsa_system_sgpr_workgroup_id_y 0
		.amdhsa_system_sgpr_workgroup_id_z 0
		.amdhsa_system_sgpr_workgroup_info 0
		.amdhsa_system_vgpr_workitem_id 0
		.amdhsa_next_free_vgpr 54
		.amdhsa_next_free_sgpr 23
		.amdhsa_named_barrier_count 0
		.amdhsa_reserve_vcc 1
		.amdhsa_float_round_mode_32 0
		.amdhsa_float_round_mode_16_64 0
		.amdhsa_float_denorm_mode_32 3
		.amdhsa_float_denorm_mode_16_64 3
		.amdhsa_fp16_overflow 0
		.amdhsa_memory_ordered 1
		.amdhsa_forward_progress 1
		.amdhsa_inst_pref_size 47
		.amdhsa_round_robin_scheduling 0
		.amdhsa_exception_fp_ieee_invalid_op 0
		.amdhsa_exception_fp_denorm_src 0
		.amdhsa_exception_fp_ieee_div_zero 0
		.amdhsa_exception_fp_ieee_overflow 0
		.amdhsa_exception_fp_ieee_underflow 0
		.amdhsa_exception_fp_ieee_inexact 0
		.amdhsa_exception_int_div_zero 0
	.end_amdhsa_kernel
	.section	.text._ZN7rocprim17ROCPRIM_400000_NS6detail17trampoline_kernelINS0_14default_configENS1_25partition_config_selectorILNS1_17partition_subalgoE8ElNS0_10empty_typeEbEEZZNS1_14partition_implILS5_8ELb0ES3_jPKlPS6_PKS6_NS0_5tupleIJPlS6_EEENSE_IJSB_SB_EEENS0_18inequality_wrapperIN6hipcub16HIPCUB_304000_NS8EqualityEEESF_JS6_EEE10hipError_tPvRmT3_T4_T5_T6_T7_T9_mT8_P12ihipStream_tbDpT10_ENKUlT_T0_E_clISt17integral_constantIbLb0EES15_IbLb1EEEEDaS11_S12_EUlS11_E_NS1_11comp_targetILNS1_3genE0ELNS1_11target_archE4294967295ELNS1_3gpuE0ELNS1_3repE0EEENS1_30default_config_static_selectorELNS0_4arch9wavefront6targetE0EEEvT1_,"axG",@progbits,_ZN7rocprim17ROCPRIM_400000_NS6detail17trampoline_kernelINS0_14default_configENS1_25partition_config_selectorILNS1_17partition_subalgoE8ElNS0_10empty_typeEbEEZZNS1_14partition_implILS5_8ELb0ES3_jPKlPS6_PKS6_NS0_5tupleIJPlS6_EEENSE_IJSB_SB_EEENS0_18inequality_wrapperIN6hipcub16HIPCUB_304000_NS8EqualityEEESF_JS6_EEE10hipError_tPvRmT3_T4_T5_T6_T7_T9_mT8_P12ihipStream_tbDpT10_ENKUlT_T0_E_clISt17integral_constantIbLb0EES15_IbLb1EEEEDaS11_S12_EUlS11_E_NS1_11comp_targetILNS1_3genE0ELNS1_11target_archE4294967295ELNS1_3gpuE0ELNS1_3repE0EEENS1_30default_config_static_selectorELNS0_4arch9wavefront6targetE0EEEvT1_,comdat
.Lfunc_end250:
	.size	_ZN7rocprim17ROCPRIM_400000_NS6detail17trampoline_kernelINS0_14default_configENS1_25partition_config_selectorILNS1_17partition_subalgoE8ElNS0_10empty_typeEbEEZZNS1_14partition_implILS5_8ELb0ES3_jPKlPS6_PKS6_NS0_5tupleIJPlS6_EEENSE_IJSB_SB_EEENS0_18inequality_wrapperIN6hipcub16HIPCUB_304000_NS8EqualityEEESF_JS6_EEE10hipError_tPvRmT3_T4_T5_T6_T7_T9_mT8_P12ihipStream_tbDpT10_ENKUlT_T0_E_clISt17integral_constantIbLb0EES15_IbLb1EEEEDaS11_S12_EUlS11_E_NS1_11comp_targetILNS1_3genE0ELNS1_11target_archE4294967295ELNS1_3gpuE0ELNS1_3repE0EEENS1_30default_config_static_selectorELNS0_4arch9wavefront6targetE0EEEvT1_, .Lfunc_end250-_ZN7rocprim17ROCPRIM_400000_NS6detail17trampoline_kernelINS0_14default_configENS1_25partition_config_selectorILNS1_17partition_subalgoE8ElNS0_10empty_typeEbEEZZNS1_14partition_implILS5_8ELb0ES3_jPKlPS6_PKS6_NS0_5tupleIJPlS6_EEENSE_IJSB_SB_EEENS0_18inequality_wrapperIN6hipcub16HIPCUB_304000_NS8EqualityEEESF_JS6_EEE10hipError_tPvRmT3_T4_T5_T6_T7_T9_mT8_P12ihipStream_tbDpT10_ENKUlT_T0_E_clISt17integral_constantIbLb0EES15_IbLb1EEEEDaS11_S12_EUlS11_E_NS1_11comp_targetILNS1_3genE0ELNS1_11target_archE4294967295ELNS1_3gpuE0ELNS1_3repE0EEENS1_30default_config_static_selectorELNS0_4arch9wavefront6targetE0EEEvT1_
                                        ; -- End function
	.set _ZN7rocprim17ROCPRIM_400000_NS6detail17trampoline_kernelINS0_14default_configENS1_25partition_config_selectorILNS1_17partition_subalgoE8ElNS0_10empty_typeEbEEZZNS1_14partition_implILS5_8ELb0ES3_jPKlPS6_PKS6_NS0_5tupleIJPlS6_EEENSE_IJSB_SB_EEENS0_18inequality_wrapperIN6hipcub16HIPCUB_304000_NS8EqualityEEESF_JS6_EEE10hipError_tPvRmT3_T4_T5_T6_T7_T9_mT8_P12ihipStream_tbDpT10_ENKUlT_T0_E_clISt17integral_constantIbLb0EES15_IbLb1EEEEDaS11_S12_EUlS11_E_NS1_11comp_targetILNS1_3genE0ELNS1_11target_archE4294967295ELNS1_3gpuE0ELNS1_3repE0EEENS1_30default_config_static_selectorELNS0_4arch9wavefront6targetE0EEEvT1_.num_vgpr, 54
	.set _ZN7rocprim17ROCPRIM_400000_NS6detail17trampoline_kernelINS0_14default_configENS1_25partition_config_selectorILNS1_17partition_subalgoE8ElNS0_10empty_typeEbEEZZNS1_14partition_implILS5_8ELb0ES3_jPKlPS6_PKS6_NS0_5tupleIJPlS6_EEENSE_IJSB_SB_EEENS0_18inequality_wrapperIN6hipcub16HIPCUB_304000_NS8EqualityEEESF_JS6_EEE10hipError_tPvRmT3_T4_T5_T6_T7_T9_mT8_P12ihipStream_tbDpT10_ENKUlT_T0_E_clISt17integral_constantIbLb0EES15_IbLb1EEEEDaS11_S12_EUlS11_E_NS1_11comp_targetILNS1_3genE0ELNS1_11target_archE4294967295ELNS1_3gpuE0ELNS1_3repE0EEENS1_30default_config_static_selectorELNS0_4arch9wavefront6targetE0EEEvT1_.num_agpr, 0
	.set _ZN7rocprim17ROCPRIM_400000_NS6detail17trampoline_kernelINS0_14default_configENS1_25partition_config_selectorILNS1_17partition_subalgoE8ElNS0_10empty_typeEbEEZZNS1_14partition_implILS5_8ELb0ES3_jPKlPS6_PKS6_NS0_5tupleIJPlS6_EEENSE_IJSB_SB_EEENS0_18inequality_wrapperIN6hipcub16HIPCUB_304000_NS8EqualityEEESF_JS6_EEE10hipError_tPvRmT3_T4_T5_T6_T7_T9_mT8_P12ihipStream_tbDpT10_ENKUlT_T0_E_clISt17integral_constantIbLb0EES15_IbLb1EEEEDaS11_S12_EUlS11_E_NS1_11comp_targetILNS1_3genE0ELNS1_11target_archE4294967295ELNS1_3gpuE0ELNS1_3repE0EEENS1_30default_config_static_selectorELNS0_4arch9wavefront6targetE0EEEvT1_.numbered_sgpr, 23
	.set _ZN7rocprim17ROCPRIM_400000_NS6detail17trampoline_kernelINS0_14default_configENS1_25partition_config_selectorILNS1_17partition_subalgoE8ElNS0_10empty_typeEbEEZZNS1_14partition_implILS5_8ELb0ES3_jPKlPS6_PKS6_NS0_5tupleIJPlS6_EEENSE_IJSB_SB_EEENS0_18inequality_wrapperIN6hipcub16HIPCUB_304000_NS8EqualityEEESF_JS6_EEE10hipError_tPvRmT3_T4_T5_T6_T7_T9_mT8_P12ihipStream_tbDpT10_ENKUlT_T0_E_clISt17integral_constantIbLb0EES15_IbLb1EEEEDaS11_S12_EUlS11_E_NS1_11comp_targetILNS1_3genE0ELNS1_11target_archE4294967295ELNS1_3gpuE0ELNS1_3repE0EEENS1_30default_config_static_selectorELNS0_4arch9wavefront6targetE0EEEvT1_.num_named_barrier, 0
	.set _ZN7rocprim17ROCPRIM_400000_NS6detail17trampoline_kernelINS0_14default_configENS1_25partition_config_selectorILNS1_17partition_subalgoE8ElNS0_10empty_typeEbEEZZNS1_14partition_implILS5_8ELb0ES3_jPKlPS6_PKS6_NS0_5tupleIJPlS6_EEENSE_IJSB_SB_EEENS0_18inequality_wrapperIN6hipcub16HIPCUB_304000_NS8EqualityEEESF_JS6_EEE10hipError_tPvRmT3_T4_T5_T6_T7_T9_mT8_P12ihipStream_tbDpT10_ENKUlT_T0_E_clISt17integral_constantIbLb0EES15_IbLb1EEEEDaS11_S12_EUlS11_E_NS1_11comp_targetILNS1_3genE0ELNS1_11target_archE4294967295ELNS1_3gpuE0ELNS1_3repE0EEENS1_30default_config_static_selectorELNS0_4arch9wavefront6targetE0EEEvT1_.private_seg_size, 0
	.set _ZN7rocprim17ROCPRIM_400000_NS6detail17trampoline_kernelINS0_14default_configENS1_25partition_config_selectorILNS1_17partition_subalgoE8ElNS0_10empty_typeEbEEZZNS1_14partition_implILS5_8ELb0ES3_jPKlPS6_PKS6_NS0_5tupleIJPlS6_EEENSE_IJSB_SB_EEENS0_18inequality_wrapperIN6hipcub16HIPCUB_304000_NS8EqualityEEESF_JS6_EEE10hipError_tPvRmT3_T4_T5_T6_T7_T9_mT8_P12ihipStream_tbDpT10_ENKUlT_T0_E_clISt17integral_constantIbLb0EES15_IbLb1EEEEDaS11_S12_EUlS11_E_NS1_11comp_targetILNS1_3genE0ELNS1_11target_archE4294967295ELNS1_3gpuE0ELNS1_3repE0EEENS1_30default_config_static_selectorELNS0_4arch9wavefront6targetE0EEEvT1_.uses_vcc, 1
	.set _ZN7rocprim17ROCPRIM_400000_NS6detail17trampoline_kernelINS0_14default_configENS1_25partition_config_selectorILNS1_17partition_subalgoE8ElNS0_10empty_typeEbEEZZNS1_14partition_implILS5_8ELb0ES3_jPKlPS6_PKS6_NS0_5tupleIJPlS6_EEENSE_IJSB_SB_EEENS0_18inequality_wrapperIN6hipcub16HIPCUB_304000_NS8EqualityEEESF_JS6_EEE10hipError_tPvRmT3_T4_T5_T6_T7_T9_mT8_P12ihipStream_tbDpT10_ENKUlT_T0_E_clISt17integral_constantIbLb0EES15_IbLb1EEEEDaS11_S12_EUlS11_E_NS1_11comp_targetILNS1_3genE0ELNS1_11target_archE4294967295ELNS1_3gpuE0ELNS1_3repE0EEENS1_30default_config_static_selectorELNS0_4arch9wavefront6targetE0EEEvT1_.uses_flat_scratch, 0
	.set _ZN7rocprim17ROCPRIM_400000_NS6detail17trampoline_kernelINS0_14default_configENS1_25partition_config_selectorILNS1_17partition_subalgoE8ElNS0_10empty_typeEbEEZZNS1_14partition_implILS5_8ELb0ES3_jPKlPS6_PKS6_NS0_5tupleIJPlS6_EEENSE_IJSB_SB_EEENS0_18inequality_wrapperIN6hipcub16HIPCUB_304000_NS8EqualityEEESF_JS6_EEE10hipError_tPvRmT3_T4_T5_T6_T7_T9_mT8_P12ihipStream_tbDpT10_ENKUlT_T0_E_clISt17integral_constantIbLb0EES15_IbLb1EEEEDaS11_S12_EUlS11_E_NS1_11comp_targetILNS1_3genE0ELNS1_11target_archE4294967295ELNS1_3gpuE0ELNS1_3repE0EEENS1_30default_config_static_selectorELNS0_4arch9wavefront6targetE0EEEvT1_.has_dyn_sized_stack, 0
	.set _ZN7rocprim17ROCPRIM_400000_NS6detail17trampoline_kernelINS0_14default_configENS1_25partition_config_selectorILNS1_17partition_subalgoE8ElNS0_10empty_typeEbEEZZNS1_14partition_implILS5_8ELb0ES3_jPKlPS6_PKS6_NS0_5tupleIJPlS6_EEENSE_IJSB_SB_EEENS0_18inequality_wrapperIN6hipcub16HIPCUB_304000_NS8EqualityEEESF_JS6_EEE10hipError_tPvRmT3_T4_T5_T6_T7_T9_mT8_P12ihipStream_tbDpT10_ENKUlT_T0_E_clISt17integral_constantIbLb0EES15_IbLb1EEEEDaS11_S12_EUlS11_E_NS1_11comp_targetILNS1_3genE0ELNS1_11target_archE4294967295ELNS1_3gpuE0ELNS1_3repE0EEENS1_30default_config_static_selectorELNS0_4arch9wavefront6targetE0EEEvT1_.has_recursion, 0
	.set _ZN7rocprim17ROCPRIM_400000_NS6detail17trampoline_kernelINS0_14default_configENS1_25partition_config_selectorILNS1_17partition_subalgoE8ElNS0_10empty_typeEbEEZZNS1_14partition_implILS5_8ELb0ES3_jPKlPS6_PKS6_NS0_5tupleIJPlS6_EEENSE_IJSB_SB_EEENS0_18inequality_wrapperIN6hipcub16HIPCUB_304000_NS8EqualityEEESF_JS6_EEE10hipError_tPvRmT3_T4_T5_T6_T7_T9_mT8_P12ihipStream_tbDpT10_ENKUlT_T0_E_clISt17integral_constantIbLb0EES15_IbLb1EEEEDaS11_S12_EUlS11_E_NS1_11comp_targetILNS1_3genE0ELNS1_11target_archE4294967295ELNS1_3gpuE0ELNS1_3repE0EEENS1_30default_config_static_selectorELNS0_4arch9wavefront6targetE0EEEvT1_.has_indirect_call, 0
	.section	.AMDGPU.csdata,"",@progbits
; Kernel info:
; codeLenInByte = 5964
; TotalNumSgprs: 25
; NumVgprs: 54
; ScratchSize: 0
; MemoryBound: 0
; FloatMode: 240
; IeeeMode: 1
; LDSByteSize: 28680 bytes/workgroup (compile time only)
; SGPRBlocks: 0
; VGPRBlocks: 3
; NumSGPRsForWavesPerEU: 25
; NumVGPRsForWavesPerEU: 54
; NamedBarCnt: 0
; Occupancy: 16
; WaveLimiterHint : 1
; COMPUTE_PGM_RSRC2:SCRATCH_EN: 0
; COMPUTE_PGM_RSRC2:USER_SGPR: 2
; COMPUTE_PGM_RSRC2:TRAP_HANDLER: 0
; COMPUTE_PGM_RSRC2:TGID_X_EN: 1
; COMPUTE_PGM_RSRC2:TGID_Y_EN: 0
; COMPUTE_PGM_RSRC2:TGID_Z_EN: 0
; COMPUTE_PGM_RSRC2:TIDIG_COMP_CNT: 0
	.section	.text._ZN7rocprim17ROCPRIM_400000_NS6detail17trampoline_kernelINS0_14default_configENS1_25partition_config_selectorILNS1_17partition_subalgoE8ElNS0_10empty_typeEbEEZZNS1_14partition_implILS5_8ELb0ES3_jPKlPS6_PKS6_NS0_5tupleIJPlS6_EEENSE_IJSB_SB_EEENS0_18inequality_wrapperIN6hipcub16HIPCUB_304000_NS8EqualityEEESF_JS6_EEE10hipError_tPvRmT3_T4_T5_T6_T7_T9_mT8_P12ihipStream_tbDpT10_ENKUlT_T0_E_clISt17integral_constantIbLb0EES15_IbLb1EEEEDaS11_S12_EUlS11_E_NS1_11comp_targetILNS1_3genE5ELNS1_11target_archE942ELNS1_3gpuE9ELNS1_3repE0EEENS1_30default_config_static_selectorELNS0_4arch9wavefront6targetE0EEEvT1_,"axG",@progbits,_ZN7rocprim17ROCPRIM_400000_NS6detail17trampoline_kernelINS0_14default_configENS1_25partition_config_selectorILNS1_17partition_subalgoE8ElNS0_10empty_typeEbEEZZNS1_14partition_implILS5_8ELb0ES3_jPKlPS6_PKS6_NS0_5tupleIJPlS6_EEENSE_IJSB_SB_EEENS0_18inequality_wrapperIN6hipcub16HIPCUB_304000_NS8EqualityEEESF_JS6_EEE10hipError_tPvRmT3_T4_T5_T6_T7_T9_mT8_P12ihipStream_tbDpT10_ENKUlT_T0_E_clISt17integral_constantIbLb0EES15_IbLb1EEEEDaS11_S12_EUlS11_E_NS1_11comp_targetILNS1_3genE5ELNS1_11target_archE942ELNS1_3gpuE9ELNS1_3repE0EEENS1_30default_config_static_selectorELNS0_4arch9wavefront6targetE0EEEvT1_,comdat
	.protected	_ZN7rocprim17ROCPRIM_400000_NS6detail17trampoline_kernelINS0_14default_configENS1_25partition_config_selectorILNS1_17partition_subalgoE8ElNS0_10empty_typeEbEEZZNS1_14partition_implILS5_8ELb0ES3_jPKlPS6_PKS6_NS0_5tupleIJPlS6_EEENSE_IJSB_SB_EEENS0_18inequality_wrapperIN6hipcub16HIPCUB_304000_NS8EqualityEEESF_JS6_EEE10hipError_tPvRmT3_T4_T5_T6_T7_T9_mT8_P12ihipStream_tbDpT10_ENKUlT_T0_E_clISt17integral_constantIbLb0EES15_IbLb1EEEEDaS11_S12_EUlS11_E_NS1_11comp_targetILNS1_3genE5ELNS1_11target_archE942ELNS1_3gpuE9ELNS1_3repE0EEENS1_30default_config_static_selectorELNS0_4arch9wavefront6targetE0EEEvT1_ ; -- Begin function _ZN7rocprim17ROCPRIM_400000_NS6detail17trampoline_kernelINS0_14default_configENS1_25partition_config_selectorILNS1_17partition_subalgoE8ElNS0_10empty_typeEbEEZZNS1_14partition_implILS5_8ELb0ES3_jPKlPS6_PKS6_NS0_5tupleIJPlS6_EEENSE_IJSB_SB_EEENS0_18inequality_wrapperIN6hipcub16HIPCUB_304000_NS8EqualityEEESF_JS6_EEE10hipError_tPvRmT3_T4_T5_T6_T7_T9_mT8_P12ihipStream_tbDpT10_ENKUlT_T0_E_clISt17integral_constantIbLb0EES15_IbLb1EEEEDaS11_S12_EUlS11_E_NS1_11comp_targetILNS1_3genE5ELNS1_11target_archE942ELNS1_3gpuE9ELNS1_3repE0EEENS1_30default_config_static_selectorELNS0_4arch9wavefront6targetE0EEEvT1_
	.globl	_ZN7rocprim17ROCPRIM_400000_NS6detail17trampoline_kernelINS0_14default_configENS1_25partition_config_selectorILNS1_17partition_subalgoE8ElNS0_10empty_typeEbEEZZNS1_14partition_implILS5_8ELb0ES3_jPKlPS6_PKS6_NS0_5tupleIJPlS6_EEENSE_IJSB_SB_EEENS0_18inequality_wrapperIN6hipcub16HIPCUB_304000_NS8EqualityEEESF_JS6_EEE10hipError_tPvRmT3_T4_T5_T6_T7_T9_mT8_P12ihipStream_tbDpT10_ENKUlT_T0_E_clISt17integral_constantIbLb0EES15_IbLb1EEEEDaS11_S12_EUlS11_E_NS1_11comp_targetILNS1_3genE5ELNS1_11target_archE942ELNS1_3gpuE9ELNS1_3repE0EEENS1_30default_config_static_selectorELNS0_4arch9wavefront6targetE0EEEvT1_
	.p2align	8
	.type	_ZN7rocprim17ROCPRIM_400000_NS6detail17trampoline_kernelINS0_14default_configENS1_25partition_config_selectorILNS1_17partition_subalgoE8ElNS0_10empty_typeEbEEZZNS1_14partition_implILS5_8ELb0ES3_jPKlPS6_PKS6_NS0_5tupleIJPlS6_EEENSE_IJSB_SB_EEENS0_18inequality_wrapperIN6hipcub16HIPCUB_304000_NS8EqualityEEESF_JS6_EEE10hipError_tPvRmT3_T4_T5_T6_T7_T9_mT8_P12ihipStream_tbDpT10_ENKUlT_T0_E_clISt17integral_constantIbLb0EES15_IbLb1EEEEDaS11_S12_EUlS11_E_NS1_11comp_targetILNS1_3genE5ELNS1_11target_archE942ELNS1_3gpuE9ELNS1_3repE0EEENS1_30default_config_static_selectorELNS0_4arch9wavefront6targetE0EEEvT1_,@function
_ZN7rocprim17ROCPRIM_400000_NS6detail17trampoline_kernelINS0_14default_configENS1_25partition_config_selectorILNS1_17partition_subalgoE8ElNS0_10empty_typeEbEEZZNS1_14partition_implILS5_8ELb0ES3_jPKlPS6_PKS6_NS0_5tupleIJPlS6_EEENSE_IJSB_SB_EEENS0_18inequality_wrapperIN6hipcub16HIPCUB_304000_NS8EqualityEEESF_JS6_EEE10hipError_tPvRmT3_T4_T5_T6_T7_T9_mT8_P12ihipStream_tbDpT10_ENKUlT_T0_E_clISt17integral_constantIbLb0EES15_IbLb1EEEEDaS11_S12_EUlS11_E_NS1_11comp_targetILNS1_3genE5ELNS1_11target_archE942ELNS1_3gpuE9ELNS1_3repE0EEENS1_30default_config_static_selectorELNS0_4arch9wavefront6targetE0EEEvT1_: ; @_ZN7rocprim17ROCPRIM_400000_NS6detail17trampoline_kernelINS0_14default_configENS1_25partition_config_selectorILNS1_17partition_subalgoE8ElNS0_10empty_typeEbEEZZNS1_14partition_implILS5_8ELb0ES3_jPKlPS6_PKS6_NS0_5tupleIJPlS6_EEENSE_IJSB_SB_EEENS0_18inequality_wrapperIN6hipcub16HIPCUB_304000_NS8EqualityEEESF_JS6_EEE10hipError_tPvRmT3_T4_T5_T6_T7_T9_mT8_P12ihipStream_tbDpT10_ENKUlT_T0_E_clISt17integral_constantIbLb0EES15_IbLb1EEEEDaS11_S12_EUlS11_E_NS1_11comp_targetILNS1_3genE5ELNS1_11target_archE942ELNS1_3gpuE9ELNS1_3repE0EEENS1_30default_config_static_selectorELNS0_4arch9wavefront6targetE0EEEvT1_
; %bb.0:
	.section	.rodata,"a",@progbits
	.p2align	6, 0x0
	.amdhsa_kernel _ZN7rocprim17ROCPRIM_400000_NS6detail17trampoline_kernelINS0_14default_configENS1_25partition_config_selectorILNS1_17partition_subalgoE8ElNS0_10empty_typeEbEEZZNS1_14partition_implILS5_8ELb0ES3_jPKlPS6_PKS6_NS0_5tupleIJPlS6_EEENSE_IJSB_SB_EEENS0_18inequality_wrapperIN6hipcub16HIPCUB_304000_NS8EqualityEEESF_JS6_EEE10hipError_tPvRmT3_T4_T5_T6_T7_T9_mT8_P12ihipStream_tbDpT10_ENKUlT_T0_E_clISt17integral_constantIbLb0EES15_IbLb1EEEEDaS11_S12_EUlS11_E_NS1_11comp_targetILNS1_3genE5ELNS1_11target_archE942ELNS1_3gpuE9ELNS1_3repE0EEENS1_30default_config_static_selectorELNS0_4arch9wavefront6targetE0EEEvT1_
		.amdhsa_group_segment_fixed_size 0
		.amdhsa_private_segment_fixed_size 0
		.amdhsa_kernarg_size 128
		.amdhsa_user_sgpr_count 2
		.amdhsa_user_sgpr_dispatch_ptr 0
		.amdhsa_user_sgpr_queue_ptr 0
		.amdhsa_user_sgpr_kernarg_segment_ptr 1
		.amdhsa_user_sgpr_dispatch_id 0
		.amdhsa_user_sgpr_kernarg_preload_length 0
		.amdhsa_user_sgpr_kernarg_preload_offset 0
		.amdhsa_user_sgpr_private_segment_size 0
		.amdhsa_wavefront_size32 1
		.amdhsa_uses_dynamic_stack 0
		.amdhsa_enable_private_segment 0
		.amdhsa_system_sgpr_workgroup_id_x 1
		.amdhsa_system_sgpr_workgroup_id_y 0
		.amdhsa_system_sgpr_workgroup_id_z 0
		.amdhsa_system_sgpr_workgroup_info 0
		.amdhsa_system_vgpr_workitem_id 0
		.amdhsa_next_free_vgpr 1
		.amdhsa_next_free_sgpr 1
		.amdhsa_named_barrier_count 0
		.amdhsa_reserve_vcc 0
		.amdhsa_float_round_mode_32 0
		.amdhsa_float_round_mode_16_64 0
		.amdhsa_float_denorm_mode_32 3
		.amdhsa_float_denorm_mode_16_64 3
		.amdhsa_fp16_overflow 0
		.amdhsa_memory_ordered 1
		.amdhsa_forward_progress 1
		.amdhsa_inst_pref_size 0
		.amdhsa_round_robin_scheduling 0
		.amdhsa_exception_fp_ieee_invalid_op 0
		.amdhsa_exception_fp_denorm_src 0
		.amdhsa_exception_fp_ieee_div_zero 0
		.amdhsa_exception_fp_ieee_overflow 0
		.amdhsa_exception_fp_ieee_underflow 0
		.amdhsa_exception_fp_ieee_inexact 0
		.amdhsa_exception_int_div_zero 0
	.end_amdhsa_kernel
	.section	.text._ZN7rocprim17ROCPRIM_400000_NS6detail17trampoline_kernelINS0_14default_configENS1_25partition_config_selectorILNS1_17partition_subalgoE8ElNS0_10empty_typeEbEEZZNS1_14partition_implILS5_8ELb0ES3_jPKlPS6_PKS6_NS0_5tupleIJPlS6_EEENSE_IJSB_SB_EEENS0_18inequality_wrapperIN6hipcub16HIPCUB_304000_NS8EqualityEEESF_JS6_EEE10hipError_tPvRmT3_T4_T5_T6_T7_T9_mT8_P12ihipStream_tbDpT10_ENKUlT_T0_E_clISt17integral_constantIbLb0EES15_IbLb1EEEEDaS11_S12_EUlS11_E_NS1_11comp_targetILNS1_3genE5ELNS1_11target_archE942ELNS1_3gpuE9ELNS1_3repE0EEENS1_30default_config_static_selectorELNS0_4arch9wavefront6targetE0EEEvT1_,"axG",@progbits,_ZN7rocprim17ROCPRIM_400000_NS6detail17trampoline_kernelINS0_14default_configENS1_25partition_config_selectorILNS1_17partition_subalgoE8ElNS0_10empty_typeEbEEZZNS1_14partition_implILS5_8ELb0ES3_jPKlPS6_PKS6_NS0_5tupleIJPlS6_EEENSE_IJSB_SB_EEENS0_18inequality_wrapperIN6hipcub16HIPCUB_304000_NS8EqualityEEESF_JS6_EEE10hipError_tPvRmT3_T4_T5_T6_T7_T9_mT8_P12ihipStream_tbDpT10_ENKUlT_T0_E_clISt17integral_constantIbLb0EES15_IbLb1EEEEDaS11_S12_EUlS11_E_NS1_11comp_targetILNS1_3genE5ELNS1_11target_archE942ELNS1_3gpuE9ELNS1_3repE0EEENS1_30default_config_static_selectorELNS0_4arch9wavefront6targetE0EEEvT1_,comdat
.Lfunc_end251:
	.size	_ZN7rocprim17ROCPRIM_400000_NS6detail17trampoline_kernelINS0_14default_configENS1_25partition_config_selectorILNS1_17partition_subalgoE8ElNS0_10empty_typeEbEEZZNS1_14partition_implILS5_8ELb0ES3_jPKlPS6_PKS6_NS0_5tupleIJPlS6_EEENSE_IJSB_SB_EEENS0_18inequality_wrapperIN6hipcub16HIPCUB_304000_NS8EqualityEEESF_JS6_EEE10hipError_tPvRmT3_T4_T5_T6_T7_T9_mT8_P12ihipStream_tbDpT10_ENKUlT_T0_E_clISt17integral_constantIbLb0EES15_IbLb1EEEEDaS11_S12_EUlS11_E_NS1_11comp_targetILNS1_3genE5ELNS1_11target_archE942ELNS1_3gpuE9ELNS1_3repE0EEENS1_30default_config_static_selectorELNS0_4arch9wavefront6targetE0EEEvT1_, .Lfunc_end251-_ZN7rocprim17ROCPRIM_400000_NS6detail17trampoline_kernelINS0_14default_configENS1_25partition_config_selectorILNS1_17partition_subalgoE8ElNS0_10empty_typeEbEEZZNS1_14partition_implILS5_8ELb0ES3_jPKlPS6_PKS6_NS0_5tupleIJPlS6_EEENSE_IJSB_SB_EEENS0_18inequality_wrapperIN6hipcub16HIPCUB_304000_NS8EqualityEEESF_JS6_EEE10hipError_tPvRmT3_T4_T5_T6_T7_T9_mT8_P12ihipStream_tbDpT10_ENKUlT_T0_E_clISt17integral_constantIbLb0EES15_IbLb1EEEEDaS11_S12_EUlS11_E_NS1_11comp_targetILNS1_3genE5ELNS1_11target_archE942ELNS1_3gpuE9ELNS1_3repE0EEENS1_30default_config_static_selectorELNS0_4arch9wavefront6targetE0EEEvT1_
                                        ; -- End function
	.set _ZN7rocprim17ROCPRIM_400000_NS6detail17trampoline_kernelINS0_14default_configENS1_25partition_config_selectorILNS1_17partition_subalgoE8ElNS0_10empty_typeEbEEZZNS1_14partition_implILS5_8ELb0ES3_jPKlPS6_PKS6_NS0_5tupleIJPlS6_EEENSE_IJSB_SB_EEENS0_18inequality_wrapperIN6hipcub16HIPCUB_304000_NS8EqualityEEESF_JS6_EEE10hipError_tPvRmT3_T4_T5_T6_T7_T9_mT8_P12ihipStream_tbDpT10_ENKUlT_T0_E_clISt17integral_constantIbLb0EES15_IbLb1EEEEDaS11_S12_EUlS11_E_NS1_11comp_targetILNS1_3genE5ELNS1_11target_archE942ELNS1_3gpuE9ELNS1_3repE0EEENS1_30default_config_static_selectorELNS0_4arch9wavefront6targetE0EEEvT1_.num_vgpr, 0
	.set _ZN7rocprim17ROCPRIM_400000_NS6detail17trampoline_kernelINS0_14default_configENS1_25partition_config_selectorILNS1_17partition_subalgoE8ElNS0_10empty_typeEbEEZZNS1_14partition_implILS5_8ELb0ES3_jPKlPS6_PKS6_NS0_5tupleIJPlS6_EEENSE_IJSB_SB_EEENS0_18inequality_wrapperIN6hipcub16HIPCUB_304000_NS8EqualityEEESF_JS6_EEE10hipError_tPvRmT3_T4_T5_T6_T7_T9_mT8_P12ihipStream_tbDpT10_ENKUlT_T0_E_clISt17integral_constantIbLb0EES15_IbLb1EEEEDaS11_S12_EUlS11_E_NS1_11comp_targetILNS1_3genE5ELNS1_11target_archE942ELNS1_3gpuE9ELNS1_3repE0EEENS1_30default_config_static_selectorELNS0_4arch9wavefront6targetE0EEEvT1_.num_agpr, 0
	.set _ZN7rocprim17ROCPRIM_400000_NS6detail17trampoline_kernelINS0_14default_configENS1_25partition_config_selectorILNS1_17partition_subalgoE8ElNS0_10empty_typeEbEEZZNS1_14partition_implILS5_8ELb0ES3_jPKlPS6_PKS6_NS0_5tupleIJPlS6_EEENSE_IJSB_SB_EEENS0_18inequality_wrapperIN6hipcub16HIPCUB_304000_NS8EqualityEEESF_JS6_EEE10hipError_tPvRmT3_T4_T5_T6_T7_T9_mT8_P12ihipStream_tbDpT10_ENKUlT_T0_E_clISt17integral_constantIbLb0EES15_IbLb1EEEEDaS11_S12_EUlS11_E_NS1_11comp_targetILNS1_3genE5ELNS1_11target_archE942ELNS1_3gpuE9ELNS1_3repE0EEENS1_30default_config_static_selectorELNS0_4arch9wavefront6targetE0EEEvT1_.numbered_sgpr, 0
	.set _ZN7rocprim17ROCPRIM_400000_NS6detail17trampoline_kernelINS0_14default_configENS1_25partition_config_selectorILNS1_17partition_subalgoE8ElNS0_10empty_typeEbEEZZNS1_14partition_implILS5_8ELb0ES3_jPKlPS6_PKS6_NS0_5tupleIJPlS6_EEENSE_IJSB_SB_EEENS0_18inequality_wrapperIN6hipcub16HIPCUB_304000_NS8EqualityEEESF_JS6_EEE10hipError_tPvRmT3_T4_T5_T6_T7_T9_mT8_P12ihipStream_tbDpT10_ENKUlT_T0_E_clISt17integral_constantIbLb0EES15_IbLb1EEEEDaS11_S12_EUlS11_E_NS1_11comp_targetILNS1_3genE5ELNS1_11target_archE942ELNS1_3gpuE9ELNS1_3repE0EEENS1_30default_config_static_selectorELNS0_4arch9wavefront6targetE0EEEvT1_.num_named_barrier, 0
	.set _ZN7rocprim17ROCPRIM_400000_NS6detail17trampoline_kernelINS0_14default_configENS1_25partition_config_selectorILNS1_17partition_subalgoE8ElNS0_10empty_typeEbEEZZNS1_14partition_implILS5_8ELb0ES3_jPKlPS6_PKS6_NS0_5tupleIJPlS6_EEENSE_IJSB_SB_EEENS0_18inequality_wrapperIN6hipcub16HIPCUB_304000_NS8EqualityEEESF_JS6_EEE10hipError_tPvRmT3_T4_T5_T6_T7_T9_mT8_P12ihipStream_tbDpT10_ENKUlT_T0_E_clISt17integral_constantIbLb0EES15_IbLb1EEEEDaS11_S12_EUlS11_E_NS1_11comp_targetILNS1_3genE5ELNS1_11target_archE942ELNS1_3gpuE9ELNS1_3repE0EEENS1_30default_config_static_selectorELNS0_4arch9wavefront6targetE0EEEvT1_.private_seg_size, 0
	.set _ZN7rocprim17ROCPRIM_400000_NS6detail17trampoline_kernelINS0_14default_configENS1_25partition_config_selectorILNS1_17partition_subalgoE8ElNS0_10empty_typeEbEEZZNS1_14partition_implILS5_8ELb0ES3_jPKlPS6_PKS6_NS0_5tupleIJPlS6_EEENSE_IJSB_SB_EEENS0_18inequality_wrapperIN6hipcub16HIPCUB_304000_NS8EqualityEEESF_JS6_EEE10hipError_tPvRmT3_T4_T5_T6_T7_T9_mT8_P12ihipStream_tbDpT10_ENKUlT_T0_E_clISt17integral_constantIbLb0EES15_IbLb1EEEEDaS11_S12_EUlS11_E_NS1_11comp_targetILNS1_3genE5ELNS1_11target_archE942ELNS1_3gpuE9ELNS1_3repE0EEENS1_30default_config_static_selectorELNS0_4arch9wavefront6targetE0EEEvT1_.uses_vcc, 0
	.set _ZN7rocprim17ROCPRIM_400000_NS6detail17trampoline_kernelINS0_14default_configENS1_25partition_config_selectorILNS1_17partition_subalgoE8ElNS0_10empty_typeEbEEZZNS1_14partition_implILS5_8ELb0ES3_jPKlPS6_PKS6_NS0_5tupleIJPlS6_EEENSE_IJSB_SB_EEENS0_18inequality_wrapperIN6hipcub16HIPCUB_304000_NS8EqualityEEESF_JS6_EEE10hipError_tPvRmT3_T4_T5_T6_T7_T9_mT8_P12ihipStream_tbDpT10_ENKUlT_T0_E_clISt17integral_constantIbLb0EES15_IbLb1EEEEDaS11_S12_EUlS11_E_NS1_11comp_targetILNS1_3genE5ELNS1_11target_archE942ELNS1_3gpuE9ELNS1_3repE0EEENS1_30default_config_static_selectorELNS0_4arch9wavefront6targetE0EEEvT1_.uses_flat_scratch, 0
	.set _ZN7rocprim17ROCPRIM_400000_NS6detail17trampoline_kernelINS0_14default_configENS1_25partition_config_selectorILNS1_17partition_subalgoE8ElNS0_10empty_typeEbEEZZNS1_14partition_implILS5_8ELb0ES3_jPKlPS6_PKS6_NS0_5tupleIJPlS6_EEENSE_IJSB_SB_EEENS0_18inequality_wrapperIN6hipcub16HIPCUB_304000_NS8EqualityEEESF_JS6_EEE10hipError_tPvRmT3_T4_T5_T6_T7_T9_mT8_P12ihipStream_tbDpT10_ENKUlT_T0_E_clISt17integral_constantIbLb0EES15_IbLb1EEEEDaS11_S12_EUlS11_E_NS1_11comp_targetILNS1_3genE5ELNS1_11target_archE942ELNS1_3gpuE9ELNS1_3repE0EEENS1_30default_config_static_selectorELNS0_4arch9wavefront6targetE0EEEvT1_.has_dyn_sized_stack, 0
	.set _ZN7rocprim17ROCPRIM_400000_NS6detail17trampoline_kernelINS0_14default_configENS1_25partition_config_selectorILNS1_17partition_subalgoE8ElNS0_10empty_typeEbEEZZNS1_14partition_implILS5_8ELb0ES3_jPKlPS6_PKS6_NS0_5tupleIJPlS6_EEENSE_IJSB_SB_EEENS0_18inequality_wrapperIN6hipcub16HIPCUB_304000_NS8EqualityEEESF_JS6_EEE10hipError_tPvRmT3_T4_T5_T6_T7_T9_mT8_P12ihipStream_tbDpT10_ENKUlT_T0_E_clISt17integral_constantIbLb0EES15_IbLb1EEEEDaS11_S12_EUlS11_E_NS1_11comp_targetILNS1_3genE5ELNS1_11target_archE942ELNS1_3gpuE9ELNS1_3repE0EEENS1_30default_config_static_selectorELNS0_4arch9wavefront6targetE0EEEvT1_.has_recursion, 0
	.set _ZN7rocprim17ROCPRIM_400000_NS6detail17trampoline_kernelINS0_14default_configENS1_25partition_config_selectorILNS1_17partition_subalgoE8ElNS0_10empty_typeEbEEZZNS1_14partition_implILS5_8ELb0ES3_jPKlPS6_PKS6_NS0_5tupleIJPlS6_EEENSE_IJSB_SB_EEENS0_18inequality_wrapperIN6hipcub16HIPCUB_304000_NS8EqualityEEESF_JS6_EEE10hipError_tPvRmT3_T4_T5_T6_T7_T9_mT8_P12ihipStream_tbDpT10_ENKUlT_T0_E_clISt17integral_constantIbLb0EES15_IbLb1EEEEDaS11_S12_EUlS11_E_NS1_11comp_targetILNS1_3genE5ELNS1_11target_archE942ELNS1_3gpuE9ELNS1_3repE0EEENS1_30default_config_static_selectorELNS0_4arch9wavefront6targetE0EEEvT1_.has_indirect_call, 0
	.section	.AMDGPU.csdata,"",@progbits
; Kernel info:
; codeLenInByte = 0
; TotalNumSgprs: 0
; NumVgprs: 0
; ScratchSize: 0
; MemoryBound: 0
; FloatMode: 240
; IeeeMode: 1
; LDSByteSize: 0 bytes/workgroup (compile time only)
; SGPRBlocks: 0
; VGPRBlocks: 0
; NumSGPRsForWavesPerEU: 1
; NumVGPRsForWavesPerEU: 1
; NamedBarCnt: 0
; Occupancy: 16
; WaveLimiterHint : 0
; COMPUTE_PGM_RSRC2:SCRATCH_EN: 0
; COMPUTE_PGM_RSRC2:USER_SGPR: 2
; COMPUTE_PGM_RSRC2:TRAP_HANDLER: 0
; COMPUTE_PGM_RSRC2:TGID_X_EN: 1
; COMPUTE_PGM_RSRC2:TGID_Y_EN: 0
; COMPUTE_PGM_RSRC2:TGID_Z_EN: 0
; COMPUTE_PGM_RSRC2:TIDIG_COMP_CNT: 0
	.section	.text._ZN7rocprim17ROCPRIM_400000_NS6detail17trampoline_kernelINS0_14default_configENS1_25partition_config_selectorILNS1_17partition_subalgoE8ElNS0_10empty_typeEbEEZZNS1_14partition_implILS5_8ELb0ES3_jPKlPS6_PKS6_NS0_5tupleIJPlS6_EEENSE_IJSB_SB_EEENS0_18inequality_wrapperIN6hipcub16HIPCUB_304000_NS8EqualityEEESF_JS6_EEE10hipError_tPvRmT3_T4_T5_T6_T7_T9_mT8_P12ihipStream_tbDpT10_ENKUlT_T0_E_clISt17integral_constantIbLb0EES15_IbLb1EEEEDaS11_S12_EUlS11_E_NS1_11comp_targetILNS1_3genE4ELNS1_11target_archE910ELNS1_3gpuE8ELNS1_3repE0EEENS1_30default_config_static_selectorELNS0_4arch9wavefront6targetE0EEEvT1_,"axG",@progbits,_ZN7rocprim17ROCPRIM_400000_NS6detail17trampoline_kernelINS0_14default_configENS1_25partition_config_selectorILNS1_17partition_subalgoE8ElNS0_10empty_typeEbEEZZNS1_14partition_implILS5_8ELb0ES3_jPKlPS6_PKS6_NS0_5tupleIJPlS6_EEENSE_IJSB_SB_EEENS0_18inequality_wrapperIN6hipcub16HIPCUB_304000_NS8EqualityEEESF_JS6_EEE10hipError_tPvRmT3_T4_T5_T6_T7_T9_mT8_P12ihipStream_tbDpT10_ENKUlT_T0_E_clISt17integral_constantIbLb0EES15_IbLb1EEEEDaS11_S12_EUlS11_E_NS1_11comp_targetILNS1_3genE4ELNS1_11target_archE910ELNS1_3gpuE8ELNS1_3repE0EEENS1_30default_config_static_selectorELNS0_4arch9wavefront6targetE0EEEvT1_,comdat
	.protected	_ZN7rocprim17ROCPRIM_400000_NS6detail17trampoline_kernelINS0_14default_configENS1_25partition_config_selectorILNS1_17partition_subalgoE8ElNS0_10empty_typeEbEEZZNS1_14partition_implILS5_8ELb0ES3_jPKlPS6_PKS6_NS0_5tupleIJPlS6_EEENSE_IJSB_SB_EEENS0_18inequality_wrapperIN6hipcub16HIPCUB_304000_NS8EqualityEEESF_JS6_EEE10hipError_tPvRmT3_T4_T5_T6_T7_T9_mT8_P12ihipStream_tbDpT10_ENKUlT_T0_E_clISt17integral_constantIbLb0EES15_IbLb1EEEEDaS11_S12_EUlS11_E_NS1_11comp_targetILNS1_3genE4ELNS1_11target_archE910ELNS1_3gpuE8ELNS1_3repE0EEENS1_30default_config_static_selectorELNS0_4arch9wavefront6targetE0EEEvT1_ ; -- Begin function _ZN7rocprim17ROCPRIM_400000_NS6detail17trampoline_kernelINS0_14default_configENS1_25partition_config_selectorILNS1_17partition_subalgoE8ElNS0_10empty_typeEbEEZZNS1_14partition_implILS5_8ELb0ES3_jPKlPS6_PKS6_NS0_5tupleIJPlS6_EEENSE_IJSB_SB_EEENS0_18inequality_wrapperIN6hipcub16HIPCUB_304000_NS8EqualityEEESF_JS6_EEE10hipError_tPvRmT3_T4_T5_T6_T7_T9_mT8_P12ihipStream_tbDpT10_ENKUlT_T0_E_clISt17integral_constantIbLb0EES15_IbLb1EEEEDaS11_S12_EUlS11_E_NS1_11comp_targetILNS1_3genE4ELNS1_11target_archE910ELNS1_3gpuE8ELNS1_3repE0EEENS1_30default_config_static_selectorELNS0_4arch9wavefront6targetE0EEEvT1_
	.globl	_ZN7rocprim17ROCPRIM_400000_NS6detail17trampoline_kernelINS0_14default_configENS1_25partition_config_selectorILNS1_17partition_subalgoE8ElNS0_10empty_typeEbEEZZNS1_14partition_implILS5_8ELb0ES3_jPKlPS6_PKS6_NS0_5tupleIJPlS6_EEENSE_IJSB_SB_EEENS0_18inequality_wrapperIN6hipcub16HIPCUB_304000_NS8EqualityEEESF_JS6_EEE10hipError_tPvRmT3_T4_T5_T6_T7_T9_mT8_P12ihipStream_tbDpT10_ENKUlT_T0_E_clISt17integral_constantIbLb0EES15_IbLb1EEEEDaS11_S12_EUlS11_E_NS1_11comp_targetILNS1_3genE4ELNS1_11target_archE910ELNS1_3gpuE8ELNS1_3repE0EEENS1_30default_config_static_selectorELNS0_4arch9wavefront6targetE0EEEvT1_
	.p2align	8
	.type	_ZN7rocprim17ROCPRIM_400000_NS6detail17trampoline_kernelINS0_14default_configENS1_25partition_config_selectorILNS1_17partition_subalgoE8ElNS0_10empty_typeEbEEZZNS1_14partition_implILS5_8ELb0ES3_jPKlPS6_PKS6_NS0_5tupleIJPlS6_EEENSE_IJSB_SB_EEENS0_18inequality_wrapperIN6hipcub16HIPCUB_304000_NS8EqualityEEESF_JS6_EEE10hipError_tPvRmT3_T4_T5_T6_T7_T9_mT8_P12ihipStream_tbDpT10_ENKUlT_T0_E_clISt17integral_constantIbLb0EES15_IbLb1EEEEDaS11_S12_EUlS11_E_NS1_11comp_targetILNS1_3genE4ELNS1_11target_archE910ELNS1_3gpuE8ELNS1_3repE0EEENS1_30default_config_static_selectorELNS0_4arch9wavefront6targetE0EEEvT1_,@function
_ZN7rocprim17ROCPRIM_400000_NS6detail17trampoline_kernelINS0_14default_configENS1_25partition_config_selectorILNS1_17partition_subalgoE8ElNS0_10empty_typeEbEEZZNS1_14partition_implILS5_8ELb0ES3_jPKlPS6_PKS6_NS0_5tupleIJPlS6_EEENSE_IJSB_SB_EEENS0_18inequality_wrapperIN6hipcub16HIPCUB_304000_NS8EqualityEEESF_JS6_EEE10hipError_tPvRmT3_T4_T5_T6_T7_T9_mT8_P12ihipStream_tbDpT10_ENKUlT_T0_E_clISt17integral_constantIbLb0EES15_IbLb1EEEEDaS11_S12_EUlS11_E_NS1_11comp_targetILNS1_3genE4ELNS1_11target_archE910ELNS1_3gpuE8ELNS1_3repE0EEENS1_30default_config_static_selectorELNS0_4arch9wavefront6targetE0EEEvT1_: ; @_ZN7rocprim17ROCPRIM_400000_NS6detail17trampoline_kernelINS0_14default_configENS1_25partition_config_selectorILNS1_17partition_subalgoE8ElNS0_10empty_typeEbEEZZNS1_14partition_implILS5_8ELb0ES3_jPKlPS6_PKS6_NS0_5tupleIJPlS6_EEENSE_IJSB_SB_EEENS0_18inequality_wrapperIN6hipcub16HIPCUB_304000_NS8EqualityEEESF_JS6_EEE10hipError_tPvRmT3_T4_T5_T6_T7_T9_mT8_P12ihipStream_tbDpT10_ENKUlT_T0_E_clISt17integral_constantIbLb0EES15_IbLb1EEEEDaS11_S12_EUlS11_E_NS1_11comp_targetILNS1_3genE4ELNS1_11target_archE910ELNS1_3gpuE8ELNS1_3repE0EEENS1_30default_config_static_selectorELNS0_4arch9wavefront6targetE0EEEvT1_
; %bb.0:
	.section	.rodata,"a",@progbits
	.p2align	6, 0x0
	.amdhsa_kernel _ZN7rocprim17ROCPRIM_400000_NS6detail17trampoline_kernelINS0_14default_configENS1_25partition_config_selectorILNS1_17partition_subalgoE8ElNS0_10empty_typeEbEEZZNS1_14partition_implILS5_8ELb0ES3_jPKlPS6_PKS6_NS0_5tupleIJPlS6_EEENSE_IJSB_SB_EEENS0_18inequality_wrapperIN6hipcub16HIPCUB_304000_NS8EqualityEEESF_JS6_EEE10hipError_tPvRmT3_T4_T5_T6_T7_T9_mT8_P12ihipStream_tbDpT10_ENKUlT_T0_E_clISt17integral_constantIbLb0EES15_IbLb1EEEEDaS11_S12_EUlS11_E_NS1_11comp_targetILNS1_3genE4ELNS1_11target_archE910ELNS1_3gpuE8ELNS1_3repE0EEENS1_30default_config_static_selectorELNS0_4arch9wavefront6targetE0EEEvT1_
		.amdhsa_group_segment_fixed_size 0
		.amdhsa_private_segment_fixed_size 0
		.amdhsa_kernarg_size 128
		.amdhsa_user_sgpr_count 2
		.amdhsa_user_sgpr_dispatch_ptr 0
		.amdhsa_user_sgpr_queue_ptr 0
		.amdhsa_user_sgpr_kernarg_segment_ptr 1
		.amdhsa_user_sgpr_dispatch_id 0
		.amdhsa_user_sgpr_kernarg_preload_length 0
		.amdhsa_user_sgpr_kernarg_preload_offset 0
		.amdhsa_user_sgpr_private_segment_size 0
		.amdhsa_wavefront_size32 1
		.amdhsa_uses_dynamic_stack 0
		.amdhsa_enable_private_segment 0
		.amdhsa_system_sgpr_workgroup_id_x 1
		.amdhsa_system_sgpr_workgroup_id_y 0
		.amdhsa_system_sgpr_workgroup_id_z 0
		.amdhsa_system_sgpr_workgroup_info 0
		.amdhsa_system_vgpr_workitem_id 0
		.amdhsa_next_free_vgpr 1
		.amdhsa_next_free_sgpr 1
		.amdhsa_named_barrier_count 0
		.amdhsa_reserve_vcc 0
		.amdhsa_float_round_mode_32 0
		.amdhsa_float_round_mode_16_64 0
		.amdhsa_float_denorm_mode_32 3
		.amdhsa_float_denorm_mode_16_64 3
		.amdhsa_fp16_overflow 0
		.amdhsa_memory_ordered 1
		.amdhsa_forward_progress 1
		.amdhsa_inst_pref_size 0
		.amdhsa_round_robin_scheduling 0
		.amdhsa_exception_fp_ieee_invalid_op 0
		.amdhsa_exception_fp_denorm_src 0
		.amdhsa_exception_fp_ieee_div_zero 0
		.amdhsa_exception_fp_ieee_overflow 0
		.amdhsa_exception_fp_ieee_underflow 0
		.amdhsa_exception_fp_ieee_inexact 0
		.amdhsa_exception_int_div_zero 0
	.end_amdhsa_kernel
	.section	.text._ZN7rocprim17ROCPRIM_400000_NS6detail17trampoline_kernelINS0_14default_configENS1_25partition_config_selectorILNS1_17partition_subalgoE8ElNS0_10empty_typeEbEEZZNS1_14partition_implILS5_8ELb0ES3_jPKlPS6_PKS6_NS0_5tupleIJPlS6_EEENSE_IJSB_SB_EEENS0_18inequality_wrapperIN6hipcub16HIPCUB_304000_NS8EqualityEEESF_JS6_EEE10hipError_tPvRmT3_T4_T5_T6_T7_T9_mT8_P12ihipStream_tbDpT10_ENKUlT_T0_E_clISt17integral_constantIbLb0EES15_IbLb1EEEEDaS11_S12_EUlS11_E_NS1_11comp_targetILNS1_3genE4ELNS1_11target_archE910ELNS1_3gpuE8ELNS1_3repE0EEENS1_30default_config_static_selectorELNS0_4arch9wavefront6targetE0EEEvT1_,"axG",@progbits,_ZN7rocprim17ROCPRIM_400000_NS6detail17trampoline_kernelINS0_14default_configENS1_25partition_config_selectorILNS1_17partition_subalgoE8ElNS0_10empty_typeEbEEZZNS1_14partition_implILS5_8ELb0ES3_jPKlPS6_PKS6_NS0_5tupleIJPlS6_EEENSE_IJSB_SB_EEENS0_18inequality_wrapperIN6hipcub16HIPCUB_304000_NS8EqualityEEESF_JS6_EEE10hipError_tPvRmT3_T4_T5_T6_T7_T9_mT8_P12ihipStream_tbDpT10_ENKUlT_T0_E_clISt17integral_constantIbLb0EES15_IbLb1EEEEDaS11_S12_EUlS11_E_NS1_11comp_targetILNS1_3genE4ELNS1_11target_archE910ELNS1_3gpuE8ELNS1_3repE0EEENS1_30default_config_static_selectorELNS0_4arch9wavefront6targetE0EEEvT1_,comdat
.Lfunc_end252:
	.size	_ZN7rocprim17ROCPRIM_400000_NS6detail17trampoline_kernelINS0_14default_configENS1_25partition_config_selectorILNS1_17partition_subalgoE8ElNS0_10empty_typeEbEEZZNS1_14partition_implILS5_8ELb0ES3_jPKlPS6_PKS6_NS0_5tupleIJPlS6_EEENSE_IJSB_SB_EEENS0_18inequality_wrapperIN6hipcub16HIPCUB_304000_NS8EqualityEEESF_JS6_EEE10hipError_tPvRmT3_T4_T5_T6_T7_T9_mT8_P12ihipStream_tbDpT10_ENKUlT_T0_E_clISt17integral_constantIbLb0EES15_IbLb1EEEEDaS11_S12_EUlS11_E_NS1_11comp_targetILNS1_3genE4ELNS1_11target_archE910ELNS1_3gpuE8ELNS1_3repE0EEENS1_30default_config_static_selectorELNS0_4arch9wavefront6targetE0EEEvT1_, .Lfunc_end252-_ZN7rocprim17ROCPRIM_400000_NS6detail17trampoline_kernelINS0_14default_configENS1_25partition_config_selectorILNS1_17partition_subalgoE8ElNS0_10empty_typeEbEEZZNS1_14partition_implILS5_8ELb0ES3_jPKlPS6_PKS6_NS0_5tupleIJPlS6_EEENSE_IJSB_SB_EEENS0_18inequality_wrapperIN6hipcub16HIPCUB_304000_NS8EqualityEEESF_JS6_EEE10hipError_tPvRmT3_T4_T5_T6_T7_T9_mT8_P12ihipStream_tbDpT10_ENKUlT_T0_E_clISt17integral_constantIbLb0EES15_IbLb1EEEEDaS11_S12_EUlS11_E_NS1_11comp_targetILNS1_3genE4ELNS1_11target_archE910ELNS1_3gpuE8ELNS1_3repE0EEENS1_30default_config_static_selectorELNS0_4arch9wavefront6targetE0EEEvT1_
                                        ; -- End function
	.set _ZN7rocprim17ROCPRIM_400000_NS6detail17trampoline_kernelINS0_14default_configENS1_25partition_config_selectorILNS1_17partition_subalgoE8ElNS0_10empty_typeEbEEZZNS1_14partition_implILS5_8ELb0ES3_jPKlPS6_PKS6_NS0_5tupleIJPlS6_EEENSE_IJSB_SB_EEENS0_18inequality_wrapperIN6hipcub16HIPCUB_304000_NS8EqualityEEESF_JS6_EEE10hipError_tPvRmT3_T4_T5_T6_T7_T9_mT8_P12ihipStream_tbDpT10_ENKUlT_T0_E_clISt17integral_constantIbLb0EES15_IbLb1EEEEDaS11_S12_EUlS11_E_NS1_11comp_targetILNS1_3genE4ELNS1_11target_archE910ELNS1_3gpuE8ELNS1_3repE0EEENS1_30default_config_static_selectorELNS0_4arch9wavefront6targetE0EEEvT1_.num_vgpr, 0
	.set _ZN7rocprim17ROCPRIM_400000_NS6detail17trampoline_kernelINS0_14default_configENS1_25partition_config_selectorILNS1_17partition_subalgoE8ElNS0_10empty_typeEbEEZZNS1_14partition_implILS5_8ELb0ES3_jPKlPS6_PKS6_NS0_5tupleIJPlS6_EEENSE_IJSB_SB_EEENS0_18inequality_wrapperIN6hipcub16HIPCUB_304000_NS8EqualityEEESF_JS6_EEE10hipError_tPvRmT3_T4_T5_T6_T7_T9_mT8_P12ihipStream_tbDpT10_ENKUlT_T0_E_clISt17integral_constantIbLb0EES15_IbLb1EEEEDaS11_S12_EUlS11_E_NS1_11comp_targetILNS1_3genE4ELNS1_11target_archE910ELNS1_3gpuE8ELNS1_3repE0EEENS1_30default_config_static_selectorELNS0_4arch9wavefront6targetE0EEEvT1_.num_agpr, 0
	.set _ZN7rocprim17ROCPRIM_400000_NS6detail17trampoline_kernelINS0_14default_configENS1_25partition_config_selectorILNS1_17partition_subalgoE8ElNS0_10empty_typeEbEEZZNS1_14partition_implILS5_8ELb0ES3_jPKlPS6_PKS6_NS0_5tupleIJPlS6_EEENSE_IJSB_SB_EEENS0_18inequality_wrapperIN6hipcub16HIPCUB_304000_NS8EqualityEEESF_JS6_EEE10hipError_tPvRmT3_T4_T5_T6_T7_T9_mT8_P12ihipStream_tbDpT10_ENKUlT_T0_E_clISt17integral_constantIbLb0EES15_IbLb1EEEEDaS11_S12_EUlS11_E_NS1_11comp_targetILNS1_3genE4ELNS1_11target_archE910ELNS1_3gpuE8ELNS1_3repE0EEENS1_30default_config_static_selectorELNS0_4arch9wavefront6targetE0EEEvT1_.numbered_sgpr, 0
	.set _ZN7rocprim17ROCPRIM_400000_NS6detail17trampoline_kernelINS0_14default_configENS1_25partition_config_selectorILNS1_17partition_subalgoE8ElNS0_10empty_typeEbEEZZNS1_14partition_implILS5_8ELb0ES3_jPKlPS6_PKS6_NS0_5tupleIJPlS6_EEENSE_IJSB_SB_EEENS0_18inequality_wrapperIN6hipcub16HIPCUB_304000_NS8EqualityEEESF_JS6_EEE10hipError_tPvRmT3_T4_T5_T6_T7_T9_mT8_P12ihipStream_tbDpT10_ENKUlT_T0_E_clISt17integral_constantIbLb0EES15_IbLb1EEEEDaS11_S12_EUlS11_E_NS1_11comp_targetILNS1_3genE4ELNS1_11target_archE910ELNS1_3gpuE8ELNS1_3repE0EEENS1_30default_config_static_selectorELNS0_4arch9wavefront6targetE0EEEvT1_.num_named_barrier, 0
	.set _ZN7rocprim17ROCPRIM_400000_NS6detail17trampoline_kernelINS0_14default_configENS1_25partition_config_selectorILNS1_17partition_subalgoE8ElNS0_10empty_typeEbEEZZNS1_14partition_implILS5_8ELb0ES3_jPKlPS6_PKS6_NS0_5tupleIJPlS6_EEENSE_IJSB_SB_EEENS0_18inequality_wrapperIN6hipcub16HIPCUB_304000_NS8EqualityEEESF_JS6_EEE10hipError_tPvRmT3_T4_T5_T6_T7_T9_mT8_P12ihipStream_tbDpT10_ENKUlT_T0_E_clISt17integral_constantIbLb0EES15_IbLb1EEEEDaS11_S12_EUlS11_E_NS1_11comp_targetILNS1_3genE4ELNS1_11target_archE910ELNS1_3gpuE8ELNS1_3repE0EEENS1_30default_config_static_selectorELNS0_4arch9wavefront6targetE0EEEvT1_.private_seg_size, 0
	.set _ZN7rocprim17ROCPRIM_400000_NS6detail17trampoline_kernelINS0_14default_configENS1_25partition_config_selectorILNS1_17partition_subalgoE8ElNS0_10empty_typeEbEEZZNS1_14partition_implILS5_8ELb0ES3_jPKlPS6_PKS6_NS0_5tupleIJPlS6_EEENSE_IJSB_SB_EEENS0_18inequality_wrapperIN6hipcub16HIPCUB_304000_NS8EqualityEEESF_JS6_EEE10hipError_tPvRmT3_T4_T5_T6_T7_T9_mT8_P12ihipStream_tbDpT10_ENKUlT_T0_E_clISt17integral_constantIbLb0EES15_IbLb1EEEEDaS11_S12_EUlS11_E_NS1_11comp_targetILNS1_3genE4ELNS1_11target_archE910ELNS1_3gpuE8ELNS1_3repE0EEENS1_30default_config_static_selectorELNS0_4arch9wavefront6targetE0EEEvT1_.uses_vcc, 0
	.set _ZN7rocprim17ROCPRIM_400000_NS6detail17trampoline_kernelINS0_14default_configENS1_25partition_config_selectorILNS1_17partition_subalgoE8ElNS0_10empty_typeEbEEZZNS1_14partition_implILS5_8ELb0ES3_jPKlPS6_PKS6_NS0_5tupleIJPlS6_EEENSE_IJSB_SB_EEENS0_18inequality_wrapperIN6hipcub16HIPCUB_304000_NS8EqualityEEESF_JS6_EEE10hipError_tPvRmT3_T4_T5_T6_T7_T9_mT8_P12ihipStream_tbDpT10_ENKUlT_T0_E_clISt17integral_constantIbLb0EES15_IbLb1EEEEDaS11_S12_EUlS11_E_NS1_11comp_targetILNS1_3genE4ELNS1_11target_archE910ELNS1_3gpuE8ELNS1_3repE0EEENS1_30default_config_static_selectorELNS0_4arch9wavefront6targetE0EEEvT1_.uses_flat_scratch, 0
	.set _ZN7rocprim17ROCPRIM_400000_NS6detail17trampoline_kernelINS0_14default_configENS1_25partition_config_selectorILNS1_17partition_subalgoE8ElNS0_10empty_typeEbEEZZNS1_14partition_implILS5_8ELb0ES3_jPKlPS6_PKS6_NS0_5tupleIJPlS6_EEENSE_IJSB_SB_EEENS0_18inequality_wrapperIN6hipcub16HIPCUB_304000_NS8EqualityEEESF_JS6_EEE10hipError_tPvRmT3_T4_T5_T6_T7_T9_mT8_P12ihipStream_tbDpT10_ENKUlT_T0_E_clISt17integral_constantIbLb0EES15_IbLb1EEEEDaS11_S12_EUlS11_E_NS1_11comp_targetILNS1_3genE4ELNS1_11target_archE910ELNS1_3gpuE8ELNS1_3repE0EEENS1_30default_config_static_selectorELNS0_4arch9wavefront6targetE0EEEvT1_.has_dyn_sized_stack, 0
	.set _ZN7rocprim17ROCPRIM_400000_NS6detail17trampoline_kernelINS0_14default_configENS1_25partition_config_selectorILNS1_17partition_subalgoE8ElNS0_10empty_typeEbEEZZNS1_14partition_implILS5_8ELb0ES3_jPKlPS6_PKS6_NS0_5tupleIJPlS6_EEENSE_IJSB_SB_EEENS0_18inequality_wrapperIN6hipcub16HIPCUB_304000_NS8EqualityEEESF_JS6_EEE10hipError_tPvRmT3_T4_T5_T6_T7_T9_mT8_P12ihipStream_tbDpT10_ENKUlT_T0_E_clISt17integral_constantIbLb0EES15_IbLb1EEEEDaS11_S12_EUlS11_E_NS1_11comp_targetILNS1_3genE4ELNS1_11target_archE910ELNS1_3gpuE8ELNS1_3repE0EEENS1_30default_config_static_selectorELNS0_4arch9wavefront6targetE0EEEvT1_.has_recursion, 0
	.set _ZN7rocprim17ROCPRIM_400000_NS6detail17trampoline_kernelINS0_14default_configENS1_25partition_config_selectorILNS1_17partition_subalgoE8ElNS0_10empty_typeEbEEZZNS1_14partition_implILS5_8ELb0ES3_jPKlPS6_PKS6_NS0_5tupleIJPlS6_EEENSE_IJSB_SB_EEENS0_18inequality_wrapperIN6hipcub16HIPCUB_304000_NS8EqualityEEESF_JS6_EEE10hipError_tPvRmT3_T4_T5_T6_T7_T9_mT8_P12ihipStream_tbDpT10_ENKUlT_T0_E_clISt17integral_constantIbLb0EES15_IbLb1EEEEDaS11_S12_EUlS11_E_NS1_11comp_targetILNS1_3genE4ELNS1_11target_archE910ELNS1_3gpuE8ELNS1_3repE0EEENS1_30default_config_static_selectorELNS0_4arch9wavefront6targetE0EEEvT1_.has_indirect_call, 0
	.section	.AMDGPU.csdata,"",@progbits
; Kernel info:
; codeLenInByte = 0
; TotalNumSgprs: 0
; NumVgprs: 0
; ScratchSize: 0
; MemoryBound: 0
; FloatMode: 240
; IeeeMode: 1
; LDSByteSize: 0 bytes/workgroup (compile time only)
; SGPRBlocks: 0
; VGPRBlocks: 0
; NumSGPRsForWavesPerEU: 1
; NumVGPRsForWavesPerEU: 1
; NamedBarCnt: 0
; Occupancy: 16
; WaveLimiterHint : 0
; COMPUTE_PGM_RSRC2:SCRATCH_EN: 0
; COMPUTE_PGM_RSRC2:USER_SGPR: 2
; COMPUTE_PGM_RSRC2:TRAP_HANDLER: 0
; COMPUTE_PGM_RSRC2:TGID_X_EN: 1
; COMPUTE_PGM_RSRC2:TGID_Y_EN: 0
; COMPUTE_PGM_RSRC2:TGID_Z_EN: 0
; COMPUTE_PGM_RSRC2:TIDIG_COMP_CNT: 0
	.section	.text._ZN7rocprim17ROCPRIM_400000_NS6detail17trampoline_kernelINS0_14default_configENS1_25partition_config_selectorILNS1_17partition_subalgoE8ElNS0_10empty_typeEbEEZZNS1_14partition_implILS5_8ELb0ES3_jPKlPS6_PKS6_NS0_5tupleIJPlS6_EEENSE_IJSB_SB_EEENS0_18inequality_wrapperIN6hipcub16HIPCUB_304000_NS8EqualityEEESF_JS6_EEE10hipError_tPvRmT3_T4_T5_T6_T7_T9_mT8_P12ihipStream_tbDpT10_ENKUlT_T0_E_clISt17integral_constantIbLb0EES15_IbLb1EEEEDaS11_S12_EUlS11_E_NS1_11comp_targetILNS1_3genE3ELNS1_11target_archE908ELNS1_3gpuE7ELNS1_3repE0EEENS1_30default_config_static_selectorELNS0_4arch9wavefront6targetE0EEEvT1_,"axG",@progbits,_ZN7rocprim17ROCPRIM_400000_NS6detail17trampoline_kernelINS0_14default_configENS1_25partition_config_selectorILNS1_17partition_subalgoE8ElNS0_10empty_typeEbEEZZNS1_14partition_implILS5_8ELb0ES3_jPKlPS6_PKS6_NS0_5tupleIJPlS6_EEENSE_IJSB_SB_EEENS0_18inequality_wrapperIN6hipcub16HIPCUB_304000_NS8EqualityEEESF_JS6_EEE10hipError_tPvRmT3_T4_T5_T6_T7_T9_mT8_P12ihipStream_tbDpT10_ENKUlT_T0_E_clISt17integral_constantIbLb0EES15_IbLb1EEEEDaS11_S12_EUlS11_E_NS1_11comp_targetILNS1_3genE3ELNS1_11target_archE908ELNS1_3gpuE7ELNS1_3repE0EEENS1_30default_config_static_selectorELNS0_4arch9wavefront6targetE0EEEvT1_,comdat
	.protected	_ZN7rocprim17ROCPRIM_400000_NS6detail17trampoline_kernelINS0_14default_configENS1_25partition_config_selectorILNS1_17partition_subalgoE8ElNS0_10empty_typeEbEEZZNS1_14partition_implILS5_8ELb0ES3_jPKlPS6_PKS6_NS0_5tupleIJPlS6_EEENSE_IJSB_SB_EEENS0_18inequality_wrapperIN6hipcub16HIPCUB_304000_NS8EqualityEEESF_JS6_EEE10hipError_tPvRmT3_T4_T5_T6_T7_T9_mT8_P12ihipStream_tbDpT10_ENKUlT_T0_E_clISt17integral_constantIbLb0EES15_IbLb1EEEEDaS11_S12_EUlS11_E_NS1_11comp_targetILNS1_3genE3ELNS1_11target_archE908ELNS1_3gpuE7ELNS1_3repE0EEENS1_30default_config_static_selectorELNS0_4arch9wavefront6targetE0EEEvT1_ ; -- Begin function _ZN7rocprim17ROCPRIM_400000_NS6detail17trampoline_kernelINS0_14default_configENS1_25partition_config_selectorILNS1_17partition_subalgoE8ElNS0_10empty_typeEbEEZZNS1_14partition_implILS5_8ELb0ES3_jPKlPS6_PKS6_NS0_5tupleIJPlS6_EEENSE_IJSB_SB_EEENS0_18inequality_wrapperIN6hipcub16HIPCUB_304000_NS8EqualityEEESF_JS6_EEE10hipError_tPvRmT3_T4_T5_T6_T7_T9_mT8_P12ihipStream_tbDpT10_ENKUlT_T0_E_clISt17integral_constantIbLb0EES15_IbLb1EEEEDaS11_S12_EUlS11_E_NS1_11comp_targetILNS1_3genE3ELNS1_11target_archE908ELNS1_3gpuE7ELNS1_3repE0EEENS1_30default_config_static_selectorELNS0_4arch9wavefront6targetE0EEEvT1_
	.globl	_ZN7rocprim17ROCPRIM_400000_NS6detail17trampoline_kernelINS0_14default_configENS1_25partition_config_selectorILNS1_17partition_subalgoE8ElNS0_10empty_typeEbEEZZNS1_14partition_implILS5_8ELb0ES3_jPKlPS6_PKS6_NS0_5tupleIJPlS6_EEENSE_IJSB_SB_EEENS0_18inequality_wrapperIN6hipcub16HIPCUB_304000_NS8EqualityEEESF_JS6_EEE10hipError_tPvRmT3_T4_T5_T6_T7_T9_mT8_P12ihipStream_tbDpT10_ENKUlT_T0_E_clISt17integral_constantIbLb0EES15_IbLb1EEEEDaS11_S12_EUlS11_E_NS1_11comp_targetILNS1_3genE3ELNS1_11target_archE908ELNS1_3gpuE7ELNS1_3repE0EEENS1_30default_config_static_selectorELNS0_4arch9wavefront6targetE0EEEvT1_
	.p2align	8
	.type	_ZN7rocprim17ROCPRIM_400000_NS6detail17trampoline_kernelINS0_14default_configENS1_25partition_config_selectorILNS1_17partition_subalgoE8ElNS0_10empty_typeEbEEZZNS1_14partition_implILS5_8ELb0ES3_jPKlPS6_PKS6_NS0_5tupleIJPlS6_EEENSE_IJSB_SB_EEENS0_18inequality_wrapperIN6hipcub16HIPCUB_304000_NS8EqualityEEESF_JS6_EEE10hipError_tPvRmT3_T4_T5_T6_T7_T9_mT8_P12ihipStream_tbDpT10_ENKUlT_T0_E_clISt17integral_constantIbLb0EES15_IbLb1EEEEDaS11_S12_EUlS11_E_NS1_11comp_targetILNS1_3genE3ELNS1_11target_archE908ELNS1_3gpuE7ELNS1_3repE0EEENS1_30default_config_static_selectorELNS0_4arch9wavefront6targetE0EEEvT1_,@function
_ZN7rocprim17ROCPRIM_400000_NS6detail17trampoline_kernelINS0_14default_configENS1_25partition_config_selectorILNS1_17partition_subalgoE8ElNS0_10empty_typeEbEEZZNS1_14partition_implILS5_8ELb0ES3_jPKlPS6_PKS6_NS0_5tupleIJPlS6_EEENSE_IJSB_SB_EEENS0_18inequality_wrapperIN6hipcub16HIPCUB_304000_NS8EqualityEEESF_JS6_EEE10hipError_tPvRmT3_T4_T5_T6_T7_T9_mT8_P12ihipStream_tbDpT10_ENKUlT_T0_E_clISt17integral_constantIbLb0EES15_IbLb1EEEEDaS11_S12_EUlS11_E_NS1_11comp_targetILNS1_3genE3ELNS1_11target_archE908ELNS1_3gpuE7ELNS1_3repE0EEENS1_30default_config_static_selectorELNS0_4arch9wavefront6targetE0EEEvT1_: ; @_ZN7rocprim17ROCPRIM_400000_NS6detail17trampoline_kernelINS0_14default_configENS1_25partition_config_selectorILNS1_17partition_subalgoE8ElNS0_10empty_typeEbEEZZNS1_14partition_implILS5_8ELb0ES3_jPKlPS6_PKS6_NS0_5tupleIJPlS6_EEENSE_IJSB_SB_EEENS0_18inequality_wrapperIN6hipcub16HIPCUB_304000_NS8EqualityEEESF_JS6_EEE10hipError_tPvRmT3_T4_T5_T6_T7_T9_mT8_P12ihipStream_tbDpT10_ENKUlT_T0_E_clISt17integral_constantIbLb0EES15_IbLb1EEEEDaS11_S12_EUlS11_E_NS1_11comp_targetILNS1_3genE3ELNS1_11target_archE908ELNS1_3gpuE7ELNS1_3repE0EEENS1_30default_config_static_selectorELNS0_4arch9wavefront6targetE0EEEvT1_
; %bb.0:
	.section	.rodata,"a",@progbits
	.p2align	6, 0x0
	.amdhsa_kernel _ZN7rocprim17ROCPRIM_400000_NS6detail17trampoline_kernelINS0_14default_configENS1_25partition_config_selectorILNS1_17partition_subalgoE8ElNS0_10empty_typeEbEEZZNS1_14partition_implILS5_8ELb0ES3_jPKlPS6_PKS6_NS0_5tupleIJPlS6_EEENSE_IJSB_SB_EEENS0_18inequality_wrapperIN6hipcub16HIPCUB_304000_NS8EqualityEEESF_JS6_EEE10hipError_tPvRmT3_T4_T5_T6_T7_T9_mT8_P12ihipStream_tbDpT10_ENKUlT_T0_E_clISt17integral_constantIbLb0EES15_IbLb1EEEEDaS11_S12_EUlS11_E_NS1_11comp_targetILNS1_3genE3ELNS1_11target_archE908ELNS1_3gpuE7ELNS1_3repE0EEENS1_30default_config_static_selectorELNS0_4arch9wavefront6targetE0EEEvT1_
		.amdhsa_group_segment_fixed_size 0
		.amdhsa_private_segment_fixed_size 0
		.amdhsa_kernarg_size 128
		.amdhsa_user_sgpr_count 2
		.amdhsa_user_sgpr_dispatch_ptr 0
		.amdhsa_user_sgpr_queue_ptr 0
		.amdhsa_user_sgpr_kernarg_segment_ptr 1
		.amdhsa_user_sgpr_dispatch_id 0
		.amdhsa_user_sgpr_kernarg_preload_length 0
		.amdhsa_user_sgpr_kernarg_preload_offset 0
		.amdhsa_user_sgpr_private_segment_size 0
		.amdhsa_wavefront_size32 1
		.amdhsa_uses_dynamic_stack 0
		.amdhsa_enable_private_segment 0
		.amdhsa_system_sgpr_workgroup_id_x 1
		.amdhsa_system_sgpr_workgroup_id_y 0
		.amdhsa_system_sgpr_workgroup_id_z 0
		.amdhsa_system_sgpr_workgroup_info 0
		.amdhsa_system_vgpr_workitem_id 0
		.amdhsa_next_free_vgpr 1
		.amdhsa_next_free_sgpr 1
		.amdhsa_named_barrier_count 0
		.amdhsa_reserve_vcc 0
		.amdhsa_float_round_mode_32 0
		.amdhsa_float_round_mode_16_64 0
		.amdhsa_float_denorm_mode_32 3
		.amdhsa_float_denorm_mode_16_64 3
		.amdhsa_fp16_overflow 0
		.amdhsa_memory_ordered 1
		.amdhsa_forward_progress 1
		.amdhsa_inst_pref_size 0
		.amdhsa_round_robin_scheduling 0
		.amdhsa_exception_fp_ieee_invalid_op 0
		.amdhsa_exception_fp_denorm_src 0
		.amdhsa_exception_fp_ieee_div_zero 0
		.amdhsa_exception_fp_ieee_overflow 0
		.amdhsa_exception_fp_ieee_underflow 0
		.amdhsa_exception_fp_ieee_inexact 0
		.amdhsa_exception_int_div_zero 0
	.end_amdhsa_kernel
	.section	.text._ZN7rocprim17ROCPRIM_400000_NS6detail17trampoline_kernelINS0_14default_configENS1_25partition_config_selectorILNS1_17partition_subalgoE8ElNS0_10empty_typeEbEEZZNS1_14partition_implILS5_8ELb0ES3_jPKlPS6_PKS6_NS0_5tupleIJPlS6_EEENSE_IJSB_SB_EEENS0_18inequality_wrapperIN6hipcub16HIPCUB_304000_NS8EqualityEEESF_JS6_EEE10hipError_tPvRmT3_T4_T5_T6_T7_T9_mT8_P12ihipStream_tbDpT10_ENKUlT_T0_E_clISt17integral_constantIbLb0EES15_IbLb1EEEEDaS11_S12_EUlS11_E_NS1_11comp_targetILNS1_3genE3ELNS1_11target_archE908ELNS1_3gpuE7ELNS1_3repE0EEENS1_30default_config_static_selectorELNS0_4arch9wavefront6targetE0EEEvT1_,"axG",@progbits,_ZN7rocprim17ROCPRIM_400000_NS6detail17trampoline_kernelINS0_14default_configENS1_25partition_config_selectorILNS1_17partition_subalgoE8ElNS0_10empty_typeEbEEZZNS1_14partition_implILS5_8ELb0ES3_jPKlPS6_PKS6_NS0_5tupleIJPlS6_EEENSE_IJSB_SB_EEENS0_18inequality_wrapperIN6hipcub16HIPCUB_304000_NS8EqualityEEESF_JS6_EEE10hipError_tPvRmT3_T4_T5_T6_T7_T9_mT8_P12ihipStream_tbDpT10_ENKUlT_T0_E_clISt17integral_constantIbLb0EES15_IbLb1EEEEDaS11_S12_EUlS11_E_NS1_11comp_targetILNS1_3genE3ELNS1_11target_archE908ELNS1_3gpuE7ELNS1_3repE0EEENS1_30default_config_static_selectorELNS0_4arch9wavefront6targetE0EEEvT1_,comdat
.Lfunc_end253:
	.size	_ZN7rocprim17ROCPRIM_400000_NS6detail17trampoline_kernelINS0_14default_configENS1_25partition_config_selectorILNS1_17partition_subalgoE8ElNS0_10empty_typeEbEEZZNS1_14partition_implILS5_8ELb0ES3_jPKlPS6_PKS6_NS0_5tupleIJPlS6_EEENSE_IJSB_SB_EEENS0_18inequality_wrapperIN6hipcub16HIPCUB_304000_NS8EqualityEEESF_JS6_EEE10hipError_tPvRmT3_T4_T5_T6_T7_T9_mT8_P12ihipStream_tbDpT10_ENKUlT_T0_E_clISt17integral_constantIbLb0EES15_IbLb1EEEEDaS11_S12_EUlS11_E_NS1_11comp_targetILNS1_3genE3ELNS1_11target_archE908ELNS1_3gpuE7ELNS1_3repE0EEENS1_30default_config_static_selectorELNS0_4arch9wavefront6targetE0EEEvT1_, .Lfunc_end253-_ZN7rocprim17ROCPRIM_400000_NS6detail17trampoline_kernelINS0_14default_configENS1_25partition_config_selectorILNS1_17partition_subalgoE8ElNS0_10empty_typeEbEEZZNS1_14partition_implILS5_8ELb0ES3_jPKlPS6_PKS6_NS0_5tupleIJPlS6_EEENSE_IJSB_SB_EEENS0_18inequality_wrapperIN6hipcub16HIPCUB_304000_NS8EqualityEEESF_JS6_EEE10hipError_tPvRmT3_T4_T5_T6_T7_T9_mT8_P12ihipStream_tbDpT10_ENKUlT_T0_E_clISt17integral_constantIbLb0EES15_IbLb1EEEEDaS11_S12_EUlS11_E_NS1_11comp_targetILNS1_3genE3ELNS1_11target_archE908ELNS1_3gpuE7ELNS1_3repE0EEENS1_30default_config_static_selectorELNS0_4arch9wavefront6targetE0EEEvT1_
                                        ; -- End function
	.set _ZN7rocprim17ROCPRIM_400000_NS6detail17trampoline_kernelINS0_14default_configENS1_25partition_config_selectorILNS1_17partition_subalgoE8ElNS0_10empty_typeEbEEZZNS1_14partition_implILS5_8ELb0ES3_jPKlPS6_PKS6_NS0_5tupleIJPlS6_EEENSE_IJSB_SB_EEENS0_18inequality_wrapperIN6hipcub16HIPCUB_304000_NS8EqualityEEESF_JS6_EEE10hipError_tPvRmT3_T4_T5_T6_T7_T9_mT8_P12ihipStream_tbDpT10_ENKUlT_T0_E_clISt17integral_constantIbLb0EES15_IbLb1EEEEDaS11_S12_EUlS11_E_NS1_11comp_targetILNS1_3genE3ELNS1_11target_archE908ELNS1_3gpuE7ELNS1_3repE0EEENS1_30default_config_static_selectorELNS0_4arch9wavefront6targetE0EEEvT1_.num_vgpr, 0
	.set _ZN7rocprim17ROCPRIM_400000_NS6detail17trampoline_kernelINS0_14default_configENS1_25partition_config_selectorILNS1_17partition_subalgoE8ElNS0_10empty_typeEbEEZZNS1_14partition_implILS5_8ELb0ES3_jPKlPS6_PKS6_NS0_5tupleIJPlS6_EEENSE_IJSB_SB_EEENS0_18inequality_wrapperIN6hipcub16HIPCUB_304000_NS8EqualityEEESF_JS6_EEE10hipError_tPvRmT3_T4_T5_T6_T7_T9_mT8_P12ihipStream_tbDpT10_ENKUlT_T0_E_clISt17integral_constantIbLb0EES15_IbLb1EEEEDaS11_S12_EUlS11_E_NS1_11comp_targetILNS1_3genE3ELNS1_11target_archE908ELNS1_3gpuE7ELNS1_3repE0EEENS1_30default_config_static_selectorELNS0_4arch9wavefront6targetE0EEEvT1_.num_agpr, 0
	.set _ZN7rocprim17ROCPRIM_400000_NS6detail17trampoline_kernelINS0_14default_configENS1_25partition_config_selectorILNS1_17partition_subalgoE8ElNS0_10empty_typeEbEEZZNS1_14partition_implILS5_8ELb0ES3_jPKlPS6_PKS6_NS0_5tupleIJPlS6_EEENSE_IJSB_SB_EEENS0_18inequality_wrapperIN6hipcub16HIPCUB_304000_NS8EqualityEEESF_JS6_EEE10hipError_tPvRmT3_T4_T5_T6_T7_T9_mT8_P12ihipStream_tbDpT10_ENKUlT_T0_E_clISt17integral_constantIbLb0EES15_IbLb1EEEEDaS11_S12_EUlS11_E_NS1_11comp_targetILNS1_3genE3ELNS1_11target_archE908ELNS1_3gpuE7ELNS1_3repE0EEENS1_30default_config_static_selectorELNS0_4arch9wavefront6targetE0EEEvT1_.numbered_sgpr, 0
	.set _ZN7rocprim17ROCPRIM_400000_NS6detail17trampoline_kernelINS0_14default_configENS1_25partition_config_selectorILNS1_17partition_subalgoE8ElNS0_10empty_typeEbEEZZNS1_14partition_implILS5_8ELb0ES3_jPKlPS6_PKS6_NS0_5tupleIJPlS6_EEENSE_IJSB_SB_EEENS0_18inequality_wrapperIN6hipcub16HIPCUB_304000_NS8EqualityEEESF_JS6_EEE10hipError_tPvRmT3_T4_T5_T6_T7_T9_mT8_P12ihipStream_tbDpT10_ENKUlT_T0_E_clISt17integral_constantIbLb0EES15_IbLb1EEEEDaS11_S12_EUlS11_E_NS1_11comp_targetILNS1_3genE3ELNS1_11target_archE908ELNS1_3gpuE7ELNS1_3repE0EEENS1_30default_config_static_selectorELNS0_4arch9wavefront6targetE0EEEvT1_.num_named_barrier, 0
	.set _ZN7rocprim17ROCPRIM_400000_NS6detail17trampoline_kernelINS0_14default_configENS1_25partition_config_selectorILNS1_17partition_subalgoE8ElNS0_10empty_typeEbEEZZNS1_14partition_implILS5_8ELb0ES3_jPKlPS6_PKS6_NS0_5tupleIJPlS6_EEENSE_IJSB_SB_EEENS0_18inequality_wrapperIN6hipcub16HIPCUB_304000_NS8EqualityEEESF_JS6_EEE10hipError_tPvRmT3_T4_T5_T6_T7_T9_mT8_P12ihipStream_tbDpT10_ENKUlT_T0_E_clISt17integral_constantIbLb0EES15_IbLb1EEEEDaS11_S12_EUlS11_E_NS1_11comp_targetILNS1_3genE3ELNS1_11target_archE908ELNS1_3gpuE7ELNS1_3repE0EEENS1_30default_config_static_selectorELNS0_4arch9wavefront6targetE0EEEvT1_.private_seg_size, 0
	.set _ZN7rocprim17ROCPRIM_400000_NS6detail17trampoline_kernelINS0_14default_configENS1_25partition_config_selectorILNS1_17partition_subalgoE8ElNS0_10empty_typeEbEEZZNS1_14partition_implILS5_8ELb0ES3_jPKlPS6_PKS6_NS0_5tupleIJPlS6_EEENSE_IJSB_SB_EEENS0_18inequality_wrapperIN6hipcub16HIPCUB_304000_NS8EqualityEEESF_JS6_EEE10hipError_tPvRmT3_T4_T5_T6_T7_T9_mT8_P12ihipStream_tbDpT10_ENKUlT_T0_E_clISt17integral_constantIbLb0EES15_IbLb1EEEEDaS11_S12_EUlS11_E_NS1_11comp_targetILNS1_3genE3ELNS1_11target_archE908ELNS1_3gpuE7ELNS1_3repE0EEENS1_30default_config_static_selectorELNS0_4arch9wavefront6targetE0EEEvT1_.uses_vcc, 0
	.set _ZN7rocprim17ROCPRIM_400000_NS6detail17trampoline_kernelINS0_14default_configENS1_25partition_config_selectorILNS1_17partition_subalgoE8ElNS0_10empty_typeEbEEZZNS1_14partition_implILS5_8ELb0ES3_jPKlPS6_PKS6_NS0_5tupleIJPlS6_EEENSE_IJSB_SB_EEENS0_18inequality_wrapperIN6hipcub16HIPCUB_304000_NS8EqualityEEESF_JS6_EEE10hipError_tPvRmT3_T4_T5_T6_T7_T9_mT8_P12ihipStream_tbDpT10_ENKUlT_T0_E_clISt17integral_constantIbLb0EES15_IbLb1EEEEDaS11_S12_EUlS11_E_NS1_11comp_targetILNS1_3genE3ELNS1_11target_archE908ELNS1_3gpuE7ELNS1_3repE0EEENS1_30default_config_static_selectorELNS0_4arch9wavefront6targetE0EEEvT1_.uses_flat_scratch, 0
	.set _ZN7rocprim17ROCPRIM_400000_NS6detail17trampoline_kernelINS0_14default_configENS1_25partition_config_selectorILNS1_17partition_subalgoE8ElNS0_10empty_typeEbEEZZNS1_14partition_implILS5_8ELb0ES3_jPKlPS6_PKS6_NS0_5tupleIJPlS6_EEENSE_IJSB_SB_EEENS0_18inequality_wrapperIN6hipcub16HIPCUB_304000_NS8EqualityEEESF_JS6_EEE10hipError_tPvRmT3_T4_T5_T6_T7_T9_mT8_P12ihipStream_tbDpT10_ENKUlT_T0_E_clISt17integral_constantIbLb0EES15_IbLb1EEEEDaS11_S12_EUlS11_E_NS1_11comp_targetILNS1_3genE3ELNS1_11target_archE908ELNS1_3gpuE7ELNS1_3repE0EEENS1_30default_config_static_selectorELNS0_4arch9wavefront6targetE0EEEvT1_.has_dyn_sized_stack, 0
	.set _ZN7rocprim17ROCPRIM_400000_NS6detail17trampoline_kernelINS0_14default_configENS1_25partition_config_selectorILNS1_17partition_subalgoE8ElNS0_10empty_typeEbEEZZNS1_14partition_implILS5_8ELb0ES3_jPKlPS6_PKS6_NS0_5tupleIJPlS6_EEENSE_IJSB_SB_EEENS0_18inequality_wrapperIN6hipcub16HIPCUB_304000_NS8EqualityEEESF_JS6_EEE10hipError_tPvRmT3_T4_T5_T6_T7_T9_mT8_P12ihipStream_tbDpT10_ENKUlT_T0_E_clISt17integral_constantIbLb0EES15_IbLb1EEEEDaS11_S12_EUlS11_E_NS1_11comp_targetILNS1_3genE3ELNS1_11target_archE908ELNS1_3gpuE7ELNS1_3repE0EEENS1_30default_config_static_selectorELNS0_4arch9wavefront6targetE0EEEvT1_.has_recursion, 0
	.set _ZN7rocprim17ROCPRIM_400000_NS6detail17trampoline_kernelINS0_14default_configENS1_25partition_config_selectorILNS1_17partition_subalgoE8ElNS0_10empty_typeEbEEZZNS1_14partition_implILS5_8ELb0ES3_jPKlPS6_PKS6_NS0_5tupleIJPlS6_EEENSE_IJSB_SB_EEENS0_18inequality_wrapperIN6hipcub16HIPCUB_304000_NS8EqualityEEESF_JS6_EEE10hipError_tPvRmT3_T4_T5_T6_T7_T9_mT8_P12ihipStream_tbDpT10_ENKUlT_T0_E_clISt17integral_constantIbLb0EES15_IbLb1EEEEDaS11_S12_EUlS11_E_NS1_11comp_targetILNS1_3genE3ELNS1_11target_archE908ELNS1_3gpuE7ELNS1_3repE0EEENS1_30default_config_static_selectorELNS0_4arch9wavefront6targetE0EEEvT1_.has_indirect_call, 0
	.section	.AMDGPU.csdata,"",@progbits
; Kernel info:
; codeLenInByte = 0
; TotalNumSgprs: 0
; NumVgprs: 0
; ScratchSize: 0
; MemoryBound: 0
; FloatMode: 240
; IeeeMode: 1
; LDSByteSize: 0 bytes/workgroup (compile time only)
; SGPRBlocks: 0
; VGPRBlocks: 0
; NumSGPRsForWavesPerEU: 1
; NumVGPRsForWavesPerEU: 1
; NamedBarCnt: 0
; Occupancy: 16
; WaveLimiterHint : 0
; COMPUTE_PGM_RSRC2:SCRATCH_EN: 0
; COMPUTE_PGM_RSRC2:USER_SGPR: 2
; COMPUTE_PGM_RSRC2:TRAP_HANDLER: 0
; COMPUTE_PGM_RSRC2:TGID_X_EN: 1
; COMPUTE_PGM_RSRC2:TGID_Y_EN: 0
; COMPUTE_PGM_RSRC2:TGID_Z_EN: 0
; COMPUTE_PGM_RSRC2:TIDIG_COMP_CNT: 0
	.section	.text._ZN7rocprim17ROCPRIM_400000_NS6detail17trampoline_kernelINS0_14default_configENS1_25partition_config_selectorILNS1_17partition_subalgoE8ElNS0_10empty_typeEbEEZZNS1_14partition_implILS5_8ELb0ES3_jPKlPS6_PKS6_NS0_5tupleIJPlS6_EEENSE_IJSB_SB_EEENS0_18inequality_wrapperIN6hipcub16HIPCUB_304000_NS8EqualityEEESF_JS6_EEE10hipError_tPvRmT3_T4_T5_T6_T7_T9_mT8_P12ihipStream_tbDpT10_ENKUlT_T0_E_clISt17integral_constantIbLb0EES15_IbLb1EEEEDaS11_S12_EUlS11_E_NS1_11comp_targetILNS1_3genE2ELNS1_11target_archE906ELNS1_3gpuE6ELNS1_3repE0EEENS1_30default_config_static_selectorELNS0_4arch9wavefront6targetE0EEEvT1_,"axG",@progbits,_ZN7rocprim17ROCPRIM_400000_NS6detail17trampoline_kernelINS0_14default_configENS1_25partition_config_selectorILNS1_17partition_subalgoE8ElNS0_10empty_typeEbEEZZNS1_14partition_implILS5_8ELb0ES3_jPKlPS6_PKS6_NS0_5tupleIJPlS6_EEENSE_IJSB_SB_EEENS0_18inequality_wrapperIN6hipcub16HIPCUB_304000_NS8EqualityEEESF_JS6_EEE10hipError_tPvRmT3_T4_T5_T6_T7_T9_mT8_P12ihipStream_tbDpT10_ENKUlT_T0_E_clISt17integral_constantIbLb0EES15_IbLb1EEEEDaS11_S12_EUlS11_E_NS1_11comp_targetILNS1_3genE2ELNS1_11target_archE906ELNS1_3gpuE6ELNS1_3repE0EEENS1_30default_config_static_selectorELNS0_4arch9wavefront6targetE0EEEvT1_,comdat
	.protected	_ZN7rocprim17ROCPRIM_400000_NS6detail17trampoline_kernelINS0_14default_configENS1_25partition_config_selectorILNS1_17partition_subalgoE8ElNS0_10empty_typeEbEEZZNS1_14partition_implILS5_8ELb0ES3_jPKlPS6_PKS6_NS0_5tupleIJPlS6_EEENSE_IJSB_SB_EEENS0_18inequality_wrapperIN6hipcub16HIPCUB_304000_NS8EqualityEEESF_JS6_EEE10hipError_tPvRmT3_T4_T5_T6_T7_T9_mT8_P12ihipStream_tbDpT10_ENKUlT_T0_E_clISt17integral_constantIbLb0EES15_IbLb1EEEEDaS11_S12_EUlS11_E_NS1_11comp_targetILNS1_3genE2ELNS1_11target_archE906ELNS1_3gpuE6ELNS1_3repE0EEENS1_30default_config_static_selectorELNS0_4arch9wavefront6targetE0EEEvT1_ ; -- Begin function _ZN7rocprim17ROCPRIM_400000_NS6detail17trampoline_kernelINS0_14default_configENS1_25partition_config_selectorILNS1_17partition_subalgoE8ElNS0_10empty_typeEbEEZZNS1_14partition_implILS5_8ELb0ES3_jPKlPS6_PKS6_NS0_5tupleIJPlS6_EEENSE_IJSB_SB_EEENS0_18inequality_wrapperIN6hipcub16HIPCUB_304000_NS8EqualityEEESF_JS6_EEE10hipError_tPvRmT3_T4_T5_T6_T7_T9_mT8_P12ihipStream_tbDpT10_ENKUlT_T0_E_clISt17integral_constantIbLb0EES15_IbLb1EEEEDaS11_S12_EUlS11_E_NS1_11comp_targetILNS1_3genE2ELNS1_11target_archE906ELNS1_3gpuE6ELNS1_3repE0EEENS1_30default_config_static_selectorELNS0_4arch9wavefront6targetE0EEEvT1_
	.globl	_ZN7rocprim17ROCPRIM_400000_NS6detail17trampoline_kernelINS0_14default_configENS1_25partition_config_selectorILNS1_17partition_subalgoE8ElNS0_10empty_typeEbEEZZNS1_14partition_implILS5_8ELb0ES3_jPKlPS6_PKS6_NS0_5tupleIJPlS6_EEENSE_IJSB_SB_EEENS0_18inequality_wrapperIN6hipcub16HIPCUB_304000_NS8EqualityEEESF_JS6_EEE10hipError_tPvRmT3_T4_T5_T6_T7_T9_mT8_P12ihipStream_tbDpT10_ENKUlT_T0_E_clISt17integral_constantIbLb0EES15_IbLb1EEEEDaS11_S12_EUlS11_E_NS1_11comp_targetILNS1_3genE2ELNS1_11target_archE906ELNS1_3gpuE6ELNS1_3repE0EEENS1_30default_config_static_selectorELNS0_4arch9wavefront6targetE0EEEvT1_
	.p2align	8
	.type	_ZN7rocprim17ROCPRIM_400000_NS6detail17trampoline_kernelINS0_14default_configENS1_25partition_config_selectorILNS1_17partition_subalgoE8ElNS0_10empty_typeEbEEZZNS1_14partition_implILS5_8ELb0ES3_jPKlPS6_PKS6_NS0_5tupleIJPlS6_EEENSE_IJSB_SB_EEENS0_18inequality_wrapperIN6hipcub16HIPCUB_304000_NS8EqualityEEESF_JS6_EEE10hipError_tPvRmT3_T4_T5_T6_T7_T9_mT8_P12ihipStream_tbDpT10_ENKUlT_T0_E_clISt17integral_constantIbLb0EES15_IbLb1EEEEDaS11_S12_EUlS11_E_NS1_11comp_targetILNS1_3genE2ELNS1_11target_archE906ELNS1_3gpuE6ELNS1_3repE0EEENS1_30default_config_static_selectorELNS0_4arch9wavefront6targetE0EEEvT1_,@function
_ZN7rocprim17ROCPRIM_400000_NS6detail17trampoline_kernelINS0_14default_configENS1_25partition_config_selectorILNS1_17partition_subalgoE8ElNS0_10empty_typeEbEEZZNS1_14partition_implILS5_8ELb0ES3_jPKlPS6_PKS6_NS0_5tupleIJPlS6_EEENSE_IJSB_SB_EEENS0_18inequality_wrapperIN6hipcub16HIPCUB_304000_NS8EqualityEEESF_JS6_EEE10hipError_tPvRmT3_T4_T5_T6_T7_T9_mT8_P12ihipStream_tbDpT10_ENKUlT_T0_E_clISt17integral_constantIbLb0EES15_IbLb1EEEEDaS11_S12_EUlS11_E_NS1_11comp_targetILNS1_3genE2ELNS1_11target_archE906ELNS1_3gpuE6ELNS1_3repE0EEENS1_30default_config_static_selectorELNS0_4arch9wavefront6targetE0EEEvT1_: ; @_ZN7rocprim17ROCPRIM_400000_NS6detail17trampoline_kernelINS0_14default_configENS1_25partition_config_selectorILNS1_17partition_subalgoE8ElNS0_10empty_typeEbEEZZNS1_14partition_implILS5_8ELb0ES3_jPKlPS6_PKS6_NS0_5tupleIJPlS6_EEENSE_IJSB_SB_EEENS0_18inequality_wrapperIN6hipcub16HIPCUB_304000_NS8EqualityEEESF_JS6_EEE10hipError_tPvRmT3_T4_T5_T6_T7_T9_mT8_P12ihipStream_tbDpT10_ENKUlT_T0_E_clISt17integral_constantIbLb0EES15_IbLb1EEEEDaS11_S12_EUlS11_E_NS1_11comp_targetILNS1_3genE2ELNS1_11target_archE906ELNS1_3gpuE6ELNS1_3repE0EEENS1_30default_config_static_selectorELNS0_4arch9wavefront6targetE0EEEvT1_
; %bb.0:
	.section	.rodata,"a",@progbits
	.p2align	6, 0x0
	.amdhsa_kernel _ZN7rocprim17ROCPRIM_400000_NS6detail17trampoline_kernelINS0_14default_configENS1_25partition_config_selectorILNS1_17partition_subalgoE8ElNS0_10empty_typeEbEEZZNS1_14partition_implILS5_8ELb0ES3_jPKlPS6_PKS6_NS0_5tupleIJPlS6_EEENSE_IJSB_SB_EEENS0_18inequality_wrapperIN6hipcub16HIPCUB_304000_NS8EqualityEEESF_JS6_EEE10hipError_tPvRmT3_T4_T5_T6_T7_T9_mT8_P12ihipStream_tbDpT10_ENKUlT_T0_E_clISt17integral_constantIbLb0EES15_IbLb1EEEEDaS11_S12_EUlS11_E_NS1_11comp_targetILNS1_3genE2ELNS1_11target_archE906ELNS1_3gpuE6ELNS1_3repE0EEENS1_30default_config_static_selectorELNS0_4arch9wavefront6targetE0EEEvT1_
		.amdhsa_group_segment_fixed_size 0
		.amdhsa_private_segment_fixed_size 0
		.amdhsa_kernarg_size 128
		.amdhsa_user_sgpr_count 2
		.amdhsa_user_sgpr_dispatch_ptr 0
		.amdhsa_user_sgpr_queue_ptr 0
		.amdhsa_user_sgpr_kernarg_segment_ptr 1
		.amdhsa_user_sgpr_dispatch_id 0
		.amdhsa_user_sgpr_kernarg_preload_length 0
		.amdhsa_user_sgpr_kernarg_preload_offset 0
		.amdhsa_user_sgpr_private_segment_size 0
		.amdhsa_wavefront_size32 1
		.amdhsa_uses_dynamic_stack 0
		.amdhsa_enable_private_segment 0
		.amdhsa_system_sgpr_workgroup_id_x 1
		.amdhsa_system_sgpr_workgroup_id_y 0
		.amdhsa_system_sgpr_workgroup_id_z 0
		.amdhsa_system_sgpr_workgroup_info 0
		.amdhsa_system_vgpr_workitem_id 0
		.amdhsa_next_free_vgpr 1
		.amdhsa_next_free_sgpr 1
		.amdhsa_named_barrier_count 0
		.amdhsa_reserve_vcc 0
		.amdhsa_float_round_mode_32 0
		.amdhsa_float_round_mode_16_64 0
		.amdhsa_float_denorm_mode_32 3
		.amdhsa_float_denorm_mode_16_64 3
		.amdhsa_fp16_overflow 0
		.amdhsa_memory_ordered 1
		.amdhsa_forward_progress 1
		.amdhsa_inst_pref_size 0
		.amdhsa_round_robin_scheduling 0
		.amdhsa_exception_fp_ieee_invalid_op 0
		.amdhsa_exception_fp_denorm_src 0
		.amdhsa_exception_fp_ieee_div_zero 0
		.amdhsa_exception_fp_ieee_overflow 0
		.amdhsa_exception_fp_ieee_underflow 0
		.amdhsa_exception_fp_ieee_inexact 0
		.amdhsa_exception_int_div_zero 0
	.end_amdhsa_kernel
	.section	.text._ZN7rocprim17ROCPRIM_400000_NS6detail17trampoline_kernelINS0_14default_configENS1_25partition_config_selectorILNS1_17partition_subalgoE8ElNS0_10empty_typeEbEEZZNS1_14partition_implILS5_8ELb0ES3_jPKlPS6_PKS6_NS0_5tupleIJPlS6_EEENSE_IJSB_SB_EEENS0_18inequality_wrapperIN6hipcub16HIPCUB_304000_NS8EqualityEEESF_JS6_EEE10hipError_tPvRmT3_T4_T5_T6_T7_T9_mT8_P12ihipStream_tbDpT10_ENKUlT_T0_E_clISt17integral_constantIbLb0EES15_IbLb1EEEEDaS11_S12_EUlS11_E_NS1_11comp_targetILNS1_3genE2ELNS1_11target_archE906ELNS1_3gpuE6ELNS1_3repE0EEENS1_30default_config_static_selectorELNS0_4arch9wavefront6targetE0EEEvT1_,"axG",@progbits,_ZN7rocprim17ROCPRIM_400000_NS6detail17trampoline_kernelINS0_14default_configENS1_25partition_config_selectorILNS1_17partition_subalgoE8ElNS0_10empty_typeEbEEZZNS1_14partition_implILS5_8ELb0ES3_jPKlPS6_PKS6_NS0_5tupleIJPlS6_EEENSE_IJSB_SB_EEENS0_18inequality_wrapperIN6hipcub16HIPCUB_304000_NS8EqualityEEESF_JS6_EEE10hipError_tPvRmT3_T4_T5_T6_T7_T9_mT8_P12ihipStream_tbDpT10_ENKUlT_T0_E_clISt17integral_constantIbLb0EES15_IbLb1EEEEDaS11_S12_EUlS11_E_NS1_11comp_targetILNS1_3genE2ELNS1_11target_archE906ELNS1_3gpuE6ELNS1_3repE0EEENS1_30default_config_static_selectorELNS0_4arch9wavefront6targetE0EEEvT1_,comdat
.Lfunc_end254:
	.size	_ZN7rocprim17ROCPRIM_400000_NS6detail17trampoline_kernelINS0_14default_configENS1_25partition_config_selectorILNS1_17partition_subalgoE8ElNS0_10empty_typeEbEEZZNS1_14partition_implILS5_8ELb0ES3_jPKlPS6_PKS6_NS0_5tupleIJPlS6_EEENSE_IJSB_SB_EEENS0_18inequality_wrapperIN6hipcub16HIPCUB_304000_NS8EqualityEEESF_JS6_EEE10hipError_tPvRmT3_T4_T5_T6_T7_T9_mT8_P12ihipStream_tbDpT10_ENKUlT_T0_E_clISt17integral_constantIbLb0EES15_IbLb1EEEEDaS11_S12_EUlS11_E_NS1_11comp_targetILNS1_3genE2ELNS1_11target_archE906ELNS1_3gpuE6ELNS1_3repE0EEENS1_30default_config_static_selectorELNS0_4arch9wavefront6targetE0EEEvT1_, .Lfunc_end254-_ZN7rocprim17ROCPRIM_400000_NS6detail17trampoline_kernelINS0_14default_configENS1_25partition_config_selectorILNS1_17partition_subalgoE8ElNS0_10empty_typeEbEEZZNS1_14partition_implILS5_8ELb0ES3_jPKlPS6_PKS6_NS0_5tupleIJPlS6_EEENSE_IJSB_SB_EEENS0_18inequality_wrapperIN6hipcub16HIPCUB_304000_NS8EqualityEEESF_JS6_EEE10hipError_tPvRmT3_T4_T5_T6_T7_T9_mT8_P12ihipStream_tbDpT10_ENKUlT_T0_E_clISt17integral_constantIbLb0EES15_IbLb1EEEEDaS11_S12_EUlS11_E_NS1_11comp_targetILNS1_3genE2ELNS1_11target_archE906ELNS1_3gpuE6ELNS1_3repE0EEENS1_30default_config_static_selectorELNS0_4arch9wavefront6targetE0EEEvT1_
                                        ; -- End function
	.set _ZN7rocprim17ROCPRIM_400000_NS6detail17trampoline_kernelINS0_14default_configENS1_25partition_config_selectorILNS1_17partition_subalgoE8ElNS0_10empty_typeEbEEZZNS1_14partition_implILS5_8ELb0ES3_jPKlPS6_PKS6_NS0_5tupleIJPlS6_EEENSE_IJSB_SB_EEENS0_18inequality_wrapperIN6hipcub16HIPCUB_304000_NS8EqualityEEESF_JS6_EEE10hipError_tPvRmT3_T4_T5_T6_T7_T9_mT8_P12ihipStream_tbDpT10_ENKUlT_T0_E_clISt17integral_constantIbLb0EES15_IbLb1EEEEDaS11_S12_EUlS11_E_NS1_11comp_targetILNS1_3genE2ELNS1_11target_archE906ELNS1_3gpuE6ELNS1_3repE0EEENS1_30default_config_static_selectorELNS0_4arch9wavefront6targetE0EEEvT1_.num_vgpr, 0
	.set _ZN7rocprim17ROCPRIM_400000_NS6detail17trampoline_kernelINS0_14default_configENS1_25partition_config_selectorILNS1_17partition_subalgoE8ElNS0_10empty_typeEbEEZZNS1_14partition_implILS5_8ELb0ES3_jPKlPS6_PKS6_NS0_5tupleIJPlS6_EEENSE_IJSB_SB_EEENS0_18inequality_wrapperIN6hipcub16HIPCUB_304000_NS8EqualityEEESF_JS6_EEE10hipError_tPvRmT3_T4_T5_T6_T7_T9_mT8_P12ihipStream_tbDpT10_ENKUlT_T0_E_clISt17integral_constantIbLb0EES15_IbLb1EEEEDaS11_S12_EUlS11_E_NS1_11comp_targetILNS1_3genE2ELNS1_11target_archE906ELNS1_3gpuE6ELNS1_3repE0EEENS1_30default_config_static_selectorELNS0_4arch9wavefront6targetE0EEEvT1_.num_agpr, 0
	.set _ZN7rocprim17ROCPRIM_400000_NS6detail17trampoline_kernelINS0_14default_configENS1_25partition_config_selectorILNS1_17partition_subalgoE8ElNS0_10empty_typeEbEEZZNS1_14partition_implILS5_8ELb0ES3_jPKlPS6_PKS6_NS0_5tupleIJPlS6_EEENSE_IJSB_SB_EEENS0_18inequality_wrapperIN6hipcub16HIPCUB_304000_NS8EqualityEEESF_JS6_EEE10hipError_tPvRmT3_T4_T5_T6_T7_T9_mT8_P12ihipStream_tbDpT10_ENKUlT_T0_E_clISt17integral_constantIbLb0EES15_IbLb1EEEEDaS11_S12_EUlS11_E_NS1_11comp_targetILNS1_3genE2ELNS1_11target_archE906ELNS1_3gpuE6ELNS1_3repE0EEENS1_30default_config_static_selectorELNS0_4arch9wavefront6targetE0EEEvT1_.numbered_sgpr, 0
	.set _ZN7rocprim17ROCPRIM_400000_NS6detail17trampoline_kernelINS0_14default_configENS1_25partition_config_selectorILNS1_17partition_subalgoE8ElNS0_10empty_typeEbEEZZNS1_14partition_implILS5_8ELb0ES3_jPKlPS6_PKS6_NS0_5tupleIJPlS6_EEENSE_IJSB_SB_EEENS0_18inequality_wrapperIN6hipcub16HIPCUB_304000_NS8EqualityEEESF_JS6_EEE10hipError_tPvRmT3_T4_T5_T6_T7_T9_mT8_P12ihipStream_tbDpT10_ENKUlT_T0_E_clISt17integral_constantIbLb0EES15_IbLb1EEEEDaS11_S12_EUlS11_E_NS1_11comp_targetILNS1_3genE2ELNS1_11target_archE906ELNS1_3gpuE6ELNS1_3repE0EEENS1_30default_config_static_selectorELNS0_4arch9wavefront6targetE0EEEvT1_.num_named_barrier, 0
	.set _ZN7rocprim17ROCPRIM_400000_NS6detail17trampoline_kernelINS0_14default_configENS1_25partition_config_selectorILNS1_17partition_subalgoE8ElNS0_10empty_typeEbEEZZNS1_14partition_implILS5_8ELb0ES3_jPKlPS6_PKS6_NS0_5tupleIJPlS6_EEENSE_IJSB_SB_EEENS0_18inequality_wrapperIN6hipcub16HIPCUB_304000_NS8EqualityEEESF_JS6_EEE10hipError_tPvRmT3_T4_T5_T6_T7_T9_mT8_P12ihipStream_tbDpT10_ENKUlT_T0_E_clISt17integral_constantIbLb0EES15_IbLb1EEEEDaS11_S12_EUlS11_E_NS1_11comp_targetILNS1_3genE2ELNS1_11target_archE906ELNS1_3gpuE6ELNS1_3repE0EEENS1_30default_config_static_selectorELNS0_4arch9wavefront6targetE0EEEvT1_.private_seg_size, 0
	.set _ZN7rocprim17ROCPRIM_400000_NS6detail17trampoline_kernelINS0_14default_configENS1_25partition_config_selectorILNS1_17partition_subalgoE8ElNS0_10empty_typeEbEEZZNS1_14partition_implILS5_8ELb0ES3_jPKlPS6_PKS6_NS0_5tupleIJPlS6_EEENSE_IJSB_SB_EEENS0_18inequality_wrapperIN6hipcub16HIPCUB_304000_NS8EqualityEEESF_JS6_EEE10hipError_tPvRmT3_T4_T5_T6_T7_T9_mT8_P12ihipStream_tbDpT10_ENKUlT_T0_E_clISt17integral_constantIbLb0EES15_IbLb1EEEEDaS11_S12_EUlS11_E_NS1_11comp_targetILNS1_3genE2ELNS1_11target_archE906ELNS1_3gpuE6ELNS1_3repE0EEENS1_30default_config_static_selectorELNS0_4arch9wavefront6targetE0EEEvT1_.uses_vcc, 0
	.set _ZN7rocprim17ROCPRIM_400000_NS6detail17trampoline_kernelINS0_14default_configENS1_25partition_config_selectorILNS1_17partition_subalgoE8ElNS0_10empty_typeEbEEZZNS1_14partition_implILS5_8ELb0ES3_jPKlPS6_PKS6_NS0_5tupleIJPlS6_EEENSE_IJSB_SB_EEENS0_18inequality_wrapperIN6hipcub16HIPCUB_304000_NS8EqualityEEESF_JS6_EEE10hipError_tPvRmT3_T4_T5_T6_T7_T9_mT8_P12ihipStream_tbDpT10_ENKUlT_T0_E_clISt17integral_constantIbLb0EES15_IbLb1EEEEDaS11_S12_EUlS11_E_NS1_11comp_targetILNS1_3genE2ELNS1_11target_archE906ELNS1_3gpuE6ELNS1_3repE0EEENS1_30default_config_static_selectorELNS0_4arch9wavefront6targetE0EEEvT1_.uses_flat_scratch, 0
	.set _ZN7rocprim17ROCPRIM_400000_NS6detail17trampoline_kernelINS0_14default_configENS1_25partition_config_selectorILNS1_17partition_subalgoE8ElNS0_10empty_typeEbEEZZNS1_14partition_implILS5_8ELb0ES3_jPKlPS6_PKS6_NS0_5tupleIJPlS6_EEENSE_IJSB_SB_EEENS0_18inequality_wrapperIN6hipcub16HIPCUB_304000_NS8EqualityEEESF_JS6_EEE10hipError_tPvRmT3_T4_T5_T6_T7_T9_mT8_P12ihipStream_tbDpT10_ENKUlT_T0_E_clISt17integral_constantIbLb0EES15_IbLb1EEEEDaS11_S12_EUlS11_E_NS1_11comp_targetILNS1_3genE2ELNS1_11target_archE906ELNS1_3gpuE6ELNS1_3repE0EEENS1_30default_config_static_selectorELNS0_4arch9wavefront6targetE0EEEvT1_.has_dyn_sized_stack, 0
	.set _ZN7rocprim17ROCPRIM_400000_NS6detail17trampoline_kernelINS0_14default_configENS1_25partition_config_selectorILNS1_17partition_subalgoE8ElNS0_10empty_typeEbEEZZNS1_14partition_implILS5_8ELb0ES3_jPKlPS6_PKS6_NS0_5tupleIJPlS6_EEENSE_IJSB_SB_EEENS0_18inequality_wrapperIN6hipcub16HIPCUB_304000_NS8EqualityEEESF_JS6_EEE10hipError_tPvRmT3_T4_T5_T6_T7_T9_mT8_P12ihipStream_tbDpT10_ENKUlT_T0_E_clISt17integral_constantIbLb0EES15_IbLb1EEEEDaS11_S12_EUlS11_E_NS1_11comp_targetILNS1_3genE2ELNS1_11target_archE906ELNS1_3gpuE6ELNS1_3repE0EEENS1_30default_config_static_selectorELNS0_4arch9wavefront6targetE0EEEvT1_.has_recursion, 0
	.set _ZN7rocprim17ROCPRIM_400000_NS6detail17trampoline_kernelINS0_14default_configENS1_25partition_config_selectorILNS1_17partition_subalgoE8ElNS0_10empty_typeEbEEZZNS1_14partition_implILS5_8ELb0ES3_jPKlPS6_PKS6_NS0_5tupleIJPlS6_EEENSE_IJSB_SB_EEENS0_18inequality_wrapperIN6hipcub16HIPCUB_304000_NS8EqualityEEESF_JS6_EEE10hipError_tPvRmT3_T4_T5_T6_T7_T9_mT8_P12ihipStream_tbDpT10_ENKUlT_T0_E_clISt17integral_constantIbLb0EES15_IbLb1EEEEDaS11_S12_EUlS11_E_NS1_11comp_targetILNS1_3genE2ELNS1_11target_archE906ELNS1_3gpuE6ELNS1_3repE0EEENS1_30default_config_static_selectorELNS0_4arch9wavefront6targetE0EEEvT1_.has_indirect_call, 0
	.section	.AMDGPU.csdata,"",@progbits
; Kernel info:
; codeLenInByte = 0
; TotalNumSgprs: 0
; NumVgprs: 0
; ScratchSize: 0
; MemoryBound: 0
; FloatMode: 240
; IeeeMode: 1
; LDSByteSize: 0 bytes/workgroup (compile time only)
; SGPRBlocks: 0
; VGPRBlocks: 0
; NumSGPRsForWavesPerEU: 1
; NumVGPRsForWavesPerEU: 1
; NamedBarCnt: 0
; Occupancy: 16
; WaveLimiterHint : 0
; COMPUTE_PGM_RSRC2:SCRATCH_EN: 0
; COMPUTE_PGM_RSRC2:USER_SGPR: 2
; COMPUTE_PGM_RSRC2:TRAP_HANDLER: 0
; COMPUTE_PGM_RSRC2:TGID_X_EN: 1
; COMPUTE_PGM_RSRC2:TGID_Y_EN: 0
; COMPUTE_PGM_RSRC2:TGID_Z_EN: 0
; COMPUTE_PGM_RSRC2:TIDIG_COMP_CNT: 0
	.section	.text._ZN7rocprim17ROCPRIM_400000_NS6detail17trampoline_kernelINS0_14default_configENS1_25partition_config_selectorILNS1_17partition_subalgoE8ElNS0_10empty_typeEbEEZZNS1_14partition_implILS5_8ELb0ES3_jPKlPS6_PKS6_NS0_5tupleIJPlS6_EEENSE_IJSB_SB_EEENS0_18inequality_wrapperIN6hipcub16HIPCUB_304000_NS8EqualityEEESF_JS6_EEE10hipError_tPvRmT3_T4_T5_T6_T7_T9_mT8_P12ihipStream_tbDpT10_ENKUlT_T0_E_clISt17integral_constantIbLb0EES15_IbLb1EEEEDaS11_S12_EUlS11_E_NS1_11comp_targetILNS1_3genE10ELNS1_11target_archE1200ELNS1_3gpuE4ELNS1_3repE0EEENS1_30default_config_static_selectorELNS0_4arch9wavefront6targetE0EEEvT1_,"axG",@progbits,_ZN7rocprim17ROCPRIM_400000_NS6detail17trampoline_kernelINS0_14default_configENS1_25partition_config_selectorILNS1_17partition_subalgoE8ElNS0_10empty_typeEbEEZZNS1_14partition_implILS5_8ELb0ES3_jPKlPS6_PKS6_NS0_5tupleIJPlS6_EEENSE_IJSB_SB_EEENS0_18inequality_wrapperIN6hipcub16HIPCUB_304000_NS8EqualityEEESF_JS6_EEE10hipError_tPvRmT3_T4_T5_T6_T7_T9_mT8_P12ihipStream_tbDpT10_ENKUlT_T0_E_clISt17integral_constantIbLb0EES15_IbLb1EEEEDaS11_S12_EUlS11_E_NS1_11comp_targetILNS1_3genE10ELNS1_11target_archE1200ELNS1_3gpuE4ELNS1_3repE0EEENS1_30default_config_static_selectorELNS0_4arch9wavefront6targetE0EEEvT1_,comdat
	.protected	_ZN7rocprim17ROCPRIM_400000_NS6detail17trampoline_kernelINS0_14default_configENS1_25partition_config_selectorILNS1_17partition_subalgoE8ElNS0_10empty_typeEbEEZZNS1_14partition_implILS5_8ELb0ES3_jPKlPS6_PKS6_NS0_5tupleIJPlS6_EEENSE_IJSB_SB_EEENS0_18inequality_wrapperIN6hipcub16HIPCUB_304000_NS8EqualityEEESF_JS6_EEE10hipError_tPvRmT3_T4_T5_T6_T7_T9_mT8_P12ihipStream_tbDpT10_ENKUlT_T0_E_clISt17integral_constantIbLb0EES15_IbLb1EEEEDaS11_S12_EUlS11_E_NS1_11comp_targetILNS1_3genE10ELNS1_11target_archE1200ELNS1_3gpuE4ELNS1_3repE0EEENS1_30default_config_static_selectorELNS0_4arch9wavefront6targetE0EEEvT1_ ; -- Begin function _ZN7rocprim17ROCPRIM_400000_NS6detail17trampoline_kernelINS0_14default_configENS1_25partition_config_selectorILNS1_17partition_subalgoE8ElNS0_10empty_typeEbEEZZNS1_14partition_implILS5_8ELb0ES3_jPKlPS6_PKS6_NS0_5tupleIJPlS6_EEENSE_IJSB_SB_EEENS0_18inequality_wrapperIN6hipcub16HIPCUB_304000_NS8EqualityEEESF_JS6_EEE10hipError_tPvRmT3_T4_T5_T6_T7_T9_mT8_P12ihipStream_tbDpT10_ENKUlT_T0_E_clISt17integral_constantIbLb0EES15_IbLb1EEEEDaS11_S12_EUlS11_E_NS1_11comp_targetILNS1_3genE10ELNS1_11target_archE1200ELNS1_3gpuE4ELNS1_3repE0EEENS1_30default_config_static_selectorELNS0_4arch9wavefront6targetE0EEEvT1_
	.globl	_ZN7rocprim17ROCPRIM_400000_NS6detail17trampoline_kernelINS0_14default_configENS1_25partition_config_selectorILNS1_17partition_subalgoE8ElNS0_10empty_typeEbEEZZNS1_14partition_implILS5_8ELb0ES3_jPKlPS6_PKS6_NS0_5tupleIJPlS6_EEENSE_IJSB_SB_EEENS0_18inequality_wrapperIN6hipcub16HIPCUB_304000_NS8EqualityEEESF_JS6_EEE10hipError_tPvRmT3_T4_T5_T6_T7_T9_mT8_P12ihipStream_tbDpT10_ENKUlT_T0_E_clISt17integral_constantIbLb0EES15_IbLb1EEEEDaS11_S12_EUlS11_E_NS1_11comp_targetILNS1_3genE10ELNS1_11target_archE1200ELNS1_3gpuE4ELNS1_3repE0EEENS1_30default_config_static_selectorELNS0_4arch9wavefront6targetE0EEEvT1_
	.p2align	8
	.type	_ZN7rocprim17ROCPRIM_400000_NS6detail17trampoline_kernelINS0_14default_configENS1_25partition_config_selectorILNS1_17partition_subalgoE8ElNS0_10empty_typeEbEEZZNS1_14partition_implILS5_8ELb0ES3_jPKlPS6_PKS6_NS0_5tupleIJPlS6_EEENSE_IJSB_SB_EEENS0_18inequality_wrapperIN6hipcub16HIPCUB_304000_NS8EqualityEEESF_JS6_EEE10hipError_tPvRmT3_T4_T5_T6_T7_T9_mT8_P12ihipStream_tbDpT10_ENKUlT_T0_E_clISt17integral_constantIbLb0EES15_IbLb1EEEEDaS11_S12_EUlS11_E_NS1_11comp_targetILNS1_3genE10ELNS1_11target_archE1200ELNS1_3gpuE4ELNS1_3repE0EEENS1_30default_config_static_selectorELNS0_4arch9wavefront6targetE0EEEvT1_,@function
_ZN7rocprim17ROCPRIM_400000_NS6detail17trampoline_kernelINS0_14default_configENS1_25partition_config_selectorILNS1_17partition_subalgoE8ElNS0_10empty_typeEbEEZZNS1_14partition_implILS5_8ELb0ES3_jPKlPS6_PKS6_NS0_5tupleIJPlS6_EEENSE_IJSB_SB_EEENS0_18inequality_wrapperIN6hipcub16HIPCUB_304000_NS8EqualityEEESF_JS6_EEE10hipError_tPvRmT3_T4_T5_T6_T7_T9_mT8_P12ihipStream_tbDpT10_ENKUlT_T0_E_clISt17integral_constantIbLb0EES15_IbLb1EEEEDaS11_S12_EUlS11_E_NS1_11comp_targetILNS1_3genE10ELNS1_11target_archE1200ELNS1_3gpuE4ELNS1_3repE0EEENS1_30default_config_static_selectorELNS0_4arch9wavefront6targetE0EEEvT1_: ; @_ZN7rocprim17ROCPRIM_400000_NS6detail17trampoline_kernelINS0_14default_configENS1_25partition_config_selectorILNS1_17partition_subalgoE8ElNS0_10empty_typeEbEEZZNS1_14partition_implILS5_8ELb0ES3_jPKlPS6_PKS6_NS0_5tupleIJPlS6_EEENSE_IJSB_SB_EEENS0_18inequality_wrapperIN6hipcub16HIPCUB_304000_NS8EqualityEEESF_JS6_EEE10hipError_tPvRmT3_T4_T5_T6_T7_T9_mT8_P12ihipStream_tbDpT10_ENKUlT_T0_E_clISt17integral_constantIbLb0EES15_IbLb1EEEEDaS11_S12_EUlS11_E_NS1_11comp_targetILNS1_3genE10ELNS1_11target_archE1200ELNS1_3gpuE4ELNS1_3repE0EEENS1_30default_config_static_selectorELNS0_4arch9wavefront6targetE0EEEvT1_
; %bb.0:
	.section	.rodata,"a",@progbits
	.p2align	6, 0x0
	.amdhsa_kernel _ZN7rocprim17ROCPRIM_400000_NS6detail17trampoline_kernelINS0_14default_configENS1_25partition_config_selectorILNS1_17partition_subalgoE8ElNS0_10empty_typeEbEEZZNS1_14partition_implILS5_8ELb0ES3_jPKlPS6_PKS6_NS0_5tupleIJPlS6_EEENSE_IJSB_SB_EEENS0_18inequality_wrapperIN6hipcub16HIPCUB_304000_NS8EqualityEEESF_JS6_EEE10hipError_tPvRmT3_T4_T5_T6_T7_T9_mT8_P12ihipStream_tbDpT10_ENKUlT_T0_E_clISt17integral_constantIbLb0EES15_IbLb1EEEEDaS11_S12_EUlS11_E_NS1_11comp_targetILNS1_3genE10ELNS1_11target_archE1200ELNS1_3gpuE4ELNS1_3repE0EEENS1_30default_config_static_selectorELNS0_4arch9wavefront6targetE0EEEvT1_
		.amdhsa_group_segment_fixed_size 0
		.amdhsa_private_segment_fixed_size 0
		.amdhsa_kernarg_size 128
		.amdhsa_user_sgpr_count 2
		.amdhsa_user_sgpr_dispatch_ptr 0
		.amdhsa_user_sgpr_queue_ptr 0
		.amdhsa_user_sgpr_kernarg_segment_ptr 1
		.amdhsa_user_sgpr_dispatch_id 0
		.amdhsa_user_sgpr_kernarg_preload_length 0
		.amdhsa_user_sgpr_kernarg_preload_offset 0
		.amdhsa_user_sgpr_private_segment_size 0
		.amdhsa_wavefront_size32 1
		.amdhsa_uses_dynamic_stack 0
		.amdhsa_enable_private_segment 0
		.amdhsa_system_sgpr_workgroup_id_x 1
		.amdhsa_system_sgpr_workgroup_id_y 0
		.amdhsa_system_sgpr_workgroup_id_z 0
		.amdhsa_system_sgpr_workgroup_info 0
		.amdhsa_system_vgpr_workitem_id 0
		.amdhsa_next_free_vgpr 1
		.amdhsa_next_free_sgpr 1
		.amdhsa_named_barrier_count 0
		.amdhsa_reserve_vcc 0
		.amdhsa_float_round_mode_32 0
		.amdhsa_float_round_mode_16_64 0
		.amdhsa_float_denorm_mode_32 3
		.amdhsa_float_denorm_mode_16_64 3
		.amdhsa_fp16_overflow 0
		.amdhsa_memory_ordered 1
		.amdhsa_forward_progress 1
		.amdhsa_inst_pref_size 0
		.amdhsa_round_robin_scheduling 0
		.amdhsa_exception_fp_ieee_invalid_op 0
		.amdhsa_exception_fp_denorm_src 0
		.amdhsa_exception_fp_ieee_div_zero 0
		.amdhsa_exception_fp_ieee_overflow 0
		.amdhsa_exception_fp_ieee_underflow 0
		.amdhsa_exception_fp_ieee_inexact 0
		.amdhsa_exception_int_div_zero 0
	.end_amdhsa_kernel
	.section	.text._ZN7rocprim17ROCPRIM_400000_NS6detail17trampoline_kernelINS0_14default_configENS1_25partition_config_selectorILNS1_17partition_subalgoE8ElNS0_10empty_typeEbEEZZNS1_14partition_implILS5_8ELb0ES3_jPKlPS6_PKS6_NS0_5tupleIJPlS6_EEENSE_IJSB_SB_EEENS0_18inequality_wrapperIN6hipcub16HIPCUB_304000_NS8EqualityEEESF_JS6_EEE10hipError_tPvRmT3_T4_T5_T6_T7_T9_mT8_P12ihipStream_tbDpT10_ENKUlT_T0_E_clISt17integral_constantIbLb0EES15_IbLb1EEEEDaS11_S12_EUlS11_E_NS1_11comp_targetILNS1_3genE10ELNS1_11target_archE1200ELNS1_3gpuE4ELNS1_3repE0EEENS1_30default_config_static_selectorELNS0_4arch9wavefront6targetE0EEEvT1_,"axG",@progbits,_ZN7rocprim17ROCPRIM_400000_NS6detail17trampoline_kernelINS0_14default_configENS1_25partition_config_selectorILNS1_17partition_subalgoE8ElNS0_10empty_typeEbEEZZNS1_14partition_implILS5_8ELb0ES3_jPKlPS6_PKS6_NS0_5tupleIJPlS6_EEENSE_IJSB_SB_EEENS0_18inequality_wrapperIN6hipcub16HIPCUB_304000_NS8EqualityEEESF_JS6_EEE10hipError_tPvRmT3_T4_T5_T6_T7_T9_mT8_P12ihipStream_tbDpT10_ENKUlT_T0_E_clISt17integral_constantIbLb0EES15_IbLb1EEEEDaS11_S12_EUlS11_E_NS1_11comp_targetILNS1_3genE10ELNS1_11target_archE1200ELNS1_3gpuE4ELNS1_3repE0EEENS1_30default_config_static_selectorELNS0_4arch9wavefront6targetE0EEEvT1_,comdat
.Lfunc_end255:
	.size	_ZN7rocprim17ROCPRIM_400000_NS6detail17trampoline_kernelINS0_14default_configENS1_25partition_config_selectorILNS1_17partition_subalgoE8ElNS0_10empty_typeEbEEZZNS1_14partition_implILS5_8ELb0ES3_jPKlPS6_PKS6_NS0_5tupleIJPlS6_EEENSE_IJSB_SB_EEENS0_18inequality_wrapperIN6hipcub16HIPCUB_304000_NS8EqualityEEESF_JS6_EEE10hipError_tPvRmT3_T4_T5_T6_T7_T9_mT8_P12ihipStream_tbDpT10_ENKUlT_T0_E_clISt17integral_constantIbLb0EES15_IbLb1EEEEDaS11_S12_EUlS11_E_NS1_11comp_targetILNS1_3genE10ELNS1_11target_archE1200ELNS1_3gpuE4ELNS1_3repE0EEENS1_30default_config_static_selectorELNS0_4arch9wavefront6targetE0EEEvT1_, .Lfunc_end255-_ZN7rocprim17ROCPRIM_400000_NS6detail17trampoline_kernelINS0_14default_configENS1_25partition_config_selectorILNS1_17partition_subalgoE8ElNS0_10empty_typeEbEEZZNS1_14partition_implILS5_8ELb0ES3_jPKlPS6_PKS6_NS0_5tupleIJPlS6_EEENSE_IJSB_SB_EEENS0_18inequality_wrapperIN6hipcub16HIPCUB_304000_NS8EqualityEEESF_JS6_EEE10hipError_tPvRmT3_T4_T5_T6_T7_T9_mT8_P12ihipStream_tbDpT10_ENKUlT_T0_E_clISt17integral_constantIbLb0EES15_IbLb1EEEEDaS11_S12_EUlS11_E_NS1_11comp_targetILNS1_3genE10ELNS1_11target_archE1200ELNS1_3gpuE4ELNS1_3repE0EEENS1_30default_config_static_selectorELNS0_4arch9wavefront6targetE0EEEvT1_
                                        ; -- End function
	.set _ZN7rocprim17ROCPRIM_400000_NS6detail17trampoline_kernelINS0_14default_configENS1_25partition_config_selectorILNS1_17partition_subalgoE8ElNS0_10empty_typeEbEEZZNS1_14partition_implILS5_8ELb0ES3_jPKlPS6_PKS6_NS0_5tupleIJPlS6_EEENSE_IJSB_SB_EEENS0_18inequality_wrapperIN6hipcub16HIPCUB_304000_NS8EqualityEEESF_JS6_EEE10hipError_tPvRmT3_T4_T5_T6_T7_T9_mT8_P12ihipStream_tbDpT10_ENKUlT_T0_E_clISt17integral_constantIbLb0EES15_IbLb1EEEEDaS11_S12_EUlS11_E_NS1_11comp_targetILNS1_3genE10ELNS1_11target_archE1200ELNS1_3gpuE4ELNS1_3repE0EEENS1_30default_config_static_selectorELNS0_4arch9wavefront6targetE0EEEvT1_.num_vgpr, 0
	.set _ZN7rocprim17ROCPRIM_400000_NS6detail17trampoline_kernelINS0_14default_configENS1_25partition_config_selectorILNS1_17partition_subalgoE8ElNS0_10empty_typeEbEEZZNS1_14partition_implILS5_8ELb0ES3_jPKlPS6_PKS6_NS0_5tupleIJPlS6_EEENSE_IJSB_SB_EEENS0_18inequality_wrapperIN6hipcub16HIPCUB_304000_NS8EqualityEEESF_JS6_EEE10hipError_tPvRmT3_T4_T5_T6_T7_T9_mT8_P12ihipStream_tbDpT10_ENKUlT_T0_E_clISt17integral_constantIbLb0EES15_IbLb1EEEEDaS11_S12_EUlS11_E_NS1_11comp_targetILNS1_3genE10ELNS1_11target_archE1200ELNS1_3gpuE4ELNS1_3repE0EEENS1_30default_config_static_selectorELNS0_4arch9wavefront6targetE0EEEvT1_.num_agpr, 0
	.set _ZN7rocprim17ROCPRIM_400000_NS6detail17trampoline_kernelINS0_14default_configENS1_25partition_config_selectorILNS1_17partition_subalgoE8ElNS0_10empty_typeEbEEZZNS1_14partition_implILS5_8ELb0ES3_jPKlPS6_PKS6_NS0_5tupleIJPlS6_EEENSE_IJSB_SB_EEENS0_18inequality_wrapperIN6hipcub16HIPCUB_304000_NS8EqualityEEESF_JS6_EEE10hipError_tPvRmT3_T4_T5_T6_T7_T9_mT8_P12ihipStream_tbDpT10_ENKUlT_T0_E_clISt17integral_constantIbLb0EES15_IbLb1EEEEDaS11_S12_EUlS11_E_NS1_11comp_targetILNS1_3genE10ELNS1_11target_archE1200ELNS1_3gpuE4ELNS1_3repE0EEENS1_30default_config_static_selectorELNS0_4arch9wavefront6targetE0EEEvT1_.numbered_sgpr, 0
	.set _ZN7rocprim17ROCPRIM_400000_NS6detail17trampoline_kernelINS0_14default_configENS1_25partition_config_selectorILNS1_17partition_subalgoE8ElNS0_10empty_typeEbEEZZNS1_14partition_implILS5_8ELb0ES3_jPKlPS6_PKS6_NS0_5tupleIJPlS6_EEENSE_IJSB_SB_EEENS0_18inequality_wrapperIN6hipcub16HIPCUB_304000_NS8EqualityEEESF_JS6_EEE10hipError_tPvRmT3_T4_T5_T6_T7_T9_mT8_P12ihipStream_tbDpT10_ENKUlT_T0_E_clISt17integral_constantIbLb0EES15_IbLb1EEEEDaS11_S12_EUlS11_E_NS1_11comp_targetILNS1_3genE10ELNS1_11target_archE1200ELNS1_3gpuE4ELNS1_3repE0EEENS1_30default_config_static_selectorELNS0_4arch9wavefront6targetE0EEEvT1_.num_named_barrier, 0
	.set _ZN7rocprim17ROCPRIM_400000_NS6detail17trampoline_kernelINS0_14default_configENS1_25partition_config_selectorILNS1_17partition_subalgoE8ElNS0_10empty_typeEbEEZZNS1_14partition_implILS5_8ELb0ES3_jPKlPS6_PKS6_NS0_5tupleIJPlS6_EEENSE_IJSB_SB_EEENS0_18inequality_wrapperIN6hipcub16HIPCUB_304000_NS8EqualityEEESF_JS6_EEE10hipError_tPvRmT3_T4_T5_T6_T7_T9_mT8_P12ihipStream_tbDpT10_ENKUlT_T0_E_clISt17integral_constantIbLb0EES15_IbLb1EEEEDaS11_S12_EUlS11_E_NS1_11comp_targetILNS1_3genE10ELNS1_11target_archE1200ELNS1_3gpuE4ELNS1_3repE0EEENS1_30default_config_static_selectorELNS0_4arch9wavefront6targetE0EEEvT1_.private_seg_size, 0
	.set _ZN7rocprim17ROCPRIM_400000_NS6detail17trampoline_kernelINS0_14default_configENS1_25partition_config_selectorILNS1_17partition_subalgoE8ElNS0_10empty_typeEbEEZZNS1_14partition_implILS5_8ELb0ES3_jPKlPS6_PKS6_NS0_5tupleIJPlS6_EEENSE_IJSB_SB_EEENS0_18inequality_wrapperIN6hipcub16HIPCUB_304000_NS8EqualityEEESF_JS6_EEE10hipError_tPvRmT3_T4_T5_T6_T7_T9_mT8_P12ihipStream_tbDpT10_ENKUlT_T0_E_clISt17integral_constantIbLb0EES15_IbLb1EEEEDaS11_S12_EUlS11_E_NS1_11comp_targetILNS1_3genE10ELNS1_11target_archE1200ELNS1_3gpuE4ELNS1_3repE0EEENS1_30default_config_static_selectorELNS0_4arch9wavefront6targetE0EEEvT1_.uses_vcc, 0
	.set _ZN7rocprim17ROCPRIM_400000_NS6detail17trampoline_kernelINS0_14default_configENS1_25partition_config_selectorILNS1_17partition_subalgoE8ElNS0_10empty_typeEbEEZZNS1_14partition_implILS5_8ELb0ES3_jPKlPS6_PKS6_NS0_5tupleIJPlS6_EEENSE_IJSB_SB_EEENS0_18inequality_wrapperIN6hipcub16HIPCUB_304000_NS8EqualityEEESF_JS6_EEE10hipError_tPvRmT3_T4_T5_T6_T7_T9_mT8_P12ihipStream_tbDpT10_ENKUlT_T0_E_clISt17integral_constantIbLb0EES15_IbLb1EEEEDaS11_S12_EUlS11_E_NS1_11comp_targetILNS1_3genE10ELNS1_11target_archE1200ELNS1_3gpuE4ELNS1_3repE0EEENS1_30default_config_static_selectorELNS0_4arch9wavefront6targetE0EEEvT1_.uses_flat_scratch, 0
	.set _ZN7rocprim17ROCPRIM_400000_NS6detail17trampoline_kernelINS0_14default_configENS1_25partition_config_selectorILNS1_17partition_subalgoE8ElNS0_10empty_typeEbEEZZNS1_14partition_implILS5_8ELb0ES3_jPKlPS6_PKS6_NS0_5tupleIJPlS6_EEENSE_IJSB_SB_EEENS0_18inequality_wrapperIN6hipcub16HIPCUB_304000_NS8EqualityEEESF_JS6_EEE10hipError_tPvRmT3_T4_T5_T6_T7_T9_mT8_P12ihipStream_tbDpT10_ENKUlT_T0_E_clISt17integral_constantIbLb0EES15_IbLb1EEEEDaS11_S12_EUlS11_E_NS1_11comp_targetILNS1_3genE10ELNS1_11target_archE1200ELNS1_3gpuE4ELNS1_3repE0EEENS1_30default_config_static_selectorELNS0_4arch9wavefront6targetE0EEEvT1_.has_dyn_sized_stack, 0
	.set _ZN7rocprim17ROCPRIM_400000_NS6detail17trampoline_kernelINS0_14default_configENS1_25partition_config_selectorILNS1_17partition_subalgoE8ElNS0_10empty_typeEbEEZZNS1_14partition_implILS5_8ELb0ES3_jPKlPS6_PKS6_NS0_5tupleIJPlS6_EEENSE_IJSB_SB_EEENS0_18inequality_wrapperIN6hipcub16HIPCUB_304000_NS8EqualityEEESF_JS6_EEE10hipError_tPvRmT3_T4_T5_T6_T7_T9_mT8_P12ihipStream_tbDpT10_ENKUlT_T0_E_clISt17integral_constantIbLb0EES15_IbLb1EEEEDaS11_S12_EUlS11_E_NS1_11comp_targetILNS1_3genE10ELNS1_11target_archE1200ELNS1_3gpuE4ELNS1_3repE0EEENS1_30default_config_static_selectorELNS0_4arch9wavefront6targetE0EEEvT1_.has_recursion, 0
	.set _ZN7rocprim17ROCPRIM_400000_NS6detail17trampoline_kernelINS0_14default_configENS1_25partition_config_selectorILNS1_17partition_subalgoE8ElNS0_10empty_typeEbEEZZNS1_14partition_implILS5_8ELb0ES3_jPKlPS6_PKS6_NS0_5tupleIJPlS6_EEENSE_IJSB_SB_EEENS0_18inequality_wrapperIN6hipcub16HIPCUB_304000_NS8EqualityEEESF_JS6_EEE10hipError_tPvRmT3_T4_T5_T6_T7_T9_mT8_P12ihipStream_tbDpT10_ENKUlT_T0_E_clISt17integral_constantIbLb0EES15_IbLb1EEEEDaS11_S12_EUlS11_E_NS1_11comp_targetILNS1_3genE10ELNS1_11target_archE1200ELNS1_3gpuE4ELNS1_3repE0EEENS1_30default_config_static_selectorELNS0_4arch9wavefront6targetE0EEEvT1_.has_indirect_call, 0
	.section	.AMDGPU.csdata,"",@progbits
; Kernel info:
; codeLenInByte = 0
; TotalNumSgprs: 0
; NumVgprs: 0
; ScratchSize: 0
; MemoryBound: 0
; FloatMode: 240
; IeeeMode: 1
; LDSByteSize: 0 bytes/workgroup (compile time only)
; SGPRBlocks: 0
; VGPRBlocks: 0
; NumSGPRsForWavesPerEU: 1
; NumVGPRsForWavesPerEU: 1
; NamedBarCnt: 0
; Occupancy: 16
; WaveLimiterHint : 0
; COMPUTE_PGM_RSRC2:SCRATCH_EN: 0
; COMPUTE_PGM_RSRC2:USER_SGPR: 2
; COMPUTE_PGM_RSRC2:TRAP_HANDLER: 0
; COMPUTE_PGM_RSRC2:TGID_X_EN: 1
; COMPUTE_PGM_RSRC2:TGID_Y_EN: 0
; COMPUTE_PGM_RSRC2:TGID_Z_EN: 0
; COMPUTE_PGM_RSRC2:TIDIG_COMP_CNT: 0
	.section	.text._ZN7rocprim17ROCPRIM_400000_NS6detail17trampoline_kernelINS0_14default_configENS1_25partition_config_selectorILNS1_17partition_subalgoE8ElNS0_10empty_typeEbEEZZNS1_14partition_implILS5_8ELb0ES3_jPKlPS6_PKS6_NS0_5tupleIJPlS6_EEENSE_IJSB_SB_EEENS0_18inequality_wrapperIN6hipcub16HIPCUB_304000_NS8EqualityEEESF_JS6_EEE10hipError_tPvRmT3_T4_T5_T6_T7_T9_mT8_P12ihipStream_tbDpT10_ENKUlT_T0_E_clISt17integral_constantIbLb0EES15_IbLb1EEEEDaS11_S12_EUlS11_E_NS1_11comp_targetILNS1_3genE9ELNS1_11target_archE1100ELNS1_3gpuE3ELNS1_3repE0EEENS1_30default_config_static_selectorELNS0_4arch9wavefront6targetE0EEEvT1_,"axG",@progbits,_ZN7rocprim17ROCPRIM_400000_NS6detail17trampoline_kernelINS0_14default_configENS1_25partition_config_selectorILNS1_17partition_subalgoE8ElNS0_10empty_typeEbEEZZNS1_14partition_implILS5_8ELb0ES3_jPKlPS6_PKS6_NS0_5tupleIJPlS6_EEENSE_IJSB_SB_EEENS0_18inequality_wrapperIN6hipcub16HIPCUB_304000_NS8EqualityEEESF_JS6_EEE10hipError_tPvRmT3_T4_T5_T6_T7_T9_mT8_P12ihipStream_tbDpT10_ENKUlT_T0_E_clISt17integral_constantIbLb0EES15_IbLb1EEEEDaS11_S12_EUlS11_E_NS1_11comp_targetILNS1_3genE9ELNS1_11target_archE1100ELNS1_3gpuE3ELNS1_3repE0EEENS1_30default_config_static_selectorELNS0_4arch9wavefront6targetE0EEEvT1_,comdat
	.protected	_ZN7rocprim17ROCPRIM_400000_NS6detail17trampoline_kernelINS0_14default_configENS1_25partition_config_selectorILNS1_17partition_subalgoE8ElNS0_10empty_typeEbEEZZNS1_14partition_implILS5_8ELb0ES3_jPKlPS6_PKS6_NS0_5tupleIJPlS6_EEENSE_IJSB_SB_EEENS0_18inequality_wrapperIN6hipcub16HIPCUB_304000_NS8EqualityEEESF_JS6_EEE10hipError_tPvRmT3_T4_T5_T6_T7_T9_mT8_P12ihipStream_tbDpT10_ENKUlT_T0_E_clISt17integral_constantIbLb0EES15_IbLb1EEEEDaS11_S12_EUlS11_E_NS1_11comp_targetILNS1_3genE9ELNS1_11target_archE1100ELNS1_3gpuE3ELNS1_3repE0EEENS1_30default_config_static_selectorELNS0_4arch9wavefront6targetE0EEEvT1_ ; -- Begin function _ZN7rocprim17ROCPRIM_400000_NS6detail17trampoline_kernelINS0_14default_configENS1_25partition_config_selectorILNS1_17partition_subalgoE8ElNS0_10empty_typeEbEEZZNS1_14partition_implILS5_8ELb0ES3_jPKlPS6_PKS6_NS0_5tupleIJPlS6_EEENSE_IJSB_SB_EEENS0_18inequality_wrapperIN6hipcub16HIPCUB_304000_NS8EqualityEEESF_JS6_EEE10hipError_tPvRmT3_T4_T5_T6_T7_T9_mT8_P12ihipStream_tbDpT10_ENKUlT_T0_E_clISt17integral_constantIbLb0EES15_IbLb1EEEEDaS11_S12_EUlS11_E_NS1_11comp_targetILNS1_3genE9ELNS1_11target_archE1100ELNS1_3gpuE3ELNS1_3repE0EEENS1_30default_config_static_selectorELNS0_4arch9wavefront6targetE0EEEvT1_
	.globl	_ZN7rocprim17ROCPRIM_400000_NS6detail17trampoline_kernelINS0_14default_configENS1_25partition_config_selectorILNS1_17partition_subalgoE8ElNS0_10empty_typeEbEEZZNS1_14partition_implILS5_8ELb0ES3_jPKlPS6_PKS6_NS0_5tupleIJPlS6_EEENSE_IJSB_SB_EEENS0_18inequality_wrapperIN6hipcub16HIPCUB_304000_NS8EqualityEEESF_JS6_EEE10hipError_tPvRmT3_T4_T5_T6_T7_T9_mT8_P12ihipStream_tbDpT10_ENKUlT_T0_E_clISt17integral_constantIbLb0EES15_IbLb1EEEEDaS11_S12_EUlS11_E_NS1_11comp_targetILNS1_3genE9ELNS1_11target_archE1100ELNS1_3gpuE3ELNS1_3repE0EEENS1_30default_config_static_selectorELNS0_4arch9wavefront6targetE0EEEvT1_
	.p2align	8
	.type	_ZN7rocprim17ROCPRIM_400000_NS6detail17trampoline_kernelINS0_14default_configENS1_25partition_config_selectorILNS1_17partition_subalgoE8ElNS0_10empty_typeEbEEZZNS1_14partition_implILS5_8ELb0ES3_jPKlPS6_PKS6_NS0_5tupleIJPlS6_EEENSE_IJSB_SB_EEENS0_18inequality_wrapperIN6hipcub16HIPCUB_304000_NS8EqualityEEESF_JS6_EEE10hipError_tPvRmT3_T4_T5_T6_T7_T9_mT8_P12ihipStream_tbDpT10_ENKUlT_T0_E_clISt17integral_constantIbLb0EES15_IbLb1EEEEDaS11_S12_EUlS11_E_NS1_11comp_targetILNS1_3genE9ELNS1_11target_archE1100ELNS1_3gpuE3ELNS1_3repE0EEENS1_30default_config_static_selectorELNS0_4arch9wavefront6targetE0EEEvT1_,@function
_ZN7rocprim17ROCPRIM_400000_NS6detail17trampoline_kernelINS0_14default_configENS1_25partition_config_selectorILNS1_17partition_subalgoE8ElNS0_10empty_typeEbEEZZNS1_14partition_implILS5_8ELb0ES3_jPKlPS6_PKS6_NS0_5tupleIJPlS6_EEENSE_IJSB_SB_EEENS0_18inequality_wrapperIN6hipcub16HIPCUB_304000_NS8EqualityEEESF_JS6_EEE10hipError_tPvRmT3_T4_T5_T6_T7_T9_mT8_P12ihipStream_tbDpT10_ENKUlT_T0_E_clISt17integral_constantIbLb0EES15_IbLb1EEEEDaS11_S12_EUlS11_E_NS1_11comp_targetILNS1_3genE9ELNS1_11target_archE1100ELNS1_3gpuE3ELNS1_3repE0EEENS1_30default_config_static_selectorELNS0_4arch9wavefront6targetE0EEEvT1_: ; @_ZN7rocprim17ROCPRIM_400000_NS6detail17trampoline_kernelINS0_14default_configENS1_25partition_config_selectorILNS1_17partition_subalgoE8ElNS0_10empty_typeEbEEZZNS1_14partition_implILS5_8ELb0ES3_jPKlPS6_PKS6_NS0_5tupleIJPlS6_EEENSE_IJSB_SB_EEENS0_18inequality_wrapperIN6hipcub16HIPCUB_304000_NS8EqualityEEESF_JS6_EEE10hipError_tPvRmT3_T4_T5_T6_T7_T9_mT8_P12ihipStream_tbDpT10_ENKUlT_T0_E_clISt17integral_constantIbLb0EES15_IbLb1EEEEDaS11_S12_EUlS11_E_NS1_11comp_targetILNS1_3genE9ELNS1_11target_archE1100ELNS1_3gpuE3ELNS1_3repE0EEENS1_30default_config_static_selectorELNS0_4arch9wavefront6targetE0EEEvT1_
; %bb.0:
	.section	.rodata,"a",@progbits
	.p2align	6, 0x0
	.amdhsa_kernel _ZN7rocprim17ROCPRIM_400000_NS6detail17trampoline_kernelINS0_14default_configENS1_25partition_config_selectorILNS1_17partition_subalgoE8ElNS0_10empty_typeEbEEZZNS1_14partition_implILS5_8ELb0ES3_jPKlPS6_PKS6_NS0_5tupleIJPlS6_EEENSE_IJSB_SB_EEENS0_18inequality_wrapperIN6hipcub16HIPCUB_304000_NS8EqualityEEESF_JS6_EEE10hipError_tPvRmT3_T4_T5_T6_T7_T9_mT8_P12ihipStream_tbDpT10_ENKUlT_T0_E_clISt17integral_constantIbLb0EES15_IbLb1EEEEDaS11_S12_EUlS11_E_NS1_11comp_targetILNS1_3genE9ELNS1_11target_archE1100ELNS1_3gpuE3ELNS1_3repE0EEENS1_30default_config_static_selectorELNS0_4arch9wavefront6targetE0EEEvT1_
		.amdhsa_group_segment_fixed_size 0
		.amdhsa_private_segment_fixed_size 0
		.amdhsa_kernarg_size 128
		.amdhsa_user_sgpr_count 2
		.amdhsa_user_sgpr_dispatch_ptr 0
		.amdhsa_user_sgpr_queue_ptr 0
		.amdhsa_user_sgpr_kernarg_segment_ptr 1
		.amdhsa_user_sgpr_dispatch_id 0
		.amdhsa_user_sgpr_kernarg_preload_length 0
		.amdhsa_user_sgpr_kernarg_preload_offset 0
		.amdhsa_user_sgpr_private_segment_size 0
		.amdhsa_wavefront_size32 1
		.amdhsa_uses_dynamic_stack 0
		.amdhsa_enable_private_segment 0
		.amdhsa_system_sgpr_workgroup_id_x 1
		.amdhsa_system_sgpr_workgroup_id_y 0
		.amdhsa_system_sgpr_workgroup_id_z 0
		.amdhsa_system_sgpr_workgroup_info 0
		.amdhsa_system_vgpr_workitem_id 0
		.amdhsa_next_free_vgpr 1
		.amdhsa_next_free_sgpr 1
		.amdhsa_named_barrier_count 0
		.amdhsa_reserve_vcc 0
		.amdhsa_float_round_mode_32 0
		.amdhsa_float_round_mode_16_64 0
		.amdhsa_float_denorm_mode_32 3
		.amdhsa_float_denorm_mode_16_64 3
		.amdhsa_fp16_overflow 0
		.amdhsa_memory_ordered 1
		.amdhsa_forward_progress 1
		.amdhsa_inst_pref_size 0
		.amdhsa_round_robin_scheduling 0
		.amdhsa_exception_fp_ieee_invalid_op 0
		.amdhsa_exception_fp_denorm_src 0
		.amdhsa_exception_fp_ieee_div_zero 0
		.amdhsa_exception_fp_ieee_overflow 0
		.amdhsa_exception_fp_ieee_underflow 0
		.amdhsa_exception_fp_ieee_inexact 0
		.amdhsa_exception_int_div_zero 0
	.end_amdhsa_kernel
	.section	.text._ZN7rocprim17ROCPRIM_400000_NS6detail17trampoline_kernelINS0_14default_configENS1_25partition_config_selectorILNS1_17partition_subalgoE8ElNS0_10empty_typeEbEEZZNS1_14partition_implILS5_8ELb0ES3_jPKlPS6_PKS6_NS0_5tupleIJPlS6_EEENSE_IJSB_SB_EEENS0_18inequality_wrapperIN6hipcub16HIPCUB_304000_NS8EqualityEEESF_JS6_EEE10hipError_tPvRmT3_T4_T5_T6_T7_T9_mT8_P12ihipStream_tbDpT10_ENKUlT_T0_E_clISt17integral_constantIbLb0EES15_IbLb1EEEEDaS11_S12_EUlS11_E_NS1_11comp_targetILNS1_3genE9ELNS1_11target_archE1100ELNS1_3gpuE3ELNS1_3repE0EEENS1_30default_config_static_selectorELNS0_4arch9wavefront6targetE0EEEvT1_,"axG",@progbits,_ZN7rocprim17ROCPRIM_400000_NS6detail17trampoline_kernelINS0_14default_configENS1_25partition_config_selectorILNS1_17partition_subalgoE8ElNS0_10empty_typeEbEEZZNS1_14partition_implILS5_8ELb0ES3_jPKlPS6_PKS6_NS0_5tupleIJPlS6_EEENSE_IJSB_SB_EEENS0_18inequality_wrapperIN6hipcub16HIPCUB_304000_NS8EqualityEEESF_JS6_EEE10hipError_tPvRmT3_T4_T5_T6_T7_T9_mT8_P12ihipStream_tbDpT10_ENKUlT_T0_E_clISt17integral_constantIbLb0EES15_IbLb1EEEEDaS11_S12_EUlS11_E_NS1_11comp_targetILNS1_3genE9ELNS1_11target_archE1100ELNS1_3gpuE3ELNS1_3repE0EEENS1_30default_config_static_selectorELNS0_4arch9wavefront6targetE0EEEvT1_,comdat
.Lfunc_end256:
	.size	_ZN7rocprim17ROCPRIM_400000_NS6detail17trampoline_kernelINS0_14default_configENS1_25partition_config_selectorILNS1_17partition_subalgoE8ElNS0_10empty_typeEbEEZZNS1_14partition_implILS5_8ELb0ES3_jPKlPS6_PKS6_NS0_5tupleIJPlS6_EEENSE_IJSB_SB_EEENS0_18inequality_wrapperIN6hipcub16HIPCUB_304000_NS8EqualityEEESF_JS6_EEE10hipError_tPvRmT3_T4_T5_T6_T7_T9_mT8_P12ihipStream_tbDpT10_ENKUlT_T0_E_clISt17integral_constantIbLb0EES15_IbLb1EEEEDaS11_S12_EUlS11_E_NS1_11comp_targetILNS1_3genE9ELNS1_11target_archE1100ELNS1_3gpuE3ELNS1_3repE0EEENS1_30default_config_static_selectorELNS0_4arch9wavefront6targetE0EEEvT1_, .Lfunc_end256-_ZN7rocprim17ROCPRIM_400000_NS6detail17trampoline_kernelINS0_14default_configENS1_25partition_config_selectorILNS1_17partition_subalgoE8ElNS0_10empty_typeEbEEZZNS1_14partition_implILS5_8ELb0ES3_jPKlPS6_PKS6_NS0_5tupleIJPlS6_EEENSE_IJSB_SB_EEENS0_18inequality_wrapperIN6hipcub16HIPCUB_304000_NS8EqualityEEESF_JS6_EEE10hipError_tPvRmT3_T4_T5_T6_T7_T9_mT8_P12ihipStream_tbDpT10_ENKUlT_T0_E_clISt17integral_constantIbLb0EES15_IbLb1EEEEDaS11_S12_EUlS11_E_NS1_11comp_targetILNS1_3genE9ELNS1_11target_archE1100ELNS1_3gpuE3ELNS1_3repE0EEENS1_30default_config_static_selectorELNS0_4arch9wavefront6targetE0EEEvT1_
                                        ; -- End function
	.set _ZN7rocprim17ROCPRIM_400000_NS6detail17trampoline_kernelINS0_14default_configENS1_25partition_config_selectorILNS1_17partition_subalgoE8ElNS0_10empty_typeEbEEZZNS1_14partition_implILS5_8ELb0ES3_jPKlPS6_PKS6_NS0_5tupleIJPlS6_EEENSE_IJSB_SB_EEENS0_18inequality_wrapperIN6hipcub16HIPCUB_304000_NS8EqualityEEESF_JS6_EEE10hipError_tPvRmT3_T4_T5_T6_T7_T9_mT8_P12ihipStream_tbDpT10_ENKUlT_T0_E_clISt17integral_constantIbLb0EES15_IbLb1EEEEDaS11_S12_EUlS11_E_NS1_11comp_targetILNS1_3genE9ELNS1_11target_archE1100ELNS1_3gpuE3ELNS1_3repE0EEENS1_30default_config_static_selectorELNS0_4arch9wavefront6targetE0EEEvT1_.num_vgpr, 0
	.set _ZN7rocprim17ROCPRIM_400000_NS6detail17trampoline_kernelINS0_14default_configENS1_25partition_config_selectorILNS1_17partition_subalgoE8ElNS0_10empty_typeEbEEZZNS1_14partition_implILS5_8ELb0ES3_jPKlPS6_PKS6_NS0_5tupleIJPlS6_EEENSE_IJSB_SB_EEENS0_18inequality_wrapperIN6hipcub16HIPCUB_304000_NS8EqualityEEESF_JS6_EEE10hipError_tPvRmT3_T4_T5_T6_T7_T9_mT8_P12ihipStream_tbDpT10_ENKUlT_T0_E_clISt17integral_constantIbLb0EES15_IbLb1EEEEDaS11_S12_EUlS11_E_NS1_11comp_targetILNS1_3genE9ELNS1_11target_archE1100ELNS1_3gpuE3ELNS1_3repE0EEENS1_30default_config_static_selectorELNS0_4arch9wavefront6targetE0EEEvT1_.num_agpr, 0
	.set _ZN7rocprim17ROCPRIM_400000_NS6detail17trampoline_kernelINS0_14default_configENS1_25partition_config_selectorILNS1_17partition_subalgoE8ElNS0_10empty_typeEbEEZZNS1_14partition_implILS5_8ELb0ES3_jPKlPS6_PKS6_NS0_5tupleIJPlS6_EEENSE_IJSB_SB_EEENS0_18inequality_wrapperIN6hipcub16HIPCUB_304000_NS8EqualityEEESF_JS6_EEE10hipError_tPvRmT3_T4_T5_T6_T7_T9_mT8_P12ihipStream_tbDpT10_ENKUlT_T0_E_clISt17integral_constantIbLb0EES15_IbLb1EEEEDaS11_S12_EUlS11_E_NS1_11comp_targetILNS1_3genE9ELNS1_11target_archE1100ELNS1_3gpuE3ELNS1_3repE0EEENS1_30default_config_static_selectorELNS0_4arch9wavefront6targetE0EEEvT1_.numbered_sgpr, 0
	.set _ZN7rocprim17ROCPRIM_400000_NS6detail17trampoline_kernelINS0_14default_configENS1_25partition_config_selectorILNS1_17partition_subalgoE8ElNS0_10empty_typeEbEEZZNS1_14partition_implILS5_8ELb0ES3_jPKlPS6_PKS6_NS0_5tupleIJPlS6_EEENSE_IJSB_SB_EEENS0_18inequality_wrapperIN6hipcub16HIPCUB_304000_NS8EqualityEEESF_JS6_EEE10hipError_tPvRmT3_T4_T5_T6_T7_T9_mT8_P12ihipStream_tbDpT10_ENKUlT_T0_E_clISt17integral_constantIbLb0EES15_IbLb1EEEEDaS11_S12_EUlS11_E_NS1_11comp_targetILNS1_3genE9ELNS1_11target_archE1100ELNS1_3gpuE3ELNS1_3repE0EEENS1_30default_config_static_selectorELNS0_4arch9wavefront6targetE0EEEvT1_.num_named_barrier, 0
	.set _ZN7rocprim17ROCPRIM_400000_NS6detail17trampoline_kernelINS0_14default_configENS1_25partition_config_selectorILNS1_17partition_subalgoE8ElNS0_10empty_typeEbEEZZNS1_14partition_implILS5_8ELb0ES3_jPKlPS6_PKS6_NS0_5tupleIJPlS6_EEENSE_IJSB_SB_EEENS0_18inequality_wrapperIN6hipcub16HIPCUB_304000_NS8EqualityEEESF_JS6_EEE10hipError_tPvRmT3_T4_T5_T6_T7_T9_mT8_P12ihipStream_tbDpT10_ENKUlT_T0_E_clISt17integral_constantIbLb0EES15_IbLb1EEEEDaS11_S12_EUlS11_E_NS1_11comp_targetILNS1_3genE9ELNS1_11target_archE1100ELNS1_3gpuE3ELNS1_3repE0EEENS1_30default_config_static_selectorELNS0_4arch9wavefront6targetE0EEEvT1_.private_seg_size, 0
	.set _ZN7rocprim17ROCPRIM_400000_NS6detail17trampoline_kernelINS0_14default_configENS1_25partition_config_selectorILNS1_17partition_subalgoE8ElNS0_10empty_typeEbEEZZNS1_14partition_implILS5_8ELb0ES3_jPKlPS6_PKS6_NS0_5tupleIJPlS6_EEENSE_IJSB_SB_EEENS0_18inequality_wrapperIN6hipcub16HIPCUB_304000_NS8EqualityEEESF_JS6_EEE10hipError_tPvRmT3_T4_T5_T6_T7_T9_mT8_P12ihipStream_tbDpT10_ENKUlT_T0_E_clISt17integral_constantIbLb0EES15_IbLb1EEEEDaS11_S12_EUlS11_E_NS1_11comp_targetILNS1_3genE9ELNS1_11target_archE1100ELNS1_3gpuE3ELNS1_3repE0EEENS1_30default_config_static_selectorELNS0_4arch9wavefront6targetE0EEEvT1_.uses_vcc, 0
	.set _ZN7rocprim17ROCPRIM_400000_NS6detail17trampoline_kernelINS0_14default_configENS1_25partition_config_selectorILNS1_17partition_subalgoE8ElNS0_10empty_typeEbEEZZNS1_14partition_implILS5_8ELb0ES3_jPKlPS6_PKS6_NS0_5tupleIJPlS6_EEENSE_IJSB_SB_EEENS0_18inequality_wrapperIN6hipcub16HIPCUB_304000_NS8EqualityEEESF_JS6_EEE10hipError_tPvRmT3_T4_T5_T6_T7_T9_mT8_P12ihipStream_tbDpT10_ENKUlT_T0_E_clISt17integral_constantIbLb0EES15_IbLb1EEEEDaS11_S12_EUlS11_E_NS1_11comp_targetILNS1_3genE9ELNS1_11target_archE1100ELNS1_3gpuE3ELNS1_3repE0EEENS1_30default_config_static_selectorELNS0_4arch9wavefront6targetE0EEEvT1_.uses_flat_scratch, 0
	.set _ZN7rocprim17ROCPRIM_400000_NS6detail17trampoline_kernelINS0_14default_configENS1_25partition_config_selectorILNS1_17partition_subalgoE8ElNS0_10empty_typeEbEEZZNS1_14partition_implILS5_8ELb0ES3_jPKlPS6_PKS6_NS0_5tupleIJPlS6_EEENSE_IJSB_SB_EEENS0_18inequality_wrapperIN6hipcub16HIPCUB_304000_NS8EqualityEEESF_JS6_EEE10hipError_tPvRmT3_T4_T5_T6_T7_T9_mT8_P12ihipStream_tbDpT10_ENKUlT_T0_E_clISt17integral_constantIbLb0EES15_IbLb1EEEEDaS11_S12_EUlS11_E_NS1_11comp_targetILNS1_3genE9ELNS1_11target_archE1100ELNS1_3gpuE3ELNS1_3repE0EEENS1_30default_config_static_selectorELNS0_4arch9wavefront6targetE0EEEvT1_.has_dyn_sized_stack, 0
	.set _ZN7rocprim17ROCPRIM_400000_NS6detail17trampoline_kernelINS0_14default_configENS1_25partition_config_selectorILNS1_17partition_subalgoE8ElNS0_10empty_typeEbEEZZNS1_14partition_implILS5_8ELb0ES3_jPKlPS6_PKS6_NS0_5tupleIJPlS6_EEENSE_IJSB_SB_EEENS0_18inequality_wrapperIN6hipcub16HIPCUB_304000_NS8EqualityEEESF_JS6_EEE10hipError_tPvRmT3_T4_T5_T6_T7_T9_mT8_P12ihipStream_tbDpT10_ENKUlT_T0_E_clISt17integral_constantIbLb0EES15_IbLb1EEEEDaS11_S12_EUlS11_E_NS1_11comp_targetILNS1_3genE9ELNS1_11target_archE1100ELNS1_3gpuE3ELNS1_3repE0EEENS1_30default_config_static_selectorELNS0_4arch9wavefront6targetE0EEEvT1_.has_recursion, 0
	.set _ZN7rocprim17ROCPRIM_400000_NS6detail17trampoline_kernelINS0_14default_configENS1_25partition_config_selectorILNS1_17partition_subalgoE8ElNS0_10empty_typeEbEEZZNS1_14partition_implILS5_8ELb0ES3_jPKlPS6_PKS6_NS0_5tupleIJPlS6_EEENSE_IJSB_SB_EEENS0_18inequality_wrapperIN6hipcub16HIPCUB_304000_NS8EqualityEEESF_JS6_EEE10hipError_tPvRmT3_T4_T5_T6_T7_T9_mT8_P12ihipStream_tbDpT10_ENKUlT_T0_E_clISt17integral_constantIbLb0EES15_IbLb1EEEEDaS11_S12_EUlS11_E_NS1_11comp_targetILNS1_3genE9ELNS1_11target_archE1100ELNS1_3gpuE3ELNS1_3repE0EEENS1_30default_config_static_selectorELNS0_4arch9wavefront6targetE0EEEvT1_.has_indirect_call, 0
	.section	.AMDGPU.csdata,"",@progbits
; Kernel info:
; codeLenInByte = 0
; TotalNumSgprs: 0
; NumVgprs: 0
; ScratchSize: 0
; MemoryBound: 0
; FloatMode: 240
; IeeeMode: 1
; LDSByteSize: 0 bytes/workgroup (compile time only)
; SGPRBlocks: 0
; VGPRBlocks: 0
; NumSGPRsForWavesPerEU: 1
; NumVGPRsForWavesPerEU: 1
; NamedBarCnt: 0
; Occupancy: 16
; WaveLimiterHint : 0
; COMPUTE_PGM_RSRC2:SCRATCH_EN: 0
; COMPUTE_PGM_RSRC2:USER_SGPR: 2
; COMPUTE_PGM_RSRC2:TRAP_HANDLER: 0
; COMPUTE_PGM_RSRC2:TGID_X_EN: 1
; COMPUTE_PGM_RSRC2:TGID_Y_EN: 0
; COMPUTE_PGM_RSRC2:TGID_Z_EN: 0
; COMPUTE_PGM_RSRC2:TIDIG_COMP_CNT: 0
	.section	.text._ZN7rocprim17ROCPRIM_400000_NS6detail17trampoline_kernelINS0_14default_configENS1_25partition_config_selectorILNS1_17partition_subalgoE8ElNS0_10empty_typeEbEEZZNS1_14partition_implILS5_8ELb0ES3_jPKlPS6_PKS6_NS0_5tupleIJPlS6_EEENSE_IJSB_SB_EEENS0_18inequality_wrapperIN6hipcub16HIPCUB_304000_NS8EqualityEEESF_JS6_EEE10hipError_tPvRmT3_T4_T5_T6_T7_T9_mT8_P12ihipStream_tbDpT10_ENKUlT_T0_E_clISt17integral_constantIbLb0EES15_IbLb1EEEEDaS11_S12_EUlS11_E_NS1_11comp_targetILNS1_3genE8ELNS1_11target_archE1030ELNS1_3gpuE2ELNS1_3repE0EEENS1_30default_config_static_selectorELNS0_4arch9wavefront6targetE0EEEvT1_,"axG",@progbits,_ZN7rocprim17ROCPRIM_400000_NS6detail17trampoline_kernelINS0_14default_configENS1_25partition_config_selectorILNS1_17partition_subalgoE8ElNS0_10empty_typeEbEEZZNS1_14partition_implILS5_8ELb0ES3_jPKlPS6_PKS6_NS0_5tupleIJPlS6_EEENSE_IJSB_SB_EEENS0_18inequality_wrapperIN6hipcub16HIPCUB_304000_NS8EqualityEEESF_JS6_EEE10hipError_tPvRmT3_T4_T5_T6_T7_T9_mT8_P12ihipStream_tbDpT10_ENKUlT_T0_E_clISt17integral_constantIbLb0EES15_IbLb1EEEEDaS11_S12_EUlS11_E_NS1_11comp_targetILNS1_3genE8ELNS1_11target_archE1030ELNS1_3gpuE2ELNS1_3repE0EEENS1_30default_config_static_selectorELNS0_4arch9wavefront6targetE0EEEvT1_,comdat
	.protected	_ZN7rocprim17ROCPRIM_400000_NS6detail17trampoline_kernelINS0_14default_configENS1_25partition_config_selectorILNS1_17partition_subalgoE8ElNS0_10empty_typeEbEEZZNS1_14partition_implILS5_8ELb0ES3_jPKlPS6_PKS6_NS0_5tupleIJPlS6_EEENSE_IJSB_SB_EEENS0_18inequality_wrapperIN6hipcub16HIPCUB_304000_NS8EqualityEEESF_JS6_EEE10hipError_tPvRmT3_T4_T5_T6_T7_T9_mT8_P12ihipStream_tbDpT10_ENKUlT_T0_E_clISt17integral_constantIbLb0EES15_IbLb1EEEEDaS11_S12_EUlS11_E_NS1_11comp_targetILNS1_3genE8ELNS1_11target_archE1030ELNS1_3gpuE2ELNS1_3repE0EEENS1_30default_config_static_selectorELNS0_4arch9wavefront6targetE0EEEvT1_ ; -- Begin function _ZN7rocprim17ROCPRIM_400000_NS6detail17trampoline_kernelINS0_14default_configENS1_25partition_config_selectorILNS1_17partition_subalgoE8ElNS0_10empty_typeEbEEZZNS1_14partition_implILS5_8ELb0ES3_jPKlPS6_PKS6_NS0_5tupleIJPlS6_EEENSE_IJSB_SB_EEENS0_18inequality_wrapperIN6hipcub16HIPCUB_304000_NS8EqualityEEESF_JS6_EEE10hipError_tPvRmT3_T4_T5_T6_T7_T9_mT8_P12ihipStream_tbDpT10_ENKUlT_T0_E_clISt17integral_constantIbLb0EES15_IbLb1EEEEDaS11_S12_EUlS11_E_NS1_11comp_targetILNS1_3genE8ELNS1_11target_archE1030ELNS1_3gpuE2ELNS1_3repE0EEENS1_30default_config_static_selectorELNS0_4arch9wavefront6targetE0EEEvT1_
	.globl	_ZN7rocprim17ROCPRIM_400000_NS6detail17trampoline_kernelINS0_14default_configENS1_25partition_config_selectorILNS1_17partition_subalgoE8ElNS0_10empty_typeEbEEZZNS1_14partition_implILS5_8ELb0ES3_jPKlPS6_PKS6_NS0_5tupleIJPlS6_EEENSE_IJSB_SB_EEENS0_18inequality_wrapperIN6hipcub16HIPCUB_304000_NS8EqualityEEESF_JS6_EEE10hipError_tPvRmT3_T4_T5_T6_T7_T9_mT8_P12ihipStream_tbDpT10_ENKUlT_T0_E_clISt17integral_constantIbLb0EES15_IbLb1EEEEDaS11_S12_EUlS11_E_NS1_11comp_targetILNS1_3genE8ELNS1_11target_archE1030ELNS1_3gpuE2ELNS1_3repE0EEENS1_30default_config_static_selectorELNS0_4arch9wavefront6targetE0EEEvT1_
	.p2align	8
	.type	_ZN7rocprim17ROCPRIM_400000_NS6detail17trampoline_kernelINS0_14default_configENS1_25partition_config_selectorILNS1_17partition_subalgoE8ElNS0_10empty_typeEbEEZZNS1_14partition_implILS5_8ELb0ES3_jPKlPS6_PKS6_NS0_5tupleIJPlS6_EEENSE_IJSB_SB_EEENS0_18inequality_wrapperIN6hipcub16HIPCUB_304000_NS8EqualityEEESF_JS6_EEE10hipError_tPvRmT3_T4_T5_T6_T7_T9_mT8_P12ihipStream_tbDpT10_ENKUlT_T0_E_clISt17integral_constantIbLb0EES15_IbLb1EEEEDaS11_S12_EUlS11_E_NS1_11comp_targetILNS1_3genE8ELNS1_11target_archE1030ELNS1_3gpuE2ELNS1_3repE0EEENS1_30default_config_static_selectorELNS0_4arch9wavefront6targetE0EEEvT1_,@function
_ZN7rocprim17ROCPRIM_400000_NS6detail17trampoline_kernelINS0_14default_configENS1_25partition_config_selectorILNS1_17partition_subalgoE8ElNS0_10empty_typeEbEEZZNS1_14partition_implILS5_8ELb0ES3_jPKlPS6_PKS6_NS0_5tupleIJPlS6_EEENSE_IJSB_SB_EEENS0_18inequality_wrapperIN6hipcub16HIPCUB_304000_NS8EqualityEEESF_JS6_EEE10hipError_tPvRmT3_T4_T5_T6_T7_T9_mT8_P12ihipStream_tbDpT10_ENKUlT_T0_E_clISt17integral_constantIbLb0EES15_IbLb1EEEEDaS11_S12_EUlS11_E_NS1_11comp_targetILNS1_3genE8ELNS1_11target_archE1030ELNS1_3gpuE2ELNS1_3repE0EEENS1_30default_config_static_selectorELNS0_4arch9wavefront6targetE0EEEvT1_: ; @_ZN7rocprim17ROCPRIM_400000_NS6detail17trampoline_kernelINS0_14default_configENS1_25partition_config_selectorILNS1_17partition_subalgoE8ElNS0_10empty_typeEbEEZZNS1_14partition_implILS5_8ELb0ES3_jPKlPS6_PKS6_NS0_5tupleIJPlS6_EEENSE_IJSB_SB_EEENS0_18inequality_wrapperIN6hipcub16HIPCUB_304000_NS8EqualityEEESF_JS6_EEE10hipError_tPvRmT3_T4_T5_T6_T7_T9_mT8_P12ihipStream_tbDpT10_ENKUlT_T0_E_clISt17integral_constantIbLb0EES15_IbLb1EEEEDaS11_S12_EUlS11_E_NS1_11comp_targetILNS1_3genE8ELNS1_11target_archE1030ELNS1_3gpuE2ELNS1_3repE0EEENS1_30default_config_static_selectorELNS0_4arch9wavefront6targetE0EEEvT1_
; %bb.0:
	.section	.rodata,"a",@progbits
	.p2align	6, 0x0
	.amdhsa_kernel _ZN7rocprim17ROCPRIM_400000_NS6detail17trampoline_kernelINS0_14default_configENS1_25partition_config_selectorILNS1_17partition_subalgoE8ElNS0_10empty_typeEbEEZZNS1_14partition_implILS5_8ELb0ES3_jPKlPS6_PKS6_NS0_5tupleIJPlS6_EEENSE_IJSB_SB_EEENS0_18inequality_wrapperIN6hipcub16HIPCUB_304000_NS8EqualityEEESF_JS6_EEE10hipError_tPvRmT3_T4_T5_T6_T7_T9_mT8_P12ihipStream_tbDpT10_ENKUlT_T0_E_clISt17integral_constantIbLb0EES15_IbLb1EEEEDaS11_S12_EUlS11_E_NS1_11comp_targetILNS1_3genE8ELNS1_11target_archE1030ELNS1_3gpuE2ELNS1_3repE0EEENS1_30default_config_static_selectorELNS0_4arch9wavefront6targetE0EEEvT1_
		.amdhsa_group_segment_fixed_size 0
		.amdhsa_private_segment_fixed_size 0
		.amdhsa_kernarg_size 128
		.amdhsa_user_sgpr_count 2
		.amdhsa_user_sgpr_dispatch_ptr 0
		.amdhsa_user_sgpr_queue_ptr 0
		.amdhsa_user_sgpr_kernarg_segment_ptr 1
		.amdhsa_user_sgpr_dispatch_id 0
		.amdhsa_user_sgpr_kernarg_preload_length 0
		.amdhsa_user_sgpr_kernarg_preload_offset 0
		.amdhsa_user_sgpr_private_segment_size 0
		.amdhsa_wavefront_size32 1
		.amdhsa_uses_dynamic_stack 0
		.amdhsa_enable_private_segment 0
		.amdhsa_system_sgpr_workgroup_id_x 1
		.amdhsa_system_sgpr_workgroup_id_y 0
		.amdhsa_system_sgpr_workgroup_id_z 0
		.amdhsa_system_sgpr_workgroup_info 0
		.amdhsa_system_vgpr_workitem_id 0
		.amdhsa_next_free_vgpr 1
		.amdhsa_next_free_sgpr 1
		.amdhsa_named_barrier_count 0
		.amdhsa_reserve_vcc 0
		.amdhsa_float_round_mode_32 0
		.amdhsa_float_round_mode_16_64 0
		.amdhsa_float_denorm_mode_32 3
		.amdhsa_float_denorm_mode_16_64 3
		.amdhsa_fp16_overflow 0
		.amdhsa_memory_ordered 1
		.amdhsa_forward_progress 1
		.amdhsa_inst_pref_size 0
		.amdhsa_round_robin_scheduling 0
		.amdhsa_exception_fp_ieee_invalid_op 0
		.amdhsa_exception_fp_denorm_src 0
		.amdhsa_exception_fp_ieee_div_zero 0
		.amdhsa_exception_fp_ieee_overflow 0
		.amdhsa_exception_fp_ieee_underflow 0
		.amdhsa_exception_fp_ieee_inexact 0
		.amdhsa_exception_int_div_zero 0
	.end_amdhsa_kernel
	.section	.text._ZN7rocprim17ROCPRIM_400000_NS6detail17trampoline_kernelINS0_14default_configENS1_25partition_config_selectorILNS1_17partition_subalgoE8ElNS0_10empty_typeEbEEZZNS1_14partition_implILS5_8ELb0ES3_jPKlPS6_PKS6_NS0_5tupleIJPlS6_EEENSE_IJSB_SB_EEENS0_18inequality_wrapperIN6hipcub16HIPCUB_304000_NS8EqualityEEESF_JS6_EEE10hipError_tPvRmT3_T4_T5_T6_T7_T9_mT8_P12ihipStream_tbDpT10_ENKUlT_T0_E_clISt17integral_constantIbLb0EES15_IbLb1EEEEDaS11_S12_EUlS11_E_NS1_11comp_targetILNS1_3genE8ELNS1_11target_archE1030ELNS1_3gpuE2ELNS1_3repE0EEENS1_30default_config_static_selectorELNS0_4arch9wavefront6targetE0EEEvT1_,"axG",@progbits,_ZN7rocprim17ROCPRIM_400000_NS6detail17trampoline_kernelINS0_14default_configENS1_25partition_config_selectorILNS1_17partition_subalgoE8ElNS0_10empty_typeEbEEZZNS1_14partition_implILS5_8ELb0ES3_jPKlPS6_PKS6_NS0_5tupleIJPlS6_EEENSE_IJSB_SB_EEENS0_18inequality_wrapperIN6hipcub16HIPCUB_304000_NS8EqualityEEESF_JS6_EEE10hipError_tPvRmT3_T4_T5_T6_T7_T9_mT8_P12ihipStream_tbDpT10_ENKUlT_T0_E_clISt17integral_constantIbLb0EES15_IbLb1EEEEDaS11_S12_EUlS11_E_NS1_11comp_targetILNS1_3genE8ELNS1_11target_archE1030ELNS1_3gpuE2ELNS1_3repE0EEENS1_30default_config_static_selectorELNS0_4arch9wavefront6targetE0EEEvT1_,comdat
.Lfunc_end257:
	.size	_ZN7rocprim17ROCPRIM_400000_NS6detail17trampoline_kernelINS0_14default_configENS1_25partition_config_selectorILNS1_17partition_subalgoE8ElNS0_10empty_typeEbEEZZNS1_14partition_implILS5_8ELb0ES3_jPKlPS6_PKS6_NS0_5tupleIJPlS6_EEENSE_IJSB_SB_EEENS0_18inequality_wrapperIN6hipcub16HIPCUB_304000_NS8EqualityEEESF_JS6_EEE10hipError_tPvRmT3_T4_T5_T6_T7_T9_mT8_P12ihipStream_tbDpT10_ENKUlT_T0_E_clISt17integral_constantIbLb0EES15_IbLb1EEEEDaS11_S12_EUlS11_E_NS1_11comp_targetILNS1_3genE8ELNS1_11target_archE1030ELNS1_3gpuE2ELNS1_3repE0EEENS1_30default_config_static_selectorELNS0_4arch9wavefront6targetE0EEEvT1_, .Lfunc_end257-_ZN7rocprim17ROCPRIM_400000_NS6detail17trampoline_kernelINS0_14default_configENS1_25partition_config_selectorILNS1_17partition_subalgoE8ElNS0_10empty_typeEbEEZZNS1_14partition_implILS5_8ELb0ES3_jPKlPS6_PKS6_NS0_5tupleIJPlS6_EEENSE_IJSB_SB_EEENS0_18inequality_wrapperIN6hipcub16HIPCUB_304000_NS8EqualityEEESF_JS6_EEE10hipError_tPvRmT3_T4_T5_T6_T7_T9_mT8_P12ihipStream_tbDpT10_ENKUlT_T0_E_clISt17integral_constantIbLb0EES15_IbLb1EEEEDaS11_S12_EUlS11_E_NS1_11comp_targetILNS1_3genE8ELNS1_11target_archE1030ELNS1_3gpuE2ELNS1_3repE0EEENS1_30default_config_static_selectorELNS0_4arch9wavefront6targetE0EEEvT1_
                                        ; -- End function
	.set _ZN7rocprim17ROCPRIM_400000_NS6detail17trampoline_kernelINS0_14default_configENS1_25partition_config_selectorILNS1_17partition_subalgoE8ElNS0_10empty_typeEbEEZZNS1_14partition_implILS5_8ELb0ES3_jPKlPS6_PKS6_NS0_5tupleIJPlS6_EEENSE_IJSB_SB_EEENS0_18inequality_wrapperIN6hipcub16HIPCUB_304000_NS8EqualityEEESF_JS6_EEE10hipError_tPvRmT3_T4_T5_T6_T7_T9_mT8_P12ihipStream_tbDpT10_ENKUlT_T0_E_clISt17integral_constantIbLb0EES15_IbLb1EEEEDaS11_S12_EUlS11_E_NS1_11comp_targetILNS1_3genE8ELNS1_11target_archE1030ELNS1_3gpuE2ELNS1_3repE0EEENS1_30default_config_static_selectorELNS0_4arch9wavefront6targetE0EEEvT1_.num_vgpr, 0
	.set _ZN7rocprim17ROCPRIM_400000_NS6detail17trampoline_kernelINS0_14default_configENS1_25partition_config_selectorILNS1_17partition_subalgoE8ElNS0_10empty_typeEbEEZZNS1_14partition_implILS5_8ELb0ES3_jPKlPS6_PKS6_NS0_5tupleIJPlS6_EEENSE_IJSB_SB_EEENS0_18inequality_wrapperIN6hipcub16HIPCUB_304000_NS8EqualityEEESF_JS6_EEE10hipError_tPvRmT3_T4_T5_T6_T7_T9_mT8_P12ihipStream_tbDpT10_ENKUlT_T0_E_clISt17integral_constantIbLb0EES15_IbLb1EEEEDaS11_S12_EUlS11_E_NS1_11comp_targetILNS1_3genE8ELNS1_11target_archE1030ELNS1_3gpuE2ELNS1_3repE0EEENS1_30default_config_static_selectorELNS0_4arch9wavefront6targetE0EEEvT1_.num_agpr, 0
	.set _ZN7rocprim17ROCPRIM_400000_NS6detail17trampoline_kernelINS0_14default_configENS1_25partition_config_selectorILNS1_17partition_subalgoE8ElNS0_10empty_typeEbEEZZNS1_14partition_implILS5_8ELb0ES3_jPKlPS6_PKS6_NS0_5tupleIJPlS6_EEENSE_IJSB_SB_EEENS0_18inequality_wrapperIN6hipcub16HIPCUB_304000_NS8EqualityEEESF_JS6_EEE10hipError_tPvRmT3_T4_T5_T6_T7_T9_mT8_P12ihipStream_tbDpT10_ENKUlT_T0_E_clISt17integral_constantIbLb0EES15_IbLb1EEEEDaS11_S12_EUlS11_E_NS1_11comp_targetILNS1_3genE8ELNS1_11target_archE1030ELNS1_3gpuE2ELNS1_3repE0EEENS1_30default_config_static_selectorELNS0_4arch9wavefront6targetE0EEEvT1_.numbered_sgpr, 0
	.set _ZN7rocprim17ROCPRIM_400000_NS6detail17trampoline_kernelINS0_14default_configENS1_25partition_config_selectorILNS1_17partition_subalgoE8ElNS0_10empty_typeEbEEZZNS1_14partition_implILS5_8ELb0ES3_jPKlPS6_PKS6_NS0_5tupleIJPlS6_EEENSE_IJSB_SB_EEENS0_18inequality_wrapperIN6hipcub16HIPCUB_304000_NS8EqualityEEESF_JS6_EEE10hipError_tPvRmT3_T4_T5_T6_T7_T9_mT8_P12ihipStream_tbDpT10_ENKUlT_T0_E_clISt17integral_constantIbLb0EES15_IbLb1EEEEDaS11_S12_EUlS11_E_NS1_11comp_targetILNS1_3genE8ELNS1_11target_archE1030ELNS1_3gpuE2ELNS1_3repE0EEENS1_30default_config_static_selectorELNS0_4arch9wavefront6targetE0EEEvT1_.num_named_barrier, 0
	.set _ZN7rocprim17ROCPRIM_400000_NS6detail17trampoline_kernelINS0_14default_configENS1_25partition_config_selectorILNS1_17partition_subalgoE8ElNS0_10empty_typeEbEEZZNS1_14partition_implILS5_8ELb0ES3_jPKlPS6_PKS6_NS0_5tupleIJPlS6_EEENSE_IJSB_SB_EEENS0_18inequality_wrapperIN6hipcub16HIPCUB_304000_NS8EqualityEEESF_JS6_EEE10hipError_tPvRmT3_T4_T5_T6_T7_T9_mT8_P12ihipStream_tbDpT10_ENKUlT_T0_E_clISt17integral_constantIbLb0EES15_IbLb1EEEEDaS11_S12_EUlS11_E_NS1_11comp_targetILNS1_3genE8ELNS1_11target_archE1030ELNS1_3gpuE2ELNS1_3repE0EEENS1_30default_config_static_selectorELNS0_4arch9wavefront6targetE0EEEvT1_.private_seg_size, 0
	.set _ZN7rocprim17ROCPRIM_400000_NS6detail17trampoline_kernelINS0_14default_configENS1_25partition_config_selectorILNS1_17partition_subalgoE8ElNS0_10empty_typeEbEEZZNS1_14partition_implILS5_8ELb0ES3_jPKlPS6_PKS6_NS0_5tupleIJPlS6_EEENSE_IJSB_SB_EEENS0_18inequality_wrapperIN6hipcub16HIPCUB_304000_NS8EqualityEEESF_JS6_EEE10hipError_tPvRmT3_T4_T5_T6_T7_T9_mT8_P12ihipStream_tbDpT10_ENKUlT_T0_E_clISt17integral_constantIbLb0EES15_IbLb1EEEEDaS11_S12_EUlS11_E_NS1_11comp_targetILNS1_3genE8ELNS1_11target_archE1030ELNS1_3gpuE2ELNS1_3repE0EEENS1_30default_config_static_selectorELNS0_4arch9wavefront6targetE0EEEvT1_.uses_vcc, 0
	.set _ZN7rocprim17ROCPRIM_400000_NS6detail17trampoline_kernelINS0_14default_configENS1_25partition_config_selectorILNS1_17partition_subalgoE8ElNS0_10empty_typeEbEEZZNS1_14partition_implILS5_8ELb0ES3_jPKlPS6_PKS6_NS0_5tupleIJPlS6_EEENSE_IJSB_SB_EEENS0_18inequality_wrapperIN6hipcub16HIPCUB_304000_NS8EqualityEEESF_JS6_EEE10hipError_tPvRmT3_T4_T5_T6_T7_T9_mT8_P12ihipStream_tbDpT10_ENKUlT_T0_E_clISt17integral_constantIbLb0EES15_IbLb1EEEEDaS11_S12_EUlS11_E_NS1_11comp_targetILNS1_3genE8ELNS1_11target_archE1030ELNS1_3gpuE2ELNS1_3repE0EEENS1_30default_config_static_selectorELNS0_4arch9wavefront6targetE0EEEvT1_.uses_flat_scratch, 0
	.set _ZN7rocprim17ROCPRIM_400000_NS6detail17trampoline_kernelINS0_14default_configENS1_25partition_config_selectorILNS1_17partition_subalgoE8ElNS0_10empty_typeEbEEZZNS1_14partition_implILS5_8ELb0ES3_jPKlPS6_PKS6_NS0_5tupleIJPlS6_EEENSE_IJSB_SB_EEENS0_18inequality_wrapperIN6hipcub16HIPCUB_304000_NS8EqualityEEESF_JS6_EEE10hipError_tPvRmT3_T4_T5_T6_T7_T9_mT8_P12ihipStream_tbDpT10_ENKUlT_T0_E_clISt17integral_constantIbLb0EES15_IbLb1EEEEDaS11_S12_EUlS11_E_NS1_11comp_targetILNS1_3genE8ELNS1_11target_archE1030ELNS1_3gpuE2ELNS1_3repE0EEENS1_30default_config_static_selectorELNS0_4arch9wavefront6targetE0EEEvT1_.has_dyn_sized_stack, 0
	.set _ZN7rocprim17ROCPRIM_400000_NS6detail17trampoline_kernelINS0_14default_configENS1_25partition_config_selectorILNS1_17partition_subalgoE8ElNS0_10empty_typeEbEEZZNS1_14partition_implILS5_8ELb0ES3_jPKlPS6_PKS6_NS0_5tupleIJPlS6_EEENSE_IJSB_SB_EEENS0_18inequality_wrapperIN6hipcub16HIPCUB_304000_NS8EqualityEEESF_JS6_EEE10hipError_tPvRmT3_T4_T5_T6_T7_T9_mT8_P12ihipStream_tbDpT10_ENKUlT_T0_E_clISt17integral_constantIbLb0EES15_IbLb1EEEEDaS11_S12_EUlS11_E_NS1_11comp_targetILNS1_3genE8ELNS1_11target_archE1030ELNS1_3gpuE2ELNS1_3repE0EEENS1_30default_config_static_selectorELNS0_4arch9wavefront6targetE0EEEvT1_.has_recursion, 0
	.set _ZN7rocprim17ROCPRIM_400000_NS6detail17trampoline_kernelINS0_14default_configENS1_25partition_config_selectorILNS1_17partition_subalgoE8ElNS0_10empty_typeEbEEZZNS1_14partition_implILS5_8ELb0ES3_jPKlPS6_PKS6_NS0_5tupleIJPlS6_EEENSE_IJSB_SB_EEENS0_18inequality_wrapperIN6hipcub16HIPCUB_304000_NS8EqualityEEESF_JS6_EEE10hipError_tPvRmT3_T4_T5_T6_T7_T9_mT8_P12ihipStream_tbDpT10_ENKUlT_T0_E_clISt17integral_constantIbLb0EES15_IbLb1EEEEDaS11_S12_EUlS11_E_NS1_11comp_targetILNS1_3genE8ELNS1_11target_archE1030ELNS1_3gpuE2ELNS1_3repE0EEENS1_30default_config_static_selectorELNS0_4arch9wavefront6targetE0EEEvT1_.has_indirect_call, 0
	.section	.AMDGPU.csdata,"",@progbits
; Kernel info:
; codeLenInByte = 0
; TotalNumSgprs: 0
; NumVgprs: 0
; ScratchSize: 0
; MemoryBound: 0
; FloatMode: 240
; IeeeMode: 1
; LDSByteSize: 0 bytes/workgroup (compile time only)
; SGPRBlocks: 0
; VGPRBlocks: 0
; NumSGPRsForWavesPerEU: 1
; NumVGPRsForWavesPerEU: 1
; NamedBarCnt: 0
; Occupancy: 16
; WaveLimiterHint : 0
; COMPUTE_PGM_RSRC2:SCRATCH_EN: 0
; COMPUTE_PGM_RSRC2:USER_SGPR: 2
; COMPUTE_PGM_RSRC2:TRAP_HANDLER: 0
; COMPUTE_PGM_RSRC2:TGID_X_EN: 1
; COMPUTE_PGM_RSRC2:TGID_Y_EN: 0
; COMPUTE_PGM_RSRC2:TGID_Z_EN: 0
; COMPUTE_PGM_RSRC2:TIDIG_COMP_CNT: 0
	.section	.text._ZN2at6native12_GLOBAL__N_113renorm_kernelIddKlEEvPT_PT1_T0_S8_llllPS3_,"axG",@progbits,_ZN2at6native12_GLOBAL__N_113renorm_kernelIddKlEEvPT_PT1_T0_S8_llllPS3_,comdat
	.globl	_ZN2at6native12_GLOBAL__N_113renorm_kernelIddKlEEvPT_PT1_T0_S8_llllPS3_ ; -- Begin function _ZN2at6native12_GLOBAL__N_113renorm_kernelIddKlEEvPT_PT1_T0_S8_llllPS3_
	.p2align	8
	.type	_ZN2at6native12_GLOBAL__N_113renorm_kernelIddKlEEvPT_PT1_T0_S8_llllPS3_,@function
_ZN2at6native12_GLOBAL__N_113renorm_kernelIddKlEEvPT_PT1_T0_S8_llllPS3_: ; @_ZN2at6native12_GLOBAL__N_113renorm_kernelIddKlEEvPT_PT1_T0_S8_llllPS3_
; %bb.0:
	s_load_b64 s[2:3], s[0:1], 0x40
	s_getreg_b32 s6, hwreg(HW_REG_IB_STS2, 6, 4)
	s_wait_kmcnt 0x0
	s_load_b64 s[4:5], s[2:3], 0x0
	s_wait_xcnt 0x0
	s_bfe_u32 s2, ttmp6, 0x4000c
	s_and_b32 s3, ttmp6, 15
	s_add_co_i32 s2, s2, 1
	s_delay_alu instid0(SALU_CYCLE_1) | instskip(NEXT) | instid1(SALU_CYCLE_1)
	s_mul_i32 s2, ttmp9, s2
	s_add_co_i32 s2, s3, s2
	s_cmp_eq_u32 s6, 0
	s_mov_b32 s3, 0
	s_cselect_b32 s2, ttmp9, s2
	s_wait_kmcnt 0x0
	v_cmp_le_i64_e64 s4, s[4:5], s[2:3]
	s_and_b32 vcc_lo, exec_lo, s4
	s_cbranch_vccnz .LBB258_28
; %bb.1:
	s_load_b512 s[8:23], s[0:1], 0x0
	s_lshl_b64 s[2:3], s[2:3], 3
	s_wait_kmcnt 0x0
	s_add_nc_u64 s[2:3], s[10:11], s[2:3]
	s_load_b64 s[4:5], s[2:3], 0x0
	s_wait_kmcnt 0x0
	v_cmp_lt_i64_e64 s2, s[4:5], 0
	s_and_b32 vcc_lo, exec_lo, s2
	s_cbranch_vccnz .LBB258_29
; %bb.2:
	v_cmp_ge_i64_e64 s6, s[4:5], s[18:19]
	s_get_pc_i64 s[2:3]
	s_add_nc_u64 s[2:3], s[2:3], .str.5@rel64+4
	s_delay_alu instid0(SALU_CYCLE_1) | instskip(SKIP_1) | instid1(SALU_CYCLE_1)
	s_cmp_eq_u64 s[2:3], 0
	s_cselect_b32 s2, -1, 0
	s_or_b32 s7, s6, s2
	s_delay_alu instid0(SALU_CYCLE_1)
	s_and_not1_b32 vcc_lo, exec_lo, s7
	s_cbranch_vccz .LBB258_27
; %bb.3:
	v_mov_b32_e32 v1, 0
	v_mov_b64_e32 v[2:3], 0
	s_mul_u64 s[10:11], s[4:5], s[20:21]
	s_delay_alu instid0(VALU_DEP_2)
	v_cmp_gt_i64_e64 s2, s[16:17], v[0:1]
	s_and_saveexec_b32 s26, s2
	s_cbranch_execz .LBB258_13
; %bb.4:
	v_cmp_neq_f64_e64 s27, s[14:15], 1.0
	v_cmp_neq_f64_e64 s28, s[14:15], 2.0
	s_load_b32 s3, s[0:1], 0x54
	v_mov_b64_e32 v[2:3], 0
	v_mov_b64_e32 v[4:5], 0x3fba6564968915a9
	;; [unrolled: 1-line block ×4, first 2 shown]
	s_lshl_b64 s[4:5], s[10:11], 3
	s_mov_b64 s[18:19], 0x3fe5555555555555
	s_mov_b64 s[20:21], 0x3fe62e42fefa39ef
	s_add_nc_u64 s[24:25], s[8:9], s[4:5]
	s_mov_b32 s30, 0
                                        ; implicit-def: $vgpr12_vgpr13
                                        ; implicit-def: $vgpr12_vgpr13
	;; [unrolled: 1-line block ×15, first 2 shown]
	s_wait_kmcnt 0x0
	s_and_b32 s29, s3, 0xffff
	s_delay_alu instid0(SALU_CYCLE_1)
	v_add_nc_u32_e32 v8, s29, v0
	s_branch .LBB258_7
.LBB258_5:                              ;   in Loop: Header=BB258_7 Depth=1
	s_wait_loadcnt 0x0
	v_and_b32_e32 v11, 0x7fffffff, v11
	s_delay_alu instid0(VALU_DEP_1)
	v_mov_b64_e32 v[12:13], v[10:11]
.LBB258_6:                              ;   in Loop: Header=BB258_7 Depth=1
	s_delay_alu instid0(VALU_DEP_1) | instskip(SKIP_1) | instid1(VALU_DEP_1)
	v_add_f64_e32 v[2:3], v[2:3], v[12:13]
	v_ashrrev_i32_e32 v9, 31, v8
	v_cmp_le_i64_e32 vcc_lo, s[16:17], v[8:9]
	s_wait_loadcnt 0x0
	v_mov_b64_e32 v[10:11], v[8:9]
	v_add_nc_u32_e32 v8, s29, v8
	s_or_b32 s30, vcc_lo, s30
	s_delay_alu instid0(SALU_CYCLE_1)
	s_and_not1_b32 exec_lo, exec_lo, s30
	s_cbranch_execz .LBB258_12
.LBB258_7:                              ; =>This Inner Loop Header: Depth=1
	s_delay_alu instid0(VALU_DEP_2) | instskip(SKIP_1) | instid1(VALU_DEP_1)
	v_mul_u64_e32 v[10:11], s[22:23], v[10:11]
	s_and_b32 vcc_lo, exec_lo, s27
	v_lshl_add_u64 v[10:11], v[10:11], 3, s[24:25]
	global_load_b64 v[10:11], v[10:11], off
	s_cbranch_vccz .LBB258_5
; %bb.8:                                ;   in Loop: Header=BB258_7 Depth=1
	s_and_b32 vcc_lo, exec_lo, s28
	s_cbranch_vccz .LBB258_10
; %bb.9:                                ;   in Loop: Header=BB258_7 Depth=1
	s_wait_loadcnt 0x0
	v_cmp_neq_f64_e32 vcc_lo, 1.0, v[10:11]
	v_mov_b32_e32 v9, s15
	s_delay_alu instid0(VALU_DEP_1) | instskip(SKIP_1) | instid1(VALU_DEP_1)
	v_cndmask_b32_e32 v13, 0x3ff00000, v9, vcc_lo
	v_cndmask_b32_e64 v12, 0, s14, vcc_lo
	v_cmp_neq_f64_e32 vcc_lo, 0, v[12:13]
	v_cmp_neq_f64_e64 s6, v[12:13], |v[12:13]|
	v_cndmask_b32_e32 v15, 0x3ff00000, v11, vcc_lo
	v_cndmask_b32_e32 v14, 0, v10, vcc_lo
	s_delay_alu instid0(VALU_DEP_1) | instskip(SKIP_2) | instid1(VALU_DEP_3)
	v_frexp_mant_f64_e64 v[16:17], |v[14:15]|
	v_cmp_lt_f64_e64 s31, |v[14:15]|, 1.0
	v_cmp_eq_f64_e64 s5, 0, v[14:15]
	v_cmp_gt_f64_e32 vcc_lo, s[18:19], v[16:17]
	s_xor_b32 s6, s6, s31
	v_cmp_class_f64_e64 s31, v[14:15], 0x204
	v_cndmask_b32_e64 v9, 0, 1, vcc_lo
	s_delay_alu instid0(VALU_DEP_1) | instskip(SKIP_1) | instid1(VALU_DEP_2)
	v_ldexp_f64 v[16:17], v[16:17], v9
	v_frexp_exp_i32_f64_e32 v9, v[14:15]
	v_add_f64_e32 v[18:19], 1.0, v[16:17]
	v_add_f64_e32 v[24:25], -1.0, v[16:17]
	s_delay_alu instid0(VALU_DEP_3) | instskip(NEXT) | instid1(VALU_DEP_3)
	v_subrev_co_ci_u32_e64 v9, null, 0, v9, vcc_lo
	v_rcp_f64_e32 v[20:21], v[18:19]
	v_add_f64_e32 v[26:27], -1.0, v[18:19]
	s_delay_alu instid0(VALU_DEP_1) | instskip(NEXT) | instid1(TRANS32_DEP_1)
	v_add_f64_e64 v[16:17], v[16:17], -v[26:27]
	v_fma_f64 v[22:23], -v[18:19], v[20:21], 1.0
	s_delay_alu instid0(VALU_DEP_1) | instskip(NEXT) | instid1(VALU_DEP_1)
	v_fmac_f64_e32 v[20:21], v[22:23], v[20:21]
	v_fma_f64 v[22:23], -v[18:19], v[20:21], 1.0
	s_delay_alu instid0(VALU_DEP_1) | instskip(NEXT) | instid1(VALU_DEP_1)
	v_fmac_f64_e32 v[20:21], v[22:23], v[20:21]
	v_mul_f64_e32 v[22:23], v[24:25], v[20:21]
	s_delay_alu instid0(VALU_DEP_1) | instskip(NEXT) | instid1(VALU_DEP_1)
	v_mul_f64_e32 v[28:29], v[18:19], v[22:23]
	v_fma_f64 v[18:19], v[22:23], v[18:19], -v[28:29]
	s_delay_alu instid0(VALU_DEP_1) | instskip(NEXT) | instid1(VALU_DEP_1)
	v_fmac_f64_e32 v[18:19], v[22:23], v[16:17]
	v_add_f64_e32 v[16:17], v[28:29], v[18:19]
	s_delay_alu instid0(VALU_DEP_1) | instskip(SKIP_1) | instid1(VALU_DEP_2)
	v_add_f64_e64 v[26:27], v[24:25], -v[16:17]
	v_add_f64_e64 v[28:29], v[16:17], -v[28:29]
	v_add_f64_e64 v[24:25], v[24:25], -v[26:27]
	s_delay_alu instid0(VALU_DEP_2) | instskip(NEXT) | instid1(VALU_DEP_2)
	v_add_f64_e64 v[18:19], v[28:29], -v[18:19]
	v_add_f64_e64 v[16:17], v[24:25], -v[16:17]
	s_delay_alu instid0(VALU_DEP_1) | instskip(NEXT) | instid1(VALU_DEP_1)
	v_add_f64_e32 v[16:17], v[18:19], v[16:17]
	v_add_f64_e32 v[16:17], v[26:27], v[16:17]
	s_delay_alu instid0(VALU_DEP_1) | instskip(NEXT) | instid1(VALU_DEP_1)
	v_mul_f64_e32 v[16:17], v[20:21], v[16:17]
	v_add_f64_e32 v[18:19], v[22:23], v[16:17]
	s_delay_alu instid0(VALU_DEP_1) | instskip(SKIP_1) | instid1(VALU_DEP_2)
	v_add_f64_e64 v[20:21], v[18:19], -v[22:23]
	v_mul_f64_e32 v[22:23], v[18:19], v[18:19]
	v_add_f64_e64 v[16:17], v[16:17], -v[20:21]
	s_delay_alu instid0(VALU_DEP_2) | instskip(NEXT) | instid1(VALU_DEP_2)
	v_fma_f64 v[20:21], v[18:19], v[18:19], -v[22:23]
	v_add_f64_e32 v[24:25], v[16:17], v[16:17]
	s_delay_alu instid0(VALU_DEP_1) | instskip(NEXT) | instid1(VALU_DEP_1)
	v_fmac_f64_e32 v[20:21], v[18:19], v[24:25]
	v_add_f64_e32 v[24:25], v[22:23], v[20:21]
	s_delay_alu instid0(VALU_DEP_1) | instskip(SKIP_2) | instid1(VALU_DEP_3)
	v_fmamk_f64 v[26:27], v[24:25], 0x3fbdee674222de17, v[4:5]
	v_add_f64_e64 v[22:23], v[24:25], -v[22:23]
	v_mul_f64_e32 v[32:33], v[18:19], v[24:25]
	v_fmaak_f64 v[26:27], v[24:25], v[26:27], 0x3fbe25e43abe935a
	s_delay_alu instid0(VALU_DEP_1) | instskip(NEXT) | instid1(VALU_DEP_1)
	v_fmaak_f64 v[26:27], v[24:25], v[26:27], 0x3fc110ef47e6c9c2
	v_fmaak_f64 v[26:27], v[24:25], v[26:27], 0x3fc3b13bcfa74449
	s_delay_alu instid0(VALU_DEP_1) | instskip(SKIP_1) | instid1(VALU_DEP_2)
	v_fmaak_f64 v[26:27], v[24:25], v[26:27], 0x3fc745d171bf3c30
	v_add_f64_e64 v[20:21], v[20:21], -v[22:23]
	v_fmaak_f64 v[26:27], v[24:25], v[26:27], 0x3fcc71c71c7792ce
	s_delay_alu instid0(VALU_DEP_1) | instskip(NEXT) | instid1(VALU_DEP_1)
	v_fmaak_f64 v[26:27], v[24:25], v[26:27], 0x3fd24924924920da
	v_fmaak_f64 v[26:27], v[24:25], v[26:27], 0x3fd999999999999c
	s_delay_alu instid0(VALU_DEP_1) | instskip(NEXT) | instid1(VALU_DEP_1)
	v_mul_f64_e32 v[28:29], v[24:25], v[26:27]
	v_fma_f64 v[22:23], v[24:25], v[26:27], -v[28:29]
	s_delay_alu instid0(VALU_DEP_1) | instskip(NEXT) | instid1(VALU_DEP_1)
	v_fmac_f64_e32 v[22:23], v[20:21], v[26:27]
	v_add_f64_e32 v[26:27], v[28:29], v[22:23]
	s_delay_alu instid0(VALU_DEP_1) | instskip(SKIP_1) | instid1(VALU_DEP_2)
	v_add_f64_e32 v[30:31], 0x3fe5555555555555, v[26:27]
	v_add_f64_e64 v[28:29], v[26:27], -v[28:29]
	v_add_f64_e32 v[34:35], 0xbfe5555555555555, v[30:31]
	s_delay_alu instid0(VALU_DEP_2) | instskip(SKIP_1) | instid1(VALU_DEP_3)
	v_add_f64_e64 v[22:23], v[22:23], -v[28:29]
	v_fma_f64 v[28:29], v[24:25], v[18:19], -v[32:33]
	v_add_f64_e64 v[26:27], v[26:27], -v[34:35]
	s_delay_alu instid0(VALU_DEP_3) | instskip(NEXT) | instid1(VALU_DEP_3)
	v_add_f64_e32 v[22:23], 0x3c8543b0d5df274d, v[22:23]
	v_fmac_f64_e32 v[28:29], v[24:25], v[16:17]
	v_ldexp_f64 v[16:17], v[16:17], 1
	s_delay_alu instid0(VALU_DEP_3) | instskip(NEXT) | instid1(VALU_DEP_3)
	v_add_f64_e32 v[22:23], v[22:23], v[26:27]
	v_fmac_f64_e32 v[28:29], v[20:21], v[18:19]
	v_ldexp_f64 v[18:19], v[18:19], 1
	s_delay_alu instid0(VALU_DEP_3) | instskip(NEXT) | instid1(VALU_DEP_3)
	v_add_f64_e32 v[20:21], v[30:31], v[22:23]
	v_add_f64_e32 v[24:25], v[32:33], v[28:29]
	s_delay_alu instid0(VALU_DEP_2) | instskip(NEXT) | instid1(VALU_DEP_2)
	v_add_f64_e64 v[26:27], v[30:31], -v[20:21]
	v_mul_f64_e32 v[30:31], v[24:25], v[20:21]
	v_add_f64_e64 v[32:33], v[24:25], -v[32:33]
	s_delay_alu instid0(VALU_DEP_3) | instskip(NEXT) | instid1(VALU_DEP_3)
	v_add_f64_e32 v[22:23], v[22:23], v[26:27]
	v_fma_f64 v[26:27], v[24:25], v[20:21], -v[30:31]
	s_delay_alu instid0(VALU_DEP_3) | instskip(NEXT) | instid1(VALU_DEP_2)
	v_add_f64_e64 v[28:29], v[28:29], -v[32:33]
	v_fmac_f64_e32 v[26:27], v[24:25], v[22:23]
	v_cvt_f64_i32_e32 v[22:23], v9
	s_delay_alu instid0(VALU_DEP_2) | instskip(NEXT) | instid1(VALU_DEP_1)
	v_fmac_f64_e32 v[26:27], v[28:29], v[20:21]
	v_add_f64_e32 v[20:21], v[30:31], v[26:27]
	s_delay_alu instid0(VALU_DEP_1) | instskip(SKIP_2) | instid1(VALU_DEP_3)
	v_add_f64_e32 v[24:25], v[18:19], v[20:21]
	v_add_f64_e64 v[28:29], v[20:21], -v[30:31]
	v_mul_f64_e32 v[30:31], 0x3fe62e42fefa39ef, v[22:23]
	v_add_f64_e64 v[18:19], v[24:25], -v[18:19]
	s_delay_alu instid0(VALU_DEP_3) | instskip(NEXT) | instid1(VALU_DEP_3)
	v_add_f64_e64 v[26:27], v[26:27], -v[28:29]
	v_fma_f64 v[28:29], v[22:23], s[20:21], -v[30:31]
	s_delay_alu instid0(VALU_DEP_3) | instskip(NEXT) | instid1(VALU_DEP_3)
	v_add_f64_e64 v[18:19], v[20:21], -v[18:19]
	v_add_f64_e32 v[16:17], v[16:17], v[26:27]
	s_delay_alu instid0(VALU_DEP_3) | instskip(NEXT) | instid1(VALU_DEP_2)
	v_fmac_f64_e32 v[28:29], 0x3c7abc9e3b39803f, v[22:23]
	v_add_f64_e32 v[16:17], v[16:17], v[18:19]
	s_delay_alu instid0(VALU_DEP_2) | instskip(NEXT) | instid1(VALU_DEP_2)
	v_add_f64_e32 v[18:19], v[30:31], v[28:29]
	v_add_f64_e32 v[20:21], v[24:25], v[16:17]
	s_delay_alu instid0(VALU_DEP_2) | instskip(NEXT) | instid1(VALU_DEP_2)
	v_add_f64_e64 v[30:31], v[18:19], -v[30:31]
	v_add_f64_e32 v[22:23], v[18:19], v[20:21]
	v_add_f64_e64 v[24:25], v[20:21], -v[24:25]
	s_delay_alu instid0(VALU_DEP_3) | instskip(NEXT) | instid1(VALU_DEP_3)
	v_add_f64_e64 v[28:29], v[28:29], -v[30:31]
	v_add_f64_e64 v[26:27], v[22:23], -v[18:19]
	s_delay_alu instid0(VALU_DEP_3) | instskip(NEXT) | instid1(VALU_DEP_2)
	v_add_f64_e64 v[16:17], v[16:17], -v[24:25]
	v_add_f64_e64 v[32:33], v[22:23], -v[26:27]
	;; [unrolled: 1-line block ×3, first 2 shown]
	s_delay_alu instid0(VALU_DEP_3) | instskip(NEXT) | instid1(VALU_DEP_3)
	v_add_f64_e32 v[24:25], v[28:29], v[16:17]
	v_add_f64_e64 v[18:19], v[18:19], -v[32:33]
	s_delay_alu instid0(VALU_DEP_1) | instskip(NEXT) | instid1(VALU_DEP_3)
	v_add_f64_e32 v[18:19], v[20:21], v[18:19]
	v_add_f64_e64 v[20:21], v[24:25], -v[28:29]
	s_delay_alu instid0(VALU_DEP_2) | instskip(NEXT) | instid1(VALU_DEP_2)
	v_add_f64_e32 v[18:19], v[24:25], v[18:19]
	v_add_f64_e64 v[24:25], v[24:25], -v[20:21]
	v_add_f64_e64 v[16:17], v[16:17], -v[20:21]
	s_delay_alu instid0(VALU_DEP_3) | instskip(NEXT) | instid1(VALU_DEP_3)
	v_add_f64_e32 v[26:27], v[22:23], v[18:19]
	v_add_f64_e64 v[20:21], v[28:29], -v[24:25]
	s_delay_alu instid0(VALU_DEP_2) | instskip(NEXT) | instid1(VALU_DEP_2)
	v_add_f64_e64 v[22:23], v[26:27], -v[22:23]
	v_add_f64_e32 v[16:17], v[16:17], v[20:21]
	s_delay_alu instid0(VALU_DEP_2) | instskip(NEXT) | instid1(VALU_DEP_1)
	v_add_f64_e64 v[18:19], v[18:19], -v[22:23]
	v_add_f64_e32 v[16:17], v[16:17], v[18:19]
	s_delay_alu instid0(VALU_DEP_1) | instskip(NEXT) | instid1(VALU_DEP_1)
	v_add_f64_e32 v[18:19], v[26:27], v[16:17]
	v_add_f64_e64 v[20:21], v[18:19], -v[26:27]
	v_mul_f64_e32 v[22:23], v[12:13], v[18:19]
	s_delay_alu instid0(VALU_DEP_2) | instskip(NEXT) | instid1(VALU_DEP_2)
	v_add_f64_e64 v[16:17], v[16:17], -v[20:21]
	v_fma_f64 v[18:19], v[12:13], v[18:19], -v[22:23]
	v_cmp_class_f64_e64 vcc_lo, v[22:23], 0x204
	s_delay_alu instid0(VALU_DEP_2) | instskip(NEXT) | instid1(VALU_DEP_1)
	v_fmac_f64_e32 v[18:19], v[12:13], v[16:17]
	v_add_f64_e32 v[16:17], v[22:23], v[18:19]
	s_delay_alu instid0(VALU_DEP_1) | instskip(SKIP_1) | instid1(VALU_DEP_2)
	v_dual_cndmask_b32 v21, v17, v23 :: v_dual_cndmask_b32 v20, v16, v22
	v_add_f64_e64 v[16:17], v[16:17], -v[22:23]
	v_mul_f64_e32 v[24:25], 0x3ff71547652b82fe, v[20:21]
	v_cmp_nlt_f64_e64 s3, 0x40900000, v[20:21]
	v_cmp_neq_f64_e64 vcc_lo, 0x7ff00000, |v[20:21]|
	v_cmp_ngt_f64_e64 s4, 0xc090cc00, v[20:21]
	v_add_f64_e64 v[16:17], v[18:19], -v[16:17]
	v_trunc_f64_e32 v[18:19], v[12:13]
	v_rndne_f64_e32 v[24:25], v[24:25]
	s_delay_alu instid0(VALU_DEP_3) | instskip(SKIP_1) | instid1(VALU_DEP_2)
	v_dual_cndmask_b32 v17, 0, v17 :: v_dual_cndmask_b32 v16, 0, v16
	s_and_b32 vcc_lo, s4, s3
	v_fmamk_f64 v[26:27], v[24:25], 0xbfe62e42fefa39ef, v[20:21]
	v_cvt_i32_f64_e32 v9, v[24:25]
	s_delay_alu instid0(VALU_DEP_2) | instskip(NEXT) | instid1(VALU_DEP_1)
	v_fmac_f64_e32 v[26:27], 0xbc7abc9e3b39803f, v[24:25]
	v_fmamk_f64 v[28:29], v[26:27], 0x3e5ade156a5dcb37, v[6:7]
	s_delay_alu instid0(VALU_DEP_1) | instskip(NEXT) | instid1(VALU_DEP_1)
	v_fmaak_f64 v[28:29], v[26:27], v[28:29], 0x3ec71dee623fde64
	v_fmaak_f64 v[28:29], v[26:27], v[28:29], 0x3efa01997c89e6b0
	s_delay_alu instid0(VALU_DEP_1) | instskip(NEXT) | instid1(VALU_DEP_1)
	v_fmaak_f64 v[28:29], v[26:27], v[28:29], 0x3f2a01a014761f6e
	v_fmaak_f64 v[28:29], v[26:27], v[28:29], 0x3f56c16c1852b7b0
	;; [unrolled: 3-line block ×4, first 2 shown]
	s_delay_alu instid0(VALU_DEP_1) | instskip(NEXT) | instid1(VALU_DEP_1)
	v_fma_f64 v[28:29], v[26:27], v[28:29], 1.0
	v_fma_f64 v[24:25], v[26:27], v[28:29], 1.0
	s_delay_alu instid0(VALU_DEP_1) | instskip(SKIP_1) | instid1(VALU_DEP_2)
	v_ldexp_f64 v[22:23], v[24:25], v9
	v_mul_f64_e32 v[24:25], 0.5, v[12:13]
	v_cndmask_b32_e64 v9, 0x7ff00000, v23, s3
	s_delay_alu instid0(VALU_DEP_2) | instskip(NEXT) | instid1(VALU_DEP_4)
	v_trunc_f64_e32 v[20:21], v[24:25]
	v_cndmask_b32_e32 v22, 0, v22, vcc_lo
	v_cmp_eq_f64_e32 vcc_lo, v[18:19], v[12:13]
	v_cndmask_b32_e64 v19, 0x7ff00000, 0, s6
	v_cndmask_b32_e64 v23, 0, v9, s4
	v_cmp_neq_f64_e64 s6, |v[14:15]|, 1.0
	s_delay_alu instid0(VALU_DEP_2) | instskip(SKIP_2) | instid1(VALU_DEP_4)
	v_fma_f64 v[16:17], v[22:23], v[16:17], v[22:23]
	v_cmp_class_f64_e64 s4, v[22:23], 0x204
	v_cmp_neq_f64_e64 s3, v[20:21], v[24:25]
	v_cndmask_b32_e64 v19, 0x3ff00000, v19, s6
	s_delay_alu instid0(VALU_DEP_3) | instskip(SKIP_1) | instid1(VALU_DEP_2)
	v_dual_cndmask_b32 v17, v17, v23, s4 :: v_dual_cndmask_b32 v16, v16, v22, s4
	v_cmp_gt_f64_e64 s4, 0, v[12:13]
	v_cndmask_b32_e32 v18, 0, v16, vcc_lo
	s_and_b32 s3, vcc_lo, s3
	s_delay_alu instid0(SALU_CYCLE_1) | instskip(NEXT) | instid1(VALU_DEP_1)
	v_cndmask_b32_e64 v9, 0x3ff00000, v15, s3
	v_bfi_b32 v9, 0x7fffffff, v17, v9
	s_delay_alu instid0(VALU_DEP_1) | instskip(SKIP_2) | instid1(VALU_DEP_2)
	v_cndmask_b32_e32 v17, 0x7ff80000, v9, vcc_lo
	v_cmp_gt_f64_e32 vcc_lo, 0, v[14:15]
	s_xor_b32 s4, s4, s5
	v_dual_cndmask_b32 v16, v16, v18 :: v_dual_cndmask_b32 v9, v9, v17
	v_cmp_class_f64_e64 vcc_lo, v[12:13], 0x204
	v_cndmask_b32_e64 v17, 0x7ff00000, 0, s4
	v_cndmask_b32_e64 v18, 0, v15, s3
	s_or_b32 s3, s5, s31
	s_delay_alu instid0(VALU_DEP_1) | instskip(SKIP_1) | instid1(VALU_DEP_1)
	v_bfi_b32 v17, 0x7fffffff, v17, v18
	v_cndmask_b32_e32 v9, v9, v19, vcc_lo
	v_cndmask_b32_e64 v9, v9, v17, s3
	s_or_b32 s3, s3, vcc_lo
	v_cmp_o_f64_e32 vcc_lo, v[14:15], v[12:13]
	v_cndmask_b32_e64 v16, v16, 0, s3
	s_delay_alu instid0(VALU_DEP_1)
	v_cndmask_b32_e32 v12, 0, v16, vcc_lo
	v_cndmask_b32_e32 v13, 0x7ff80000, v9, vcc_lo
	s_cbranch_execnz .LBB258_6
	s_branch .LBB258_11
.LBB258_10:                             ;   in Loop: Header=BB258_7 Depth=1
                                        ; implicit-def: $vgpr12_vgpr13
.LBB258_11:                             ;   in Loop: Header=BB258_7 Depth=1
	s_wait_loadcnt 0x0
	v_mul_f64_e32 v[12:13], v[10:11], v[10:11]
	s_branch .LBB258_6
.LBB258_12:
	s_or_b32 exec_lo, exec_lo, s30
.LBB258_13:
	s_delay_alu instid0(SALU_CYCLE_1)
	s_or_b32 exec_lo, exec_lo, s26
; %bb.14:
	v_mbcnt_lo_u32_b32 v10, -1, 0
	v_and_b32_e32 v11, 31, v0
	s_mov_b32 s3, exec_lo
	s_barrier_signal -1
	s_delay_alu instid0(VALU_DEP_2)
	v_lshl_or_b32 v6, v10, 2, 64
	v_cmp_gt_u32_e32 vcc_lo, 24, v10
	s_barrier_wait -1
	ds_bpermute_b32 v4, v6, v2
	ds_bpermute_b32 v5, v6, v3
	s_wait_dscnt 0x0
	v_add_f64_e32 v[2:3], v[2:3], v[4:5]
	v_cndmask_b32_e64 v4, 0, 8, vcc_lo
	v_cmp_gt_u32_e32 vcc_lo, 28, v10
	s_delay_alu instid0(VALU_DEP_2)
	v_add_lshl_u32 v7, v4, v10, 2
	ds_bpermute_b32 v4, v7, v2
	ds_bpermute_b32 v5, v7, v3
	s_wait_dscnt 0x0
	v_add_f64_e32 v[2:3], v[2:3], v[4:5]
	v_cndmask_b32_e64 v4, 0, 4, vcc_lo
	v_cmp_gt_u32_e32 vcc_lo, 30, v10
	s_delay_alu instid0(VALU_DEP_2)
	v_add_lshl_u32 v8, v4, v10, 2
	ds_bpermute_b32 v4, v8, v2
	ds_bpermute_b32 v5, v8, v3
	s_wait_dscnt 0x0
	v_add_f64_e32 v[2:3], v[2:3], v[4:5]
	v_cndmask_b32_e64 v4, 0, 2, vcc_lo
	v_cmp_ne_u32_e32 vcc_lo, 31, v10
	s_delay_alu instid0(VALU_DEP_2)
	v_add_lshl_u32 v9, v4, v10, 2
	ds_bpermute_b32 v4, v9, v2
	ds_bpermute_b32 v5, v9, v3
	s_wait_dscnt 0x0
	v_add_f64_e32 v[2:3], v[2:3], v[4:5]
	v_add_co_ci_u32_e64 v4, null, 0, v10, vcc_lo
	s_delay_alu instid0(VALU_DEP_1)
	v_lshlrev_b32_e32 v10, 2, v4
	ds_bpermute_b32 v4, v10, v2
	ds_bpermute_b32 v5, v10, v3
	v_cmpx_eq_u32_e32 0, v11
	s_cbranch_execz .LBB258_16
; %bb.15:
	s_wait_dscnt 0x0
	v_add_f64_e32 v[2:3], v[2:3], v[4:5]
	v_lshrrev_b32_e32 v4, 2, v0
	s_delay_alu instid0(VALU_DEP_1)
	v_add_nc_u32_e32 v4, 0, v4
	ds_store_b64 v4, v[2:3]
.LBB258_16:
	s_or_b32 exec_lo, exec_lo, s3
	s_wait_dscnt 0x0
	s_barrier_signal -1
	s_barrier_wait -1
	s_load_b32 s5, s[0:1], 0x54
	v_mov_b64_e32 v[4:5], 0
	s_wait_kmcnt 0x0
	s_bfe_u32 s0, s5, 0xb0005
	s_delay_alu instid0(SALU_CYCLE_1)
	v_cmp_gt_u32_e32 vcc_lo, s0, v0
	s_and_saveexec_b32 s0, vcc_lo
; %bb.17:
	v_lshl_add_u32 v2, v11, 3, 0
	ds_load_b64 v[4:5], v2
; %bb.18:
	s_or_b32 exec_lo, exec_lo, s0
	s_delay_alu instid0(SALU_CYCLE_1)
	s_mov_b32 s0, exec_lo
	v_cmpx_gt_u32_e32 32, v0
	s_cbranch_execz .LBB258_20
; %bb.19:
	s_wait_dscnt 0x0
	ds_bpermute_b32 v2, v6, v4
	ds_bpermute_b32 v3, v6, v5
	s_wait_dscnt 0x0
	v_add_f64_e32 v[2:3], v[4:5], v[2:3]
	ds_bpermute_b32 v4, v7, v2
	ds_bpermute_b32 v5, v7, v3
	s_wait_dscnt 0x0
	v_add_f64_e32 v[2:3], v[2:3], v[4:5]
	ds_bpermute_b32 v4, v8, v2
	ds_bpermute_b32 v5, v8, v3
	s_wait_dscnt 0x0
	v_add_f64_e32 v[2:3], v[2:3], v[4:5]
	ds_bpermute_b32 v4, v9, v2
	ds_bpermute_b32 v5, v9, v3
	s_wait_dscnt 0x0
	v_add_f64_e32 v[2:3], v[2:3], v[4:5]
	ds_bpermute_b32 v4, v10, v2
	ds_bpermute_b32 v5, v10, v3
	s_wait_dscnt 0x0
	v_add_f64_e32 v[4:5], v[2:3], v[4:5]
.LBB258_20:
	s_or_b32 exec_lo, exec_lo, s0
	s_delay_alu instid0(SALU_CYCLE_1)
	s_mov_b32 s6, exec_lo
	v_cmpx_eq_u32_e32 0, v0
	s_cbranch_execz .LBB258_22
; %bb.21:
	v_div_scale_f64 v[2:3], null, s[14:15], s[14:15], 1.0
	v_div_scale_f64 v[10:11], vcc_lo, 1.0, s[14:15], 1.0
	s_mov_b64 s[0:1], 0x3fe5555555555555
	v_rcp_f64_e32 v[6:7], v[2:3]
	v_nop
	s_delay_alu instid0(TRANS32_DEP_1) | instskip(NEXT) | instid1(VALU_DEP_1)
	v_fma_f64 v[8:9], -v[2:3], v[6:7], 1.0
	v_fmac_f64_e32 v[6:7], v[6:7], v[8:9]
	s_delay_alu instid0(VALU_DEP_1) | instskip(NEXT) | instid1(VALU_DEP_1)
	v_fma_f64 v[8:9], -v[2:3], v[6:7], 1.0
	v_fmac_f64_e32 v[6:7], v[6:7], v[8:9]
	s_delay_alu instid0(VALU_DEP_1) | instskip(NEXT) | instid1(VALU_DEP_1)
	v_mul_f64_e32 v[8:9], v[10:11], v[6:7]
	v_fma_f64 v[2:3], -v[2:3], v[8:9], v[10:11]
	s_delay_alu instid0(VALU_DEP_1) | instskip(SKIP_2) | instid1(VALU_DEP_2)
	v_div_fmas_f64 v[2:3], v[2:3], v[6:7], v[8:9]
	s_wait_dscnt 0x0
	v_cmp_neq_f64_e32 vcc_lo, 1.0, v[4:5]
	v_div_fixup_f64 v[2:3], v[2:3], s[14:15], 1.0
	s_delay_alu instid0(VALU_DEP_1) | instskip(NEXT) | instid1(VALU_DEP_2)
	v_cndmask_b32_e32 v3, 0x3ff00000, v3, vcc_lo
	v_cndmask_b32_e32 v2, 0, v2, vcc_lo
	s_delay_alu instid0(VALU_DEP_1) | instskip(SKIP_2) | instid1(VALU_DEP_1)
	v_cmp_neq_f64_e32 vcc_lo, 0, v[2:3]
	v_cndmask_b32_e32 v5, 0x3ff00000, v5, vcc_lo
	v_cndmask_b32_e32 v4, 0, v4, vcc_lo
	v_frexp_mant_f64_e64 v[6:7], |v[4:5]|
	v_cmp_lt_f64_e64 s14, |v[4:5]|, 1.0
	v_cmp_eq_f64_e64 s3, 0, v[4:5]
	s_delay_alu instid0(VALU_DEP_3) | instskip(SKIP_2) | instid1(VALU_DEP_1)
	v_cmp_gt_f64_e32 vcc_lo, s[0:1], v[6:7]
	s_mov_b64 s[0:1], 0x3fbdee674222de17
	v_cndmask_b32_e64 v8, 0, 1, vcc_lo
	v_ldexp_f64 v[6:7], v[6:7], v8
	s_delay_alu instid0(VALU_DEP_1) | instskip(SKIP_1) | instid1(VALU_DEP_2)
	v_add_f64_e32 v[8:9], 1.0, v[6:7]
	v_add_f64_e32 v[14:15], -1.0, v[6:7]
	v_rcp_f64_e32 v[10:11], v[8:9]
	v_add_f64_e32 v[16:17], -1.0, v[8:9]
	v_cmp_neq_f64_e64 s4, v[2:3], |v[2:3]|
	s_delay_alu instid0(VALU_DEP_2) | instskip(SKIP_2) | instid1(TRANS32_DEP_1)
	v_add_f64_e64 v[6:7], v[6:7], -v[16:17]
	s_xor_b32 s4, s4, s14
	v_cmp_class_f64_e64 s14, v[4:5], 0x204
	v_fma_f64 v[12:13], -v[8:9], v[10:11], 1.0
	s_delay_alu instid0(VALU_DEP_1) | instskip(NEXT) | instid1(VALU_DEP_1)
	v_fmac_f64_e32 v[10:11], v[12:13], v[10:11]
	v_fma_f64 v[12:13], -v[8:9], v[10:11], 1.0
	s_delay_alu instid0(VALU_DEP_1) | instskip(NEXT) | instid1(VALU_DEP_1)
	v_fmac_f64_e32 v[10:11], v[12:13], v[10:11]
	v_mul_f64_e32 v[12:13], v[14:15], v[10:11]
	s_delay_alu instid0(VALU_DEP_1) | instskip(NEXT) | instid1(VALU_DEP_1)
	v_mul_f64_e32 v[18:19], v[8:9], v[12:13]
	v_fma_f64 v[8:9], v[12:13], v[8:9], -v[18:19]
	s_delay_alu instid0(VALU_DEP_1) | instskip(NEXT) | instid1(VALU_DEP_1)
	v_fmac_f64_e32 v[8:9], v[12:13], v[6:7]
	v_add_f64_e32 v[6:7], v[18:19], v[8:9]
	s_delay_alu instid0(VALU_DEP_1) | instskip(SKIP_1) | instid1(VALU_DEP_2)
	v_add_f64_e64 v[16:17], v[14:15], -v[6:7]
	v_add_f64_e64 v[18:19], v[6:7], -v[18:19]
	;; [unrolled: 1-line block ×3, first 2 shown]
	s_delay_alu instid0(VALU_DEP_2) | instskip(NEXT) | instid1(VALU_DEP_2)
	v_add_f64_e64 v[8:9], v[18:19], -v[8:9]
	v_add_f64_e64 v[6:7], v[14:15], -v[6:7]
	s_delay_alu instid0(VALU_DEP_1) | instskip(NEXT) | instid1(VALU_DEP_1)
	v_add_f64_e32 v[6:7], v[8:9], v[6:7]
	v_add_f64_e32 v[6:7], v[16:17], v[6:7]
	s_delay_alu instid0(VALU_DEP_1) | instskip(NEXT) | instid1(VALU_DEP_1)
	v_mul_f64_e32 v[6:7], v[10:11], v[6:7]
	v_add_f64_e32 v[8:9], v[12:13], v[6:7]
	s_delay_alu instid0(VALU_DEP_1) | instskip(SKIP_1) | instid1(VALU_DEP_2)
	v_add_f64_e64 v[10:11], v[8:9], -v[12:13]
	v_mul_f64_e32 v[12:13], v[8:9], v[8:9]
	v_add_f64_e64 v[6:7], v[6:7], -v[10:11]
	s_delay_alu instid0(VALU_DEP_2) | instskip(NEXT) | instid1(VALU_DEP_2)
	v_fma_f64 v[10:11], v[8:9], v[8:9], -v[12:13]
	v_add_f64_e32 v[14:15], v[6:7], v[6:7]
	s_delay_alu instid0(VALU_DEP_1) | instskip(NEXT) | instid1(VALU_DEP_1)
	v_fmac_f64_e32 v[10:11], v[8:9], v[14:15]
	v_add_f64_e32 v[14:15], v[12:13], v[10:11]
	s_delay_alu instid0(VALU_DEP_1) | instskip(SKIP_3) | instid1(VALU_DEP_3)
	v_fmaak_f64 v[16:17], s[0:1], v[14:15], 0x3fba6564968915a9
	v_add_f64_e64 v[12:13], v[14:15], -v[12:13]
	v_mul_f64_e32 v[22:23], v[8:9], v[14:15]
	s_mov_b64 s[0:1], 0x3fe62e42fefa39ef
	v_fmaak_f64 v[16:17], v[14:15], v[16:17], 0x3fbe25e43abe935a
	s_delay_alu instid0(VALU_DEP_1) | instskip(NEXT) | instid1(VALU_DEP_1)
	v_fmaak_f64 v[16:17], v[14:15], v[16:17], 0x3fc110ef47e6c9c2
	v_fmaak_f64 v[16:17], v[14:15], v[16:17], 0x3fc3b13bcfa74449
	s_delay_alu instid0(VALU_DEP_1) | instskip(SKIP_1) | instid1(VALU_DEP_2)
	v_fmaak_f64 v[16:17], v[14:15], v[16:17], 0x3fc745d171bf3c30
	v_add_f64_e64 v[10:11], v[10:11], -v[12:13]
	v_fmaak_f64 v[16:17], v[14:15], v[16:17], 0x3fcc71c71c7792ce
	s_delay_alu instid0(VALU_DEP_1) | instskip(NEXT) | instid1(VALU_DEP_1)
	v_fmaak_f64 v[16:17], v[14:15], v[16:17], 0x3fd24924924920da
	v_fmaak_f64 v[16:17], v[14:15], v[16:17], 0x3fd999999999999c
	s_delay_alu instid0(VALU_DEP_1) | instskip(NEXT) | instid1(VALU_DEP_1)
	v_mul_f64_e32 v[18:19], v[14:15], v[16:17]
	v_fma_f64 v[12:13], v[14:15], v[16:17], -v[18:19]
	s_delay_alu instid0(VALU_DEP_1) | instskip(NEXT) | instid1(VALU_DEP_1)
	v_fmac_f64_e32 v[12:13], v[10:11], v[16:17]
	v_add_f64_e32 v[16:17], v[18:19], v[12:13]
	s_delay_alu instid0(VALU_DEP_1) | instskip(SKIP_1) | instid1(VALU_DEP_2)
	v_add_f64_e32 v[20:21], 0x3fe5555555555555, v[16:17]
	v_add_f64_e64 v[18:19], v[16:17], -v[18:19]
	v_add_f64_e32 v[24:25], 0xbfe5555555555555, v[20:21]
	s_delay_alu instid0(VALU_DEP_2) | instskip(SKIP_1) | instid1(VALU_DEP_3)
	v_add_f64_e64 v[12:13], v[12:13], -v[18:19]
	v_fma_f64 v[18:19], v[14:15], v[8:9], -v[22:23]
	v_add_f64_e64 v[16:17], v[16:17], -v[24:25]
	s_delay_alu instid0(VALU_DEP_3) | instskip(NEXT) | instid1(VALU_DEP_3)
	v_add_f64_e32 v[12:13], 0x3c8543b0d5df274d, v[12:13]
	v_fmac_f64_e32 v[18:19], v[14:15], v[6:7]
	v_ldexp_f64 v[6:7], v[6:7], 1
	s_delay_alu instid0(VALU_DEP_3) | instskip(NEXT) | instid1(VALU_DEP_3)
	v_add_f64_e32 v[12:13], v[12:13], v[16:17]
	v_fmac_f64_e32 v[18:19], v[10:11], v[8:9]
	v_ldexp_f64 v[8:9], v[8:9], 1
	s_delay_alu instid0(VALU_DEP_3) | instskip(NEXT) | instid1(VALU_DEP_3)
	v_add_f64_e32 v[10:11], v[20:21], v[12:13]
	v_add_f64_e32 v[14:15], v[22:23], v[18:19]
	s_delay_alu instid0(VALU_DEP_2) | instskip(NEXT) | instid1(VALU_DEP_2)
	v_add_f64_e64 v[16:17], v[20:21], -v[10:11]
	v_mul_f64_e32 v[20:21], v[14:15], v[10:11]
	v_add_f64_e64 v[22:23], v[14:15], -v[22:23]
	s_delay_alu instid0(VALU_DEP_3) | instskip(NEXT) | instid1(VALU_DEP_3)
	v_add_f64_e32 v[12:13], v[12:13], v[16:17]
	v_fma_f64 v[16:17], v[14:15], v[10:11], -v[20:21]
	s_delay_alu instid0(VALU_DEP_3) | instskip(NEXT) | instid1(VALU_DEP_2)
	v_add_f64_e64 v[18:19], v[18:19], -v[22:23]
	v_fmac_f64_e32 v[16:17], v[14:15], v[12:13]
	s_delay_alu instid0(VALU_DEP_1) | instskip(SKIP_1) | instid1(VALU_DEP_2)
	v_fmac_f64_e32 v[16:17], v[18:19], v[10:11]
	v_frexp_exp_i32_f64_e32 v18, v[4:5]
	v_add_f64_e32 v[10:11], v[20:21], v[16:17]
	s_delay_alu instid0(VALU_DEP_2) | instskip(NEXT) | instid1(VALU_DEP_1)
	v_subrev_co_ci_u32_e64 v18, null, 0, v18, vcc_lo
	v_cvt_f64_i32_e32 v[18:19], v18
	s_delay_alu instid0(VALU_DEP_3) | instskip(SKIP_1) | instid1(VALU_DEP_2)
	v_add_f64_e32 v[12:13], v[8:9], v[10:11]
	v_add_f64_e64 v[14:15], v[10:11], -v[20:21]
	v_add_f64_e64 v[8:9], v[12:13], -v[8:9]
	s_delay_alu instid0(VALU_DEP_2) | instskip(SKIP_1) | instid1(VALU_DEP_3)
	v_add_f64_e64 v[14:15], v[16:17], -v[14:15]
	v_mul_f64_e32 v[16:17], 0x3fe62e42fefa39ef, v[18:19]
	v_add_f64_e64 v[8:9], v[10:11], -v[8:9]
	s_delay_alu instid0(VALU_DEP_3) | instskip(NEXT) | instid1(VALU_DEP_3)
	v_add_f64_e32 v[6:7], v[6:7], v[14:15]
	v_fma_f64 v[10:11], v[18:19], s[0:1], -v[16:17]
	s_mov_b64 s[0:1], 0x3e5ade156a5dcb37
	s_delay_alu instid0(VALU_DEP_2) | instskip(NEXT) | instid1(VALU_DEP_2)
	v_add_f64_e32 v[6:7], v[6:7], v[8:9]
	v_fmamk_f64 v[8:9], v[18:19], 0x3c7abc9e3b39803f, v[10:11]
	s_delay_alu instid0(VALU_DEP_1) | instskip(NEXT) | instid1(VALU_DEP_3)
	v_add_f64_e32 v[10:11], v[16:17], v[8:9]
	v_add_f64_e32 v[14:15], v[12:13], v[6:7]
	s_delay_alu instid0(VALU_DEP_2) | instskip(NEXT) | instid1(VALU_DEP_2)
	v_add_f64_e64 v[16:17], v[10:11], -v[16:17]
	v_add_f64_e32 v[18:19], v[10:11], v[14:15]
	v_add_f64_e64 v[12:13], v[14:15], -v[12:13]
	s_delay_alu instid0(VALU_DEP_3) | instskip(NEXT) | instid1(VALU_DEP_3)
	v_add_f64_e64 v[8:9], v[8:9], -v[16:17]
	v_add_f64_e64 v[20:21], v[18:19], -v[10:11]
	s_delay_alu instid0(VALU_DEP_3) | instskip(NEXT) | instid1(VALU_DEP_2)
	v_add_f64_e64 v[6:7], v[6:7], -v[12:13]
	v_add_f64_e64 v[22:23], v[18:19], -v[20:21]
	;; [unrolled: 1-line block ×3, first 2 shown]
	s_delay_alu instid0(VALU_DEP_3) | instskip(NEXT) | instid1(VALU_DEP_3)
	v_add_f64_e32 v[14:15], v[8:9], v[6:7]
	v_add_f64_e64 v[10:11], v[10:11], -v[22:23]
	s_delay_alu instid0(VALU_DEP_1) | instskip(NEXT) | instid1(VALU_DEP_3)
	v_add_f64_e32 v[10:11], v[12:13], v[10:11]
	v_add_f64_e64 v[12:13], v[14:15], -v[8:9]
	s_delay_alu instid0(VALU_DEP_2) | instskip(NEXT) | instid1(VALU_DEP_2)
	v_add_f64_e32 v[10:11], v[14:15], v[10:11]
	v_add_f64_e64 v[14:15], v[14:15], -v[12:13]
	v_add_f64_e64 v[6:7], v[6:7], -v[12:13]
	s_delay_alu instid0(VALU_DEP_3) | instskip(NEXT) | instid1(VALU_DEP_3)
	v_add_f64_e32 v[16:17], v[18:19], v[10:11]
	v_add_f64_e64 v[8:9], v[8:9], -v[14:15]
	s_delay_alu instid0(VALU_DEP_2) | instskip(NEXT) | instid1(VALU_DEP_2)
	v_add_f64_e64 v[12:13], v[16:17], -v[18:19]
	v_add_f64_e32 v[6:7], v[6:7], v[8:9]
	s_delay_alu instid0(VALU_DEP_2) | instskip(NEXT) | instid1(VALU_DEP_1)
	v_add_f64_e64 v[8:9], v[10:11], -v[12:13]
	v_add_f64_e32 v[6:7], v[6:7], v[8:9]
	s_delay_alu instid0(VALU_DEP_1) | instskip(NEXT) | instid1(VALU_DEP_1)
	v_add_f64_e32 v[8:9], v[16:17], v[6:7]
	v_add_f64_e64 v[10:11], v[8:9], -v[16:17]
	v_mul_f64_e32 v[12:13], v[2:3], v[8:9]
	s_delay_alu instid0(VALU_DEP_2) | instskip(NEXT) | instid1(VALU_DEP_2)
	v_add_f64_e64 v[6:7], v[6:7], -v[10:11]
	v_fma_f64 v[8:9], v[2:3], v[8:9], -v[12:13]
	v_cmp_class_f64_e64 vcc_lo, v[12:13], 0x204
	s_delay_alu instid0(VALU_DEP_2) | instskip(NEXT) | instid1(VALU_DEP_1)
	v_fmac_f64_e32 v[8:9], v[2:3], v[6:7]
	v_add_f64_e32 v[6:7], v[12:13], v[8:9]
	s_delay_alu instid0(VALU_DEP_1) | instskip(SKIP_1) | instid1(VALU_DEP_2)
	v_dual_cndmask_b32 v11, v7, v13 :: v_dual_cndmask_b32 v10, v6, v12
	v_add_f64_e64 v[6:7], v[6:7], -v[12:13]
	v_mul_f64_e32 v[14:15], 0x3ff71547652b82fe, v[10:11]
	v_cmp_neq_f64_e64 vcc_lo, 0x7ff00000, |v[10:11]|
	s_delay_alu instid0(VALU_DEP_3) | instskip(SKIP_1) | instid1(VALU_DEP_4)
	v_add_f64_e64 v[6:7], v[8:9], -v[6:7]
	v_trunc_f64_e32 v[8:9], v[2:3]
	v_rndne_f64_e32 v[14:15], v[14:15]
	s_delay_alu instid0(VALU_DEP_3) | instskip(NEXT) | instid1(VALU_DEP_2)
	v_dual_cndmask_b32 v7, 0, v7 :: v_dual_cndmask_b32 v6, 0, v6
	v_fmamk_f64 v[16:17], v[14:15], 0xbfe62e42fefa39ef, v[10:11]
	v_cvt_i32_f64_e32 v20, v[14:15]
	s_delay_alu instid0(VALU_DEP_2) | instskip(NEXT) | instid1(VALU_DEP_1)
	v_fmamk_f64 v[16:17], v[14:15], 0xbc7abc9e3b39803f, v[16:17]
	v_fmaak_f64 v[18:19], s[0:1], v[16:17], 0x3e928af3fca7ab0c
	v_cmp_nlt_f64_e64 s0, 0x40900000, v[10:11]
	v_cmp_ngt_f64_e64 s1, 0xc090cc00, v[10:11]
	s_delay_alu instid0(VALU_DEP_3) | instskip(NEXT) | instid1(VALU_DEP_1)
	v_fmaak_f64 v[18:19], v[16:17], v[18:19], 0x3ec71dee623fde64
	v_fmaak_f64 v[18:19], v[16:17], v[18:19], 0x3efa01997c89e6b0
	s_delay_alu instid0(VALU_DEP_1) | instskip(NEXT) | instid1(VALU_DEP_1)
	v_fmaak_f64 v[18:19], v[16:17], v[18:19], 0x3f2a01a014761f6e
	v_fmaak_f64 v[18:19], v[16:17], v[18:19], 0x3f56c16c1852b7b0
	s_and_b32 vcc_lo, s1, s0
	s_delay_alu instid0(VALU_DEP_1) | instskip(NEXT) | instid1(VALU_DEP_1)
	v_fmaak_f64 v[18:19], v[16:17], v[18:19], 0x3f81111111122322
	v_fmaak_f64 v[18:19], v[16:17], v[18:19], 0x3fa55555555502a1
	s_delay_alu instid0(VALU_DEP_1) | instskip(NEXT) | instid1(VALU_DEP_1)
	v_fmaak_f64 v[18:19], v[16:17], v[18:19], 0x3fc5555555555511
	v_fmaak_f64 v[18:19], v[16:17], v[18:19], 0x3fe000000000000b
	s_delay_alu instid0(VALU_DEP_1) | instskip(NEXT) | instid1(VALU_DEP_1)
	v_fma_f64 v[18:19], v[16:17], v[18:19], 1.0
	v_fma_f64 v[14:15], v[16:17], v[18:19], 1.0
	s_delay_alu instid0(VALU_DEP_1) | instskip(SKIP_1) | instid1(VALU_DEP_2)
	v_ldexp_f64 v[12:13], v[14:15], v20
	v_mul_f64_e32 v[14:15], 0.5, v[2:3]
	v_cndmask_b32_e64 v13, 0x7ff00000, v13, s0
	s_delay_alu instid0(VALU_DEP_2) | instskip(NEXT) | instid1(VALU_DEP_4)
	v_trunc_f64_e32 v[10:11], v[14:15]
	v_cndmask_b32_e32 v12, 0, v12, vcc_lo
	v_cmp_eq_f64_e32 vcc_lo, v[8:9], v[2:3]
	s_delay_alu instid0(VALU_DEP_4) | instskip(NEXT) | instid1(VALU_DEP_1)
	v_cndmask_b32_e64 v13, 0, v13, s1
	v_fma_f64 v[6:7], v[12:13], v[6:7], v[12:13]
	v_cmp_class_f64_e64 s1, v[12:13], 0x204
	v_cmp_neq_f64_e64 s0, v[10:11], v[14:15]
	v_cndmask_b32_e64 v10, 0x7ff00000, 0, s4
	v_cmp_neq_f64_e64 s4, |v[4:5]|, 1.0
	s_delay_alu instid0(VALU_DEP_4) | instskip(SKIP_1) | instid1(VALU_DEP_2)
	v_dual_cndmask_b32 v7, v7, v13, s1 :: v_dual_cndmask_b32 v6, v6, v12, s1
	v_cmp_gt_f64_e64 s1, 0, v[2:3]
	v_cndmask_b32_e32 v9, 0, v6, vcc_lo
	s_and_b32 s0, vcc_lo, s0
	s_delay_alu instid0(SALU_CYCLE_1) | instskip(SKIP_1) | instid1(VALU_DEP_2)
	v_cndmask_b32_e64 v8, 0x3ff00000, v5, s0
	v_cndmask_b32_e64 v10, 0x3ff00000, v10, s4
	v_bfi_b32 v7, 0x7fffffff, v7, v8
	s_delay_alu instid0(VALU_DEP_1) | instskip(SKIP_2) | instid1(VALU_DEP_2)
	v_cndmask_b32_e32 v8, 0x7ff80000, v7, vcc_lo
	v_cmp_gt_f64_e32 vcc_lo, 0, v[4:5]
	s_xor_b32 s1, s1, s3
	v_dual_cndmask_b32 v6, v6, v9 :: v_dual_cndmask_b32 v7, v7, v8
	v_cmp_class_f64_e64 vcc_lo, v[2:3], 0x204
	v_cndmask_b32_e64 v8, 0x7ff00000, 0, s1
	v_cndmask_b32_e64 v9, 0, v5, s0
	s_or_b32 s0, s3, s14
	s_delay_alu instid0(VALU_DEP_1) | instskip(SKIP_1) | instid1(VALU_DEP_1)
	v_bfi_b32 v8, 0x7fffffff, v8, v9
	v_cndmask_b32_e32 v7, v7, v10, vcc_lo
	v_cndmask_b32_e64 v7, v7, v8, s0
	s_or_b32 s0, s0, vcc_lo
	v_cmp_o_f64_e32 vcc_lo, v[4:5], v[2:3]
	v_cndmask_b32_e64 v6, v6, 0, s0
	s_delay_alu instid0(VALU_DEP_1)
	v_dual_mov_b32 v4, 0 :: v_dual_cndmask_b32 v2, 0, v6, vcc_lo
	v_cndmask_b32_e32 v3, 0x7ff80000, v7, vcc_lo
	ds_store_b64 v4, v[2:3]
.LBB258_22:
	s_or_b32 exec_lo, exec_lo, s6
	v_mov_b32_e32 v2, 0
	s_wait_dscnt 0x0
	s_barrier_signal -1
	s_barrier_wait -1
	ds_load_b64 v[2:3], v2
	s_wait_dscnt 0x0
	v_cmp_nlt_f64_e32 vcc_lo, s[12:13], v[2:3]
	s_cbranch_vccnz .LBB258_27
; %bb.23:
	s_and_saveexec_b32 s3, s2
	s_cbranch_execz .LBB258_26
; %bb.24:
	v_add_f64_e32 v[2:3], 0x3e7ad7f29abcaf48, v[2:3]
	s_and_b32 s2, 0xffff, s5
	s_lshl_b64 s[0:1], s[10:11], 3
	s_mov_b32 s4, 0
	s_add_nc_u64 s[0:1], s[8:9], s[0:1]
	s_delay_alu instid0(VALU_DEP_1) | instskip(NEXT) | instid1(VALU_DEP_1)
	v_div_scale_f64 v[4:5], null, v[2:3], v[2:3], s[12:13]
	v_rcp_f64_e32 v[6:7], v[4:5]
	v_nop
	s_delay_alu instid0(TRANS32_DEP_1) | instskip(NEXT) | instid1(VALU_DEP_1)
	v_fma_f64 v[8:9], -v[4:5], v[6:7], 1.0
	v_fmac_f64_e32 v[6:7], v[6:7], v[8:9]
	s_delay_alu instid0(VALU_DEP_1) | instskip(NEXT) | instid1(VALU_DEP_1)
	v_fma_f64 v[8:9], -v[4:5], v[6:7], 1.0
	v_fmac_f64_e32 v[6:7], v[6:7], v[8:9]
	v_div_scale_f64 v[8:9], vcc_lo, s[12:13], v[2:3], s[12:13]
	s_delay_alu instid0(VALU_DEP_1) | instskip(NEXT) | instid1(VALU_DEP_1)
	v_mul_f64_e32 v[10:11], v[8:9], v[6:7]
	v_fma_f64 v[4:5], -v[4:5], v[10:11], v[8:9]
	s_delay_alu instid0(VALU_DEP_1) | instskip(NEXT) | instid1(VALU_DEP_1)
	v_div_fmas_f64 v[4:5], v[4:5], v[6:7], v[10:11]
	v_div_fixup_f64 v[2:3], v[4:5], v[2:3], s[12:13]
	v_add_nc_u32_e32 v4, s2, v0
.LBB258_25:                             ; =>This Inner Loop Header: Depth=1
	v_mul_u64_e32 v[0:1], s[22:23], v[0:1]
	s_delay_alu instid0(VALU_DEP_2) | instskip(NEXT) | instid1(VALU_DEP_1)
	v_ashrrev_i32_e32 v5, 31, v4
	v_cmp_le_i64_e32 vcc_lo, s[16:17], v[4:5]
	s_or_b32 s4, vcc_lo, s4
	s_delay_alu instid0(VALU_DEP_3)
	v_lshl_add_u64 v[6:7], v[0:1], 3, s[0:1]
	global_load_b64 v[0:1], v[6:7], off
	s_wait_loadcnt 0x0
	v_mul_f64_e32 v[8:9], v[2:3], v[0:1]
	v_mov_b64_e32 v[0:1], v[4:5]
	v_add_nc_u32_e32 v4, s2, v4
	global_store_b64 v[6:7], v[8:9], off
	s_wait_xcnt 0x0
	s_and_not1_b32 exec_lo, exec_lo, s4
	s_cbranch_execnz .LBB258_25
.LBB258_26:
	s_or_b32 exec_lo, exec_lo, s3
.LBB258_27:
	s_delay_alu instid0(SALU_CYCLE_1)
	s_and_b32 vcc_lo, exec_lo, s7
	s_cbranch_vccnz .LBB258_30
.LBB258_28:
	s_endpgm
.LBB258_29:
	s_cbranch_execz .LBB258_28
.LBB258_30:
	s_trap 2
	; divergent unreachable
	s_endpgm
	.section	.rodata,"a",@progbits
	.p2align	6, 0x0
	.amdhsa_kernel _ZN2at6native12_GLOBAL__N_113renorm_kernelIddKlEEvPT_PT1_T0_S8_llllPS3_
		.amdhsa_group_segment_fixed_size 0
		.amdhsa_private_segment_fixed_size 0
		.amdhsa_kernarg_size 328
		.amdhsa_user_sgpr_count 2
		.amdhsa_user_sgpr_dispatch_ptr 0
		.amdhsa_user_sgpr_queue_ptr 0
		.amdhsa_user_sgpr_kernarg_segment_ptr 1
		.amdhsa_user_sgpr_dispatch_id 0
		.amdhsa_user_sgpr_kernarg_preload_length 0
		.amdhsa_user_sgpr_kernarg_preload_offset 0
		.amdhsa_user_sgpr_private_segment_size 0
		.amdhsa_wavefront_size32 1
		.amdhsa_uses_dynamic_stack 0
		.amdhsa_enable_private_segment 0
		.amdhsa_system_sgpr_workgroup_id_x 1
		.amdhsa_system_sgpr_workgroup_id_y 0
		.amdhsa_system_sgpr_workgroup_id_z 0
		.amdhsa_system_sgpr_workgroup_info 0
		.amdhsa_system_vgpr_workitem_id 0
		.amdhsa_next_free_vgpr 36
		.amdhsa_next_free_sgpr 32
		.amdhsa_named_barrier_count 0
		.amdhsa_reserve_vcc 1
		.amdhsa_float_round_mode_32 0
		.amdhsa_float_round_mode_16_64 0
		.amdhsa_float_denorm_mode_32 3
		.amdhsa_float_denorm_mode_16_64 3
		.amdhsa_fp16_overflow 0
		.amdhsa_memory_ordered 1
		.amdhsa_forward_progress 1
		.amdhsa_inst_pref_size 37
		.amdhsa_round_robin_scheduling 0
		.amdhsa_exception_fp_ieee_invalid_op 0
		.amdhsa_exception_fp_denorm_src 0
		.amdhsa_exception_fp_ieee_div_zero 0
		.amdhsa_exception_fp_ieee_overflow 0
		.amdhsa_exception_fp_ieee_underflow 0
		.amdhsa_exception_fp_ieee_inexact 0
		.amdhsa_exception_int_div_zero 0
	.end_amdhsa_kernel
	.section	.text._ZN2at6native12_GLOBAL__N_113renorm_kernelIddKlEEvPT_PT1_T0_S8_llllPS3_,"axG",@progbits,_ZN2at6native12_GLOBAL__N_113renorm_kernelIddKlEEvPT_PT1_T0_S8_llllPS3_,comdat
.Lfunc_end258:
	.size	_ZN2at6native12_GLOBAL__N_113renorm_kernelIddKlEEvPT_PT1_T0_S8_llllPS3_, .Lfunc_end258-_ZN2at6native12_GLOBAL__N_113renorm_kernelIddKlEEvPT_PT1_T0_S8_llllPS3_
                                        ; -- End function
	.set _ZN2at6native12_GLOBAL__N_113renorm_kernelIddKlEEvPT_PT1_T0_S8_llllPS3_.num_vgpr, 36
	.set _ZN2at6native12_GLOBAL__N_113renorm_kernelIddKlEEvPT_PT1_T0_S8_llllPS3_.num_agpr, 0
	.set _ZN2at6native12_GLOBAL__N_113renorm_kernelIddKlEEvPT_PT1_T0_S8_llllPS3_.numbered_sgpr, 32
	.set _ZN2at6native12_GLOBAL__N_113renorm_kernelIddKlEEvPT_PT1_T0_S8_llllPS3_.num_named_barrier, 0
	.set _ZN2at6native12_GLOBAL__N_113renorm_kernelIddKlEEvPT_PT1_T0_S8_llllPS3_.private_seg_size, 0
	.set _ZN2at6native12_GLOBAL__N_113renorm_kernelIddKlEEvPT_PT1_T0_S8_llllPS3_.uses_vcc, 1
	.set _ZN2at6native12_GLOBAL__N_113renorm_kernelIddKlEEvPT_PT1_T0_S8_llllPS3_.uses_flat_scratch, 0
	.set _ZN2at6native12_GLOBAL__N_113renorm_kernelIddKlEEvPT_PT1_T0_S8_llllPS3_.has_dyn_sized_stack, 0
	.set _ZN2at6native12_GLOBAL__N_113renorm_kernelIddKlEEvPT_PT1_T0_S8_llllPS3_.has_recursion, 0
	.set _ZN2at6native12_GLOBAL__N_113renorm_kernelIddKlEEvPT_PT1_T0_S8_llllPS3_.has_indirect_call, 0
	.section	.AMDGPU.csdata,"",@progbits
; Kernel info:
; codeLenInByte = 4700
; TotalNumSgprs: 34
; NumVgprs: 36
; ScratchSize: 0
; MemoryBound: 0
; FloatMode: 240
; IeeeMode: 1
; LDSByteSize: 0 bytes/workgroup (compile time only)
; SGPRBlocks: 0
; VGPRBlocks: 2
; NumSGPRsForWavesPerEU: 34
; NumVGPRsForWavesPerEU: 36
; NamedBarCnt: 0
; Occupancy: 16
; WaveLimiterHint : 1
; COMPUTE_PGM_RSRC2:SCRATCH_EN: 0
; COMPUTE_PGM_RSRC2:USER_SGPR: 2
; COMPUTE_PGM_RSRC2:TRAP_HANDLER: 0
; COMPUTE_PGM_RSRC2:TGID_X_EN: 1
; COMPUTE_PGM_RSRC2:TGID_Y_EN: 0
; COMPUTE_PGM_RSRC2:TGID_Z_EN: 0
; COMPUTE_PGM_RSRC2:TIDIG_COMP_CNT: 0
	.section	.text._ZN2at6native12_GLOBAL__N_113renorm_kernelIffKlEEvPT_PT1_T0_S8_llllPS3_,"axG",@progbits,_ZN2at6native12_GLOBAL__N_113renorm_kernelIffKlEEvPT_PT1_T0_S8_llllPS3_,comdat
	.globl	_ZN2at6native12_GLOBAL__N_113renorm_kernelIffKlEEvPT_PT1_T0_S8_llllPS3_ ; -- Begin function _ZN2at6native12_GLOBAL__N_113renorm_kernelIffKlEEvPT_PT1_T0_S8_llllPS3_
	.p2align	8
	.type	_ZN2at6native12_GLOBAL__N_113renorm_kernelIffKlEEvPT_PT1_T0_S8_llllPS3_,@function
_ZN2at6native12_GLOBAL__N_113renorm_kernelIffKlEEvPT_PT1_T0_S8_llllPS3_: ; @_ZN2at6native12_GLOBAL__N_113renorm_kernelIffKlEEvPT_PT1_T0_S8_llllPS3_
; %bb.0:
	s_load_b64 s[2:3], s[0:1], 0x38
	s_getreg_b32 s6, hwreg(HW_REG_IB_STS2, 6, 4)
	s_wait_kmcnt 0x0
	s_load_b64 s[4:5], s[2:3], 0x0
	s_wait_xcnt 0x0
	s_bfe_u32 s2, ttmp6, 0x4000c
	s_and_b32 s3, ttmp6, 15
	s_add_co_i32 s2, s2, 1
	s_delay_alu instid0(SALU_CYCLE_1) | instskip(NEXT) | instid1(SALU_CYCLE_1)
	s_mul_i32 s2, ttmp9, s2
	s_add_co_i32 s2, s3, s2
	s_cmp_eq_u32 s6, 0
	s_mov_b32 s3, 0
	s_cselect_b32 s2, ttmp9, s2
	s_wait_kmcnt 0x0
	v_cmp_le_i64_e64 s4, s[4:5], s[2:3]
	s_and_b32 vcc_lo, exec_lo, s4
	s_cbranch_vccnz .LBB259_28
; %bb.1:
	s_load_b128 s[16:19], s[0:1], 0x0
	s_lshl_b64 s[2:3], s[2:3], 3
	s_wait_kmcnt 0x0
	s_add_nc_u64 s[2:3], s[18:19], s[2:3]
	s_load_b64 s[4:5], s[2:3], 0x0
	s_wait_kmcnt 0x0
	v_cmp_lt_i64_e64 s2, s[4:5], 0
	s_and_b32 vcc_lo, exec_lo, s2
	s_cbranch_vccnz .LBB259_29
; %bb.2:
	s_load_b256 s[8:15], s[0:1], 0x18
	s_get_pc_i64 s[2:3]
	s_add_nc_u64 s[2:3], s[2:3], .str.5@rel64+4
	s_delay_alu instid0(SALU_CYCLE_1) | instskip(SKIP_4) | instid1(SALU_CYCLE_1)
	s_cmp_eq_u64 s[2:3], 0
	s_cselect_b32 s2, -1, 0
	s_wait_kmcnt 0x0
	v_cmp_ge_i64_e64 s6, s[4:5], s[10:11]
	s_or_b32 s18, s6, s2
	s_and_not1_b32 vcc_lo, exec_lo, s18
	s_cbranch_vccz .LBB259_27
; %bb.3:
	s_load_b64 s[10:11], s[0:1], 0x10
	v_mov_b32_e32 v1, 0
	s_mul_u64 s[6:7], s[4:5], s[12:13]
	s_delay_alu instid0(VALU_DEP_1)
	v_cmp_gt_i64_e64 s2, s[8:9], v[0:1]
	v_mov_b32_e32 v6, v1
	s_and_saveexec_b32 s19, s2
	s_cbranch_execz .LBB259_13
; %bb.4:
	s_load_b32 s3, s[0:1], 0x4c
	s_lshl_b64 s[4:5], s[6:7], 2
	s_wait_kmcnt 0x0
	s_cmp_neq_f32 s11, 1.0
	v_mov_b64_e32 v[4:5], v[0:1]
	s_add_nc_u64 s[12:13], s[16:17], s[4:5]
	s_mov_b32 s23, 0
	s_cselect_b32 s20, -1, 0
	s_cmp_neq_f32 s11, 2.0
	s_mov_b32 s24, 0x3e76c4e1
	s_cselect_b32 s21, -1, 0
	s_and_b32 s22, s3, 0xffff
	s_delay_alu instid0(SALU_CYCLE_1)
	v_dual_mov_b32 v6, 0 :: v_dual_add_nc_u32 v2, s22, v0
	s_branch .LBB259_7
.LBB259_5:                              ;   in Loop: Header=BB259_7 Depth=1
	s_wait_loadcnt 0x0
	v_and_b32_e32 v4, 0x7fffffff, v3
.LBB259_6:                              ;   in Loop: Header=BB259_7 Depth=1
	s_wait_loadcnt 0x0
	s_delay_alu instid0(VALU_DEP_1) | instskip(NEXT) | instid1(VALU_DEP_1)
	v_dual_add_f32 v6, v6, v4 :: v_dual_ashrrev_i32 v3, 31, v2
	v_cmp_le_i64_e32 vcc_lo, s[8:9], v[2:3]
	v_mov_b64_e32 v[4:5], v[2:3]
	v_add_nc_u32_e32 v2, s22, v2
	s_or_b32 s23, vcc_lo, s23
	s_delay_alu instid0(SALU_CYCLE_1)
	s_and_not1_b32 exec_lo, exec_lo, s23
	s_cbranch_execz .LBB259_12
.LBB259_7:                              ; =>This Inner Loop Header: Depth=1
	s_delay_alu instid0(VALU_DEP_2) | instskip(SKIP_1) | instid1(VALU_DEP_1)
	v_mul_u64_e32 v[4:5], s[14:15], v[4:5]
	s_and_b32 vcc_lo, exec_lo, s20
	v_lshl_add_u64 v[4:5], v[4:5], 2, s[12:13]
	global_load_b32 v3, v[4:5], off
	s_cbranch_vccz .LBB259_5
; %bb.8:                                ;   in Loop: Header=BB259_7 Depth=1
	s_and_b32 vcc_lo, exec_lo, s21
	s_cbranch_vccz .LBB259_10
; %bb.9:                                ;   in Loop: Header=BB259_7 Depth=1
	s_wait_loadcnt 0x0
	v_cmp_neq_f32_e32 vcc_lo, 1.0, v3
	v_cndmask_b32_e64 v4, 1.0, s11, vcc_lo
	s_delay_alu instid0(VALU_DEP_1) | instskip(SKIP_2) | instid1(VALU_DEP_1)
	v_cmp_neq_f32_e32 vcc_lo, 0, v4
	v_cmp_neq_f32_e64 s25, v4, |v4|
	v_cndmask_b32_e32 v5, 1.0, v3, vcc_lo
	v_frexp_mant_f32_e64 v7, |v5|
	s_delay_alu instid0(VALU_DEP_1) | instskip(SKIP_1) | instid1(VALU_DEP_1)
	v_cmp_gt_f32_e32 vcc_lo, 0x3f2aaaab, v7
	v_cndmask_b32_e64 v8, 1.0, 2.0, vcc_lo
	v_mul_f32_e32 v7, v7, v8
	v_cmp_lt_f32_e64 s26, |v5|, 1.0
	v_cmp_eq_f32_e64 s5, 0, v5
	s_delay_alu instid0(VALU_DEP_3) | instskip(SKIP_1) | instid1(VALU_DEP_1)
	v_dual_add_f32 v8, 1.0, v7 :: v_dual_add_f32 v9, -1.0, v7
	s_xor_b32 s25, s25, s26
	v_rcp_f32_e32 v14, v8
	v_nop
	s_delay_alu instid0(TRANS32_DEP_1) | instskip(NEXT) | instid1(VALU_DEP_1)
	v_dual_add_f32 v11, -1.0, v8 :: v_dual_mul_f32 v15, v9, v14
	v_mul_f32_e32 v10, v8, v15
	s_delay_alu instid0(VALU_DEP_2) | instskip(NEXT) | instid1(VALU_DEP_2)
	v_sub_f32_e32 v7, v7, v11
	v_fma_f32 v12, v15, v8, -v10
	s_delay_alu instid0(VALU_DEP_1) | instskip(NEXT) | instid1(VALU_DEP_1)
	v_fmac_f32_e32 v12, v15, v7
	v_add_f32_e32 v8, v10, v12
	s_delay_alu instid0(VALU_DEP_1) | instskip(NEXT) | instid1(VALU_DEP_1)
	v_dual_sub_f32 v11, v9, v8 :: v_dual_mov_b32 v13, v8
	v_pk_add_f32 v[8:9], v[8:9], v[10:11] neg_lo:[0,1] neg_hi:[0,1]
	s_delay_alu instid0(VALU_DEP_1) | instskip(NEXT) | instid1(VALU_DEP_1)
	v_pk_add_f32 v[8:9], v[8:9], v[12:13] neg_lo:[0,1] neg_hi:[0,1]
	v_add_f32_e32 v7, v8, v9
	s_delay_alu instid0(VALU_DEP_1) | instskip(NEXT) | instid1(VALU_DEP_1)
	v_add_f32_e32 v7, v11, v7
	v_mul_f32_e32 v7, v14, v7
	s_delay_alu instid0(VALU_DEP_1) | instskip(NEXT) | instid1(VALU_DEP_1)
	v_add_f32_e32 v8, v15, v7
	v_dual_sub_f32 v9, v8, v15 :: v_dual_mul_f32 v11, v8, v8
	s_delay_alu instid0(VALU_DEP_1) | instskip(NEXT) | instid1(VALU_DEP_1)
	v_dual_sub_f32 v7, v7, v9 :: v_dual_fma_f32 v9, v8, v8, -v11
	v_add_f32_e32 v10, v7, v7
	s_delay_alu instid0(VALU_DEP_1) | instskip(NEXT) | instid1(VALU_DEP_1)
	v_fmac_f32_e32 v9, v8, v10
	v_add_f32_e32 v10, v11, v9
	s_delay_alu instid0(VALU_DEP_1) | instskip(NEXT) | instid1(VALU_DEP_1)
	v_sub_f32_e32 v11, v10, v11
	v_sub_f32_e32 v18, v9, v11
	v_fmaak_f32 v12, s24, v10, 0x3e91f4c4
	s_delay_alu instid0(VALU_DEP_1) | instskip(SKIP_1) | instid1(VALU_DEP_2)
	v_fmaak_f32 v14, v10, v12, 0x3ecccdef
	v_cvt_f64_f32_e64 v[12:13], |v5|
	v_mul_f32_e32 v15, v10, v14
	s_delay_alu instid0(VALU_DEP_1) | instskip(NEXT) | instid1(VALU_DEP_1)
	v_fma_f32 v9, v10, v14, -v15
	v_fmac_f32_e32 v9, v18, v14
	s_delay_alu instid0(VALU_DEP_1) | instskip(NEXT) | instid1(VALU_DEP_1)
	v_add_f32_e32 v11, v15, v9
	v_sub_f32_e32 v14, v11, v15
	v_add_f32_e32 v15, 0x3f2aaaaa, v11
	s_delay_alu instid0(VALU_DEP_1) | instskip(SKIP_1) | instid1(VALU_DEP_2)
	v_dual_sub_f32 v9, v9, v14 :: v_dual_add_f32 v14, 0xbf2aaaaa, v15
	v_frexp_exp_i32_f64_e32 v19, v[12:13]
	v_add_f32_e32 v9, 0x31739010, v9
	s_delay_alu instid0(VALU_DEP_3) | instskip(NEXT) | instid1(VALU_DEP_1)
	v_sub_f32_e32 v11, v11, v14
	v_pk_mul_f32 v[12:13], v[8:9], v[10:11]
	s_delay_alu instid0(VALU_DEP_1) | instskip(SKIP_1) | instid1(VALU_DEP_1)
	v_fma_f32 v14, v10, v8, -v12
	v_pk_add_f32 v[16:17], v[8:9], v[10:11]
	v_dual_fmac_f32 v14, v10, v7 :: v_dual_mov_b32 v13, v17
	v_ldexp_f32 v7, v7, 1
	s_delay_alu instid0(VALU_DEP_2) | instskip(NEXT) | instid1(VALU_DEP_1)
	v_fmac_f32_e32 v14, v18, v8
	v_pk_add_f32 v[10:11], v[12:13], v[14:15]
	v_subrev_co_ci_u32_e64 v9, null, 0, v19, vcc_lo
	s_delay_alu instid0(VALU_DEP_2) | instskip(NEXT) | instid1(VALU_DEP_3)
	v_mov_b32_e32 v16, v11
	v_dual_sub_f32 v13, v15, v11 :: v_dual_sub_f32 v15, v10, v12
	s_delay_alu instid0(VALU_DEP_3) | instskip(NEXT) | instid1(VALU_DEP_3)
	v_cvt_f32_i32_e32 v9, v9
	v_pk_mul_f32 v[18:19], v[10:11], v[16:17]
	s_delay_alu instid0(VALU_DEP_3) | instskip(NEXT) | instid1(VALU_DEP_2)
	v_sub_f32_e32 v14, v14, v15
	v_dual_fma_f32 v12, v10, v11, -v18 :: v_dual_add_f32 v13, v17, v13
	s_delay_alu instid0(VALU_DEP_1) | instskip(NEXT) | instid1(VALU_DEP_1)
	v_fmac_f32_e32 v12, v10, v13
	v_fmac_f32_e32 v12, v14, v11
	v_mul_f32_e32 v16, 0x3f317218, v9
	v_ldexp_f32 v11, v8, 1
	s_delay_alu instid0(VALU_DEP_3) | instskip(NEXT) | instid1(VALU_DEP_3)
	v_add_f32_e32 v17, v18, v12
	v_fma_f32 v10, 0x3f317218, v9, -v16
	s_delay_alu instid0(VALU_DEP_2) | instskip(NEXT) | instid1(VALU_DEP_2)
	v_dual_mov_b32 v19, v11 :: v_dual_mov_b32 v14, v17
	v_dual_fmac_f32 v10, 0xb102e308, v9 :: v_dual_mov_b32 v13, v17
	s_delay_alu instid0(VALU_DEP_1) | instskip(NEXT) | instid1(VALU_DEP_1)
	v_pk_add_f32 v[8:9], v[16:17], v[10:11]
	v_dual_mov_b32 v15, v9 :: v_dual_mov_b32 v11, v8
	s_delay_alu instid0(VALU_DEP_1) | instskip(NEXT) | instid1(VALU_DEP_1)
	v_pk_add_f32 v[14:15], v[14:15], v[18:19] neg_lo:[0,1] neg_hi:[0,1]
	v_pk_add_f32 v[12:13], v[12:13], v[14:15] neg_lo:[0,1] neg_hi:[0,1]
	s_delay_alu instid0(VALU_DEP_1) | instskip(NEXT) | instid1(VALU_DEP_1)
	v_add_f32_e32 v7, v7, v12
	v_add_f32_e32 v17, v7, v13
	s_delay_alu instid0(VALU_DEP_1) | instskip(SKIP_1) | instid1(VALU_DEP_2)
	v_pk_add_f32 v[12:13], v[8:9], v[16:17]
	v_pk_add_f32 v[14:15], v[8:9], v[16:17] neg_lo:[0,1] neg_hi:[0,1]
	v_dual_mov_b32 v22, v9 :: v_dual_mov_b32 v15, v13
	s_delay_alu instid0(VALU_DEP_1) | instskip(NEXT) | instid1(VALU_DEP_1)
	v_pk_add_f32 v[18:19], v[10:11], v[14:15]
	v_dual_mov_b32 v18, v13 :: v_dual_mov_b32 v16, v19
	v_pk_add_f32 v[10:11], v[10:11], v[14:15] neg_lo:[0,1] neg_hi:[0,1]
	s_delay_alu instid0(VALU_DEP_2) | instskip(SKIP_1) | instid1(VALU_DEP_2)
	v_pk_add_f32 v[20:21], v[16:17], v[8:9] neg_lo:[0,1] neg_hi:[0,1]
	v_dual_mov_b32 v9, v8 :: v_dual_mov_b32 v8, v17
	v_dual_mov_b32 v7, v20 :: v_dual_mov_b32 v23, v20
	s_delay_alu instid0(VALU_DEP_1) | instskip(NEXT) | instid1(VALU_DEP_2)
	v_pk_add_f32 v[12:13], v[12:13], v[6:7] neg_lo:[0,1] neg_hi:[0,1]
	v_pk_add_f32 v[14:15], v[18:19], v[22:23] neg_lo:[0,1] neg_hi:[0,1]
	v_mov_b32_e32 v12, v10
	s_delay_alu instid0(VALU_DEP_2) | instskip(NEXT) | instid1(VALU_DEP_1)
	v_pk_add_f32 v[8:9], v[8:9], v[14:15] neg_lo:[0,1] neg_hi:[0,1]
	v_pk_add_f32 v[12:13], v[12:13], v[8:9]
	s_delay_alu instid0(VALU_DEP_1) | instskip(NEXT) | instid1(VALU_DEP_1)
	v_mov_b32_e32 v14, v13
	v_pk_add_f32 v[14:15], v[12:13], v[14:15]
	s_delay_alu instid0(VALU_DEP_1) | instskip(NEXT) | instid1(VALU_DEP_1)
	v_pk_add_f32 v[16:17], v[16:17], v[14:15]
	v_dual_mov_b32 v11, v19 :: v_dual_mov_b32 v13, v16
	s_delay_alu instid0(VALU_DEP_1) | instskip(NEXT) | instid1(VALU_DEP_1)
	v_pk_add_f32 v[18:19], v[12:13], v[10:11] neg_lo:[0,1] neg_hi:[0,1]
	v_dual_mov_b32 v9, v14 :: v_dual_sub_f32 v7, v12, v18
	s_delay_alu instid0(VALU_DEP_1) | instskip(NEXT) | instid1(VALU_DEP_2)
	v_pk_add_f32 v[8:9], v[8:9], v[18:19] neg_lo:[0,1] neg_hi:[0,1]
	v_sub_f32_e32 v7, v10, v7
	s_delay_alu instid0(VALU_DEP_1) | instskip(NEXT) | instid1(VALU_DEP_1)
	v_add_f32_e32 v7, v8, v7
	v_add_f32_e32 v7, v7, v9
	s_delay_alu instid0(VALU_DEP_1) | instskip(NEXT) | instid1(VALU_DEP_1)
	v_add_f32_e32 v8, v16, v7
	v_sub_f32_e32 v9, v8, v16
	s_delay_alu instid0(VALU_DEP_1) | instskip(NEXT) | instid1(VALU_DEP_1)
	v_dual_mul_f32 v10, v4, v8 :: v_dual_sub_f32 v7, v7, v9
	v_cmp_class_f32_e64 vcc_lo, v10, 0x204
	v_fma_f32 v8, v4, v8, -v10
	s_delay_alu instid0(VALU_DEP_1) | instskip(NEXT) | instid1(VALU_DEP_1)
	v_fmac_f32_e32 v8, v4, v7
	v_add_f32_e32 v7, v10, v8
	s_delay_alu instid0(VALU_DEP_1) | instskip(NEXT) | instid1(VALU_DEP_1)
	v_cndmask_b32_e32 v9, v7, v10, vcc_lo
	v_cmp_eq_f32_e32 vcc_lo, 0x42b17218, v9
	v_cndmask_b32_e64 v11, 0, 0x37000000, vcc_lo
	v_cmp_neq_f32_e64 vcc_lo, 0x7f800000, |v9|
	s_delay_alu instid0(VALU_DEP_2) | instskip(SKIP_2) | instid1(VALU_DEP_3)
	v_sub_f32_e32 v12, v9, v11
	v_trunc_f32_e32 v9, v4
	v_sub_f32_e32 v7, v7, v10
	v_mul_f32_e32 v13, 0x3fb8aa3b, v12
	s_delay_alu instid0(VALU_DEP_2) | instskip(NEXT) | instid1(VALU_DEP_2)
	v_sub_f32_e32 v7, v8, v7
	v_fma_f32 v14, 0x3fb8aa3b, v12, -v13
	v_rndne_f32_e32 v15, v13
	s_delay_alu instid0(VALU_DEP_3) | instskip(SKIP_1) | instid1(VALU_DEP_3)
	v_cndmask_b32_e32 v7, 0, v7, vcc_lo
	v_cmp_ngt_f32_e32 vcc_lo, 0xc2ce8ed0, v12
	v_dual_fmac_f32 v14, 0x32a5705f, v12 :: v_dual_sub_f32 v13, v13, v15
	s_delay_alu instid0(VALU_DEP_1) | instskip(NEXT) | instid1(VALU_DEP_1)
	v_dual_add_f32 v7, v11, v7 :: v_dual_add_f32 v13, v13, v14
	v_exp_f32_e32 v10, v13
	v_nop
	v_cvt_i32_f32_e32 v13, v15
	s_delay_alu instid0(TRANS32_DEP_1) | instid1(VALU_DEP_1)
	v_ldexp_f32 v8, v10, v13
	v_mul_f32_e32 v10, 0.5, v4
	s_delay_alu instid0(VALU_DEP_2) | instskip(NEXT) | instid1(VALU_DEP_2)
	v_cndmask_b32_e32 v8, 0, v8, vcc_lo
	v_trunc_f32_e32 v13, v10
	v_cmp_nlt_f32_e32 vcc_lo, 0x42b17218, v12
	s_delay_alu instid0(VALU_DEP_2) | instskip(NEXT) | instid1(VALU_DEP_4)
	v_cmp_neq_f32_e64 s3, v13, v10
	v_cndmask_b32_e32 v8, 0x7f800000, v8, vcc_lo
	v_cmp_eq_f32_e32 vcc_lo, v9, v4
	s_delay_alu instid0(VALU_DEP_2) | instskip(SKIP_1) | instid1(SALU_CYCLE_1)
	v_cmp_class_f32_e64 s4, v8, 0x204
	s_and_b32 s3, vcc_lo, s3
	v_dual_fma_f32 v7, v8, v7, v8 :: v_dual_cndmask_b32 v9, 1.0, v5, s3
	s_delay_alu instid0(VALU_DEP_1) | instskip(SKIP_2) | instid1(VALU_DEP_3)
	v_cndmask_b32_e64 v7, v7, v8, s4
	v_cndmask_b32_e64 v8, 0x7f800000, 0, s25
	v_cmp_gt_f32_e64 s4, 0, v4
	v_bfi_b32 v7, 0x7fffffff, v7, v9
	s_xor_b32 s4, s4, s5
	s_delay_alu instid0(SALU_CYCLE_1) | instskip(NEXT) | instid1(VALU_DEP_2)
	v_cndmask_b32_e64 v10, 0x7f800000, 0, s4
	v_cndmask_b32_e32 v9, 0x7fc00000, v7, vcc_lo
	v_cmp_neq_f32_e64 vcc_lo, |v5|, 1.0
	v_cndmask_b32_e32 v8, 1.0, v8, vcc_lo
	v_cmp_gt_f32_e32 vcc_lo, 0, v5
	s_delay_alu instid0(VALU_DEP_4) | instskip(SKIP_3) | instid1(VALU_DEP_4)
	v_cndmask_b32_e32 v7, v7, v9, vcc_lo
	v_cmp_class_f32_e64 vcc_lo, v4, 0x204
	v_cndmask_b32_e64 v9, 0, v5, s3
	v_cmp_class_f32_e64 s3, v5, 0x204
	v_cndmask_b32_e32 v7, v7, v8, vcc_lo
	s_delay_alu instid0(VALU_DEP_3) | instskip(SKIP_1) | instid1(VALU_DEP_1)
	v_bfi_b32 v8, 0x7fffffff, v10, v9
	s_or_b32 vcc_lo, s5, s3
	v_cndmask_b32_e32 v7, v7, v8, vcc_lo
	v_cmp_o_f32_e32 vcc_lo, v5, v4
	s_delay_alu instid0(VALU_DEP_2)
	v_cndmask_b32_e32 v4, 0x7fc00000, v7, vcc_lo
	s_cbranch_execnz .LBB259_6
	s_branch .LBB259_11
.LBB259_10:                             ;   in Loop: Header=BB259_7 Depth=1
                                        ; implicit-def: $vgpr4
.LBB259_11:                             ;   in Loop: Header=BB259_7 Depth=1
	s_wait_loadcnt 0x0
	v_mul_f32_e32 v4, v3, v3
	s_branch .LBB259_6
.LBB259_12:
	s_or_b32 exec_lo, exec_lo, s23
.LBB259_13:
	s_delay_alu instid0(SALU_CYCLE_1)
	s_or_b32 exec_lo, exec_lo, s19
; %bb.14:
	v_mbcnt_lo_u32_b32 v7, -1, 0
	s_mov_b32 s3, exec_lo
	s_barrier_signal -1
	s_barrier_wait -1
	s_delay_alu instid0(VALU_DEP_1) | instskip(SKIP_4) | instid1(VALU_DEP_2)
	v_lshl_or_b32 v2, v7, 2, 64
	v_cmp_gt_u32_e32 vcc_lo, 24, v7
	ds_bpermute_b32 v4, v2, v6
	v_cndmask_b32_e64 v3, 0, 8, vcc_lo
	v_cmp_gt_u32_e32 vcc_lo, 28, v7
	v_add_lshl_u32 v3, v3, v7, 2
	s_wait_dscnt 0x0
	v_add_f32_e32 v5, v6, v4
	v_cndmask_b32_e64 v4, 0, 4, vcc_lo
	v_cmp_gt_u32_e32 vcc_lo, 30, v7
	ds_bpermute_b32 v6, v3, v5
	v_add_lshl_u32 v4, v4, v7, 2
	s_wait_dscnt 0x0
	v_add_f32_e32 v6, v5, v6
	v_cndmask_b32_e64 v5, 0, 2, vcc_lo
	v_cmp_ne_u32_e32 vcc_lo, 31, v7
	ds_bpermute_b32 v8, v4, v6
	v_add_lshl_u32 v5, v5, v7, 2
	v_add_co_ci_u32_e64 v9, null, 0, v7, vcc_lo
	s_wait_dscnt 0x0
	v_add_f32_e32 v6, v6, v8
	ds_bpermute_b32 v8, v5, v6
	s_wait_dscnt 0x0
	v_dual_add_f32 v7, v6, v8 :: v_dual_lshlrev_b32 v6, 2, v9
	v_and_b32_e32 v8, 31, v0
	ds_bpermute_b32 v9, v6, v7
	v_cmpx_eq_u32_e32 0, v8
	s_cbranch_execz .LBB259_16
; %bb.15:
	s_wait_dscnt 0x0
	v_dual_add_f32 v7, v7, v9 :: v_dual_lshrrev_b32 v10, 3, v0
	s_delay_alu instid0(VALU_DEP_1)
	v_add_nc_u32_e32 v9, 0, v10
	ds_store_b32 v9, v7
.LBB259_16:
	s_or_b32 exec_lo, exec_lo, s3
	s_wait_dscnt 0x0
	s_barrier_signal -1
	s_barrier_wait -1
	s_load_b32 s4, s[0:1], 0x4c
	v_mov_b32_e32 v7, 0
	s_wait_kmcnt 0x0
	s_bfe_u32 s0, s4, 0xb0005
	s_delay_alu instid0(SALU_CYCLE_1)
	v_cmp_gt_u32_e32 vcc_lo, s0, v0
	s_and_saveexec_b32 s0, vcc_lo
; %bb.17:
	v_lshl_add_u32 v7, v8, 2, 0
	ds_load_b32 v7, v7
; %bb.18:
	s_or_b32 exec_lo, exec_lo, s0
	s_delay_alu instid0(SALU_CYCLE_1)
	s_mov_b32 s0, exec_lo
	v_cmpx_gt_u32_e32 32, v0
	s_cbranch_execz .LBB259_20
; %bb.19:
	s_wait_dscnt 0x0
	ds_bpermute_b32 v2, v2, v7
	s_wait_dscnt 0x0
	v_add_f32_e32 v2, v7, v2
	ds_bpermute_b32 v3, v3, v2
	s_wait_dscnt 0x0
	v_add_f32_e32 v2, v2, v3
	;; [unrolled: 3-line block ×5, first 2 shown]
.LBB259_20:
	s_or_b32 exec_lo, exec_lo, s0
	s_delay_alu instid0(SALU_CYCLE_1)
	s_mov_b32 s5, exec_lo
	v_cmpx_eq_u32_e32 0, v0
	s_cbranch_execz .LBB259_22
; %bb.21:
	v_div_scale_f32 v2, null, s11, s11, 1.0
	v_div_scale_f32 v5, vcc_lo, 1.0, s11, 1.0
	s_mov_b32 s0, 0x3e76c4e1
	v_rcp_f32_e32 v3, v2
	v_nop
	v_xor_b32_e32 v2, 0x80000000, v2
	s_delay_alu instid0(TRANS32_DEP_1) | instid1(VALU_DEP_1)
	v_fma_f32 v4, v2, v3, 1.0
	s_delay_alu instid0(VALU_DEP_1) | instskip(NEXT) | instid1(VALU_DEP_1)
	v_fmac_f32_e32 v3, v4, v3
	v_mul_f32_e32 v4, v5, v3
	s_delay_alu instid0(VALU_DEP_1) | instskip(NEXT) | instid1(VALU_DEP_1)
	v_fma_f32 v6, v2, v4, v5
	v_fmac_f32_e32 v4, v6, v3
	s_delay_alu instid0(VALU_DEP_1) | instskip(NEXT) | instid1(VALU_DEP_1)
	v_fmac_f32_e32 v5, v2, v4
	v_div_fmas_f32 v2, v5, v3, v4
	s_wait_dscnt 0x0
	v_cmp_neq_f32_e32 vcc_lo, 1.0, v7
	s_delay_alu instid0(VALU_DEP_2) | instskip(NEXT) | instid1(VALU_DEP_1)
	v_div_fixup_f32 v2, v2, s11, 1.0
	v_cndmask_b32_e32 v2, 1.0, v2, vcc_lo
	s_delay_alu instid0(VALU_DEP_1) | instskip(SKIP_2) | instid1(VALU_DEP_1)
	v_cmp_neq_f32_e32 vcc_lo, 0, v2
	v_cmp_neq_f32_e64 s11, v2, |v2|
	v_cndmask_b32_e32 v3, 1.0, v7, vcc_lo
	v_frexp_mant_f32_e64 v4, |v3|
	v_cmp_lt_f32_e64 s12, |v3|, 1.0
	v_cmp_eq_f32_e64 s3, 0, v3
	s_delay_alu instid0(VALU_DEP_3) | instskip(SKIP_2) | instid1(VALU_DEP_1)
	v_cmp_gt_f32_e32 vcc_lo, 0x3f2aaaab, v4
	s_xor_b32 s11, s11, s12
	v_cndmask_b32_e64 v5, 1.0, 2.0, vcc_lo
	v_mul_f32_e32 v4, v4, v5
	s_delay_alu instid0(VALU_DEP_1) | instskip(NEXT) | instid1(VALU_DEP_1)
	v_add_f32_e32 v7, 1.0, v4
	v_dual_add_f32 v8, -1.0, v7 :: v_dual_add_f32 v5, -1.0, v4
	v_rcp_f32_e32 v10, v7
	v_nop
	s_delay_alu instid0(TRANS32_DEP_1) | instskip(NEXT) | instid1(VALU_DEP_1)
	v_dual_sub_f32 v4, v4, v8 :: v_dual_mul_f32 v11, v5, v10
	v_mul_f32_e32 v6, v7, v11
	s_delay_alu instid0(VALU_DEP_1) | instskip(NEXT) | instid1(VALU_DEP_1)
	v_fma_f32 v8, v11, v7, -v6
	v_fmac_f32_e32 v8, v11, v4
	s_delay_alu instid0(VALU_DEP_1) | instskip(NEXT) | instid1(VALU_DEP_1)
	v_add_f32_e32 v4, v6, v8
	v_dual_sub_f32 v7, v5, v4 :: v_dual_mov_b32 v9, v4
	s_delay_alu instid0(VALU_DEP_1) | instskip(NEXT) | instid1(VALU_DEP_1)
	v_pk_add_f32 v[4:5], v[4:5], v[6:7] neg_lo:[0,1] neg_hi:[0,1]
	v_pk_add_f32 v[4:5], v[4:5], v[8:9] neg_lo:[0,1] neg_hi:[0,1]
	s_delay_alu instid0(VALU_DEP_1) | instskip(NEXT) | instid1(VALU_DEP_1)
	v_add_f32_e32 v4, v4, v5
	v_add_f32_e32 v4, v7, v4
	s_delay_alu instid0(VALU_DEP_1) | instskip(NEXT) | instid1(VALU_DEP_1)
	v_mul_f32_e32 v5, v10, v4
	v_add_f32_e32 v4, v11, v5
	s_delay_alu instid0(VALU_DEP_1) | instskip(NEXT) | instid1(VALU_DEP_1)
	v_sub_f32_e32 v6, v4, v11
	v_sub_f32_e32 v16, v5, v6
	s_delay_alu instid0(VALU_DEP_1) | instskip(SKIP_1) | instid1(VALU_DEP_1)
	v_add_f32_e32 v6, v16, v16
	v_mul_f32_e32 v7, v4, v4
	v_fma_f32 v5, v4, v4, -v7
	s_delay_alu instid0(VALU_DEP_1) | instskip(NEXT) | instid1(VALU_DEP_1)
	v_fmac_f32_e32 v5, v4, v6
	v_add_f32_e32 v6, v7, v5
	s_delay_alu instid0(VALU_DEP_1) | instskip(NEXT) | instid1(VALU_DEP_1)
	v_dual_fmaak_f32 v8, s0, v6, 0x3e91f4c4 :: v_dual_sub_f32 v7, v6, v7
	v_fmaak_f32 v10, v6, v8, 0x3ecccdef
	v_cvt_f64_f32_e64 v[8:9], |v3|
	s_delay_alu instid0(VALU_DEP_2) | instskip(NEXT) | instid1(VALU_DEP_1)
	v_dual_mul_f32 v11, v6, v10 :: v_dual_sub_f32 v14, v5, v7
	v_fma_f32 v5, v6, v10, -v11
	s_delay_alu instid0(VALU_DEP_1) | instskip(NEXT) | instid1(VALU_DEP_1)
	v_fmac_f32_e32 v5, v14, v10
	v_add_f32_e32 v7, v11, v5
	s_delay_alu instid0(VALU_DEP_1) | instskip(SKIP_1) | instid1(VALU_DEP_1)
	v_sub_f32_e32 v10, v7, v11
	v_add_f32_e32 v11, 0x3f2aaaaa, v7
	v_dual_sub_f32 v5, v5, v10 :: v_dual_add_f32 v10, 0xbf2aaaaa, v11
	v_frexp_exp_i32_f64_e32 v15, v[8:9]
	s_delay_alu instid0(VALU_DEP_2) | instskip(NEXT) | instid1(VALU_DEP_3)
	v_add_f32_e32 v5, 0x31739010, v5
	v_sub_f32_e32 v7, v7, v10
	s_delay_alu instid0(VALU_DEP_1) | instskip(NEXT) | instid1(VALU_DEP_1)
	v_pk_mul_f32 v[8:9], v[4:5], v[6:7]
	v_fma_f32 v10, v6, v4, -v8
	s_delay_alu instid0(VALU_DEP_1) | instskip(NEXT) | instid1(VALU_DEP_1)
	v_fmac_f32_e32 v10, v6, v16
	v_fmac_f32_e32 v10, v14, v4
	v_pk_add_f32 v[12:13], v[4:5], v[6:7]
	s_delay_alu instid0(VALU_DEP_1) | instskip(SKIP_1) | instid1(VALU_DEP_2)
	v_mov_b32_e32 v9, v13
	v_subrev_co_ci_u32_e64 v5, null, 0, v15, vcc_lo
	v_pk_add_f32 v[6:7], v[8:9], v[10:11]
	s_delay_alu instid0(VALU_DEP_2) | instskip(NEXT) | instid1(VALU_DEP_2)
	v_cvt_f32_i32_e32 v5, v5
	v_mov_b32_e32 v12, v7
	s_delay_alu instid0(VALU_DEP_3) | instskip(NEXT) | instid1(VALU_DEP_2)
	v_dual_sub_f32 v9, v11, v7 :: v_dual_sub_f32 v11, v6, v8
	v_pk_mul_f32 v[14:15], v[6:7], v[12:13]
	s_delay_alu instid0(VALU_DEP_2) | instskip(NEXT) | instid1(VALU_DEP_2)
	v_sub_f32_e32 v10, v10, v11
	v_dual_fma_f32 v8, v6, v7, -v14 :: v_dual_add_f32 v9, v13, v9
	s_delay_alu instid0(VALU_DEP_1) | instskip(NEXT) | instid1(VALU_DEP_1)
	v_fmac_f32_e32 v8, v6, v9
	v_fmac_f32_e32 v8, v10, v7
	v_mul_f32_e32 v12, 0x3f317218, v5
	v_ldexp_f32 v7, v4, 1
	s_delay_alu instid0(VALU_DEP_3) | instskip(NEXT) | instid1(VALU_DEP_3)
	v_add_f32_e32 v13, v14, v8
	v_fma_f32 v6, 0x3f317218, v5, -v12
	s_delay_alu instid0(VALU_DEP_2) | instskip(NEXT) | instid1(VALU_DEP_2)
	v_dual_mov_b32 v15, v7 :: v_dual_mov_b32 v10, v13
	v_fmamk_f32 v6, v5, 0xb102e308, v6
	s_delay_alu instid0(VALU_DEP_1) | instskip(SKIP_1) | instid1(VALU_DEP_2)
	v_pk_add_f32 v[4:5], v[12:13], v[6:7]
	v_ldexp_f32 v7, v16, 1
	v_dual_mov_b32 v9, v13 :: v_dual_mov_b32 v11, v5
	s_delay_alu instid0(VALU_DEP_1) | instskip(NEXT) | instid1(VALU_DEP_1)
	v_pk_add_f32 v[10:11], v[10:11], v[14:15] neg_lo:[0,1] neg_hi:[0,1]
	v_pk_add_f32 v[8:9], v[8:9], v[10:11] neg_lo:[0,1] neg_hi:[0,1]
	s_delay_alu instid0(VALU_DEP_1) | instskip(NEXT) | instid1(VALU_DEP_1)
	v_add_f32_e32 v7, v7, v8
	v_dual_add_f32 v13, v7, v9 :: v_dual_mov_b32 v7, v4
	s_delay_alu instid0(VALU_DEP_1) | instskip(SKIP_1) | instid1(VALU_DEP_2)
	v_pk_add_f32 v[8:9], v[4:5], v[12:13]
	v_pk_add_f32 v[10:11], v[4:5], v[12:13] neg_lo:[0,1] neg_hi:[0,1]
	v_dual_mov_b32 v18, v5 :: v_dual_mov_b32 v11, v9
	s_delay_alu instid0(VALU_DEP_1) | instskip(NEXT) | instid1(VALU_DEP_1)
	v_pk_add_f32 v[14:15], v[6:7], v[10:11]
	v_dual_mov_b32 v14, v9 :: v_dual_mov_b32 v12, v15
	v_pk_add_f32 v[6:7], v[6:7], v[10:11] neg_lo:[0,1] neg_hi:[0,1]
	s_delay_alu instid0(VALU_DEP_2) | instskip(SKIP_1) | instid1(VALU_DEP_2)
	v_pk_add_f32 v[16:17], v[12:13], v[4:5] neg_lo:[0,1] neg_hi:[0,1]
	v_dual_mov_b32 v5, v4 :: v_dual_mov_b32 v4, v13
	v_dual_mov_b32 v13, v16 :: v_dual_mov_b32 v19, v16
	s_delay_alu instid0(VALU_DEP_1) | instskip(NEXT) | instid1(VALU_DEP_2)
	v_pk_add_f32 v[8:9], v[8:9], v[12:13] neg_lo:[0,1] neg_hi:[0,1]
	v_pk_add_f32 v[10:11], v[14:15], v[18:19] neg_lo:[0,1] neg_hi:[0,1]
	v_mov_b32_e32 v8, v6
	s_delay_alu instid0(VALU_DEP_2) | instskip(NEXT) | instid1(VALU_DEP_1)
	v_pk_add_f32 v[4:5], v[4:5], v[10:11] neg_lo:[0,1] neg_hi:[0,1]
	v_pk_add_f32 v[8:9], v[8:9], v[4:5]
	s_delay_alu instid0(VALU_DEP_1) | instskip(NEXT) | instid1(VALU_DEP_1)
	v_mov_b32_e32 v10, v9
	v_pk_add_f32 v[10:11], v[8:9], v[10:11]
	s_delay_alu instid0(VALU_DEP_1) | instskip(NEXT) | instid1(VALU_DEP_1)
	v_pk_add_f32 v[12:13], v[12:13], v[10:11]
	v_dual_mov_b32 v7, v15 :: v_dual_mov_b32 v9, v12
	s_delay_alu instid0(VALU_DEP_1) | instskip(NEXT) | instid1(VALU_DEP_1)
	v_pk_add_f32 v[14:15], v[8:9], v[6:7] neg_lo:[0,1] neg_hi:[0,1]
	v_dual_mov_b32 v5, v10 :: v_dual_sub_f32 v7, v8, v14
	s_delay_alu instid0(VALU_DEP_1) | instskip(NEXT) | instid1(VALU_DEP_2)
	v_pk_add_f32 v[4:5], v[4:5], v[14:15] neg_lo:[0,1] neg_hi:[0,1]
	v_sub_f32_e32 v6, v6, v7
	s_delay_alu instid0(VALU_DEP_1) | instskip(NEXT) | instid1(VALU_DEP_1)
	v_add_f32_e32 v4, v4, v6
	v_add_f32_e32 v4, v4, v5
	s_delay_alu instid0(VALU_DEP_1) | instskip(NEXT) | instid1(VALU_DEP_1)
	v_add_f32_e32 v5, v12, v4
	v_dual_sub_f32 v6, v5, v12 :: v_dual_mul_f32 v7, v2, v5
	s_delay_alu instid0(VALU_DEP_1) | instskip(NEXT) | instid1(VALU_DEP_2)
	v_sub_f32_e32 v4, v4, v6
	v_cmp_class_f32_e64 vcc_lo, v7, 0x204
	v_fma_f32 v5, v2, v5, -v7
	s_delay_alu instid0(VALU_DEP_1) | instskip(NEXT) | instid1(VALU_DEP_1)
	v_fmac_f32_e32 v5, v2, v4
	v_add_f32_e32 v4, v7, v5
	s_delay_alu instid0(VALU_DEP_1) | instskip(NEXT) | instid1(VALU_DEP_1)
	v_cndmask_b32_e32 v6, v4, v7, vcc_lo
	v_cmp_eq_f32_e32 vcc_lo, 0x42b17218, v6
	v_cndmask_b32_e64 v8, 0, 0x37000000, vcc_lo
	v_cmp_neq_f32_e64 vcc_lo, 0x7f800000, |v6|
	s_delay_alu instid0(VALU_DEP_2) | instskip(SKIP_1) | instid1(VALU_DEP_2)
	v_dual_sub_f32 v9, v6, v8 :: v_dual_sub_f32 v4, v4, v7
	v_trunc_f32_e32 v6, v2
	v_mul_f32_e32 v10, 0x3fb8aa3b, v9
	s_delay_alu instid0(VALU_DEP_3) | instskip(NEXT) | instid1(VALU_DEP_2)
	v_sub_f32_e32 v4, v5, v4
	v_fma_f32 v11, 0x3fb8aa3b, v9, -v10
	v_rndne_f32_e32 v12, v10
	s_delay_alu instid0(VALU_DEP_3) | instskip(SKIP_1) | instid1(VALU_DEP_3)
	v_cndmask_b32_e32 v4, 0, v4, vcc_lo
	v_cmp_ngt_f32_e32 vcc_lo, 0xc2ce8ed0, v9
	v_dual_fmamk_f32 v11, v9, 0x32a5705f, v11 :: v_dual_sub_f32 v10, v10, v12
	s_delay_alu instid0(VALU_DEP_1) | instskip(NEXT) | instid1(VALU_DEP_1)
	v_dual_add_f32 v4, v8, v4 :: v_dual_add_f32 v10, v10, v11
	v_exp_f32_e32 v7, v10
	v_nop
	v_cvt_i32_f32_e32 v10, v12
	s_delay_alu instid0(TRANS32_DEP_1) | instid1(VALU_DEP_1)
	v_ldexp_f32 v5, v7, v10
	s_delay_alu instid0(VALU_DEP_1) | instskip(NEXT) | instid1(VALU_DEP_1)
	v_dual_mul_f32 v7, 0.5, v2 :: v_dual_cndmask_b32 v5, 0, v5, vcc_lo
	v_trunc_f32_e32 v10, v7
	v_cmp_nlt_f32_e32 vcc_lo, 0x42b17218, v9
	s_delay_alu instid0(VALU_DEP_2) | instskip(NEXT) | instid1(VALU_DEP_4)
	v_cmp_neq_f32_e64 s0, v10, v7
	v_cndmask_b32_e32 v5, 0x7f800000, v5, vcc_lo
	v_cmp_eq_f32_e32 vcc_lo, v6, v2
	s_delay_alu instid0(VALU_DEP_2) | instskip(SKIP_1) | instid1(SALU_CYCLE_1)
	v_cmp_class_f32_e64 s1, v5, 0x204
	s_and_b32 s0, vcc_lo, s0
	v_dual_fma_f32 v4, v5, v4, v5 :: v_dual_cndmask_b32 v6, 1.0, v3, s0
	s_delay_alu instid0(VALU_DEP_1) | instskip(SKIP_2) | instid1(VALU_DEP_3)
	v_cndmask_b32_e64 v4, v4, v5, s1
	v_cndmask_b32_e64 v5, 0x7f800000, 0, s11
	v_cmp_gt_f32_e64 s1, 0, v2
	v_bfi_b32 v4, 0x7fffffff, v4, v6
	s_xor_b32 s1, s1, s3
	s_delay_alu instid0(SALU_CYCLE_1) | instskip(NEXT) | instid1(VALU_DEP_2)
	v_cndmask_b32_e64 v6, 0x7f800000, 0, s1
	v_cndmask_b32_e32 v7, 0x7fc00000, v4, vcc_lo
	v_cmp_neq_f32_e64 vcc_lo, |v3|, 1.0
	v_cndmask_b32_e32 v5, 1.0, v5, vcc_lo
	v_cmp_gt_f32_e32 vcc_lo, 0, v3
	s_delay_alu instid0(VALU_DEP_4) | instskip(SKIP_3) | instid1(VALU_DEP_4)
	v_cndmask_b32_e32 v4, v4, v7, vcc_lo
	v_cmp_class_f32_e64 vcc_lo, v2, 0x204
	v_cndmask_b32_e64 v8, 0, v3, s0
	v_cmp_class_f32_e64 s0, v3, 0x204
	v_cndmask_b32_e32 v4, v4, v5, vcc_lo
	s_delay_alu instid0(VALU_DEP_3) | instskip(SKIP_1) | instid1(VALU_DEP_1)
	v_bfi_b32 v6, 0x7fffffff, v6, v8
	s_or_b32 vcc_lo, s3, s0
	v_cndmask_b32_e32 v4, v4, v6, vcc_lo
	v_cmp_o_f32_e32 vcc_lo, v3, v2
	s_delay_alu instid0(VALU_DEP_2)
	v_dual_mov_b32 v3, 0 :: v_dual_cndmask_b32 v2, 0x7fc00000, v4
	ds_store_b32 v3, v2
.LBB259_22:
	s_or_b32 exec_lo, exec_lo, s5
	v_mov_b32_e32 v2, 0
	s_wait_dscnt 0x0
	s_barrier_signal -1
	s_barrier_wait -1
	ds_load_b32 v2, v2
	s_wait_dscnt 0x0
	v_cmp_nlt_f32_e32 vcc_lo, s10, v2
	s_cbranch_vccnz .LBB259_27
; %bb.23:
	s_and_saveexec_b32 s3, s2
	s_cbranch_execz .LBB259_26
; %bb.24:
	v_cvt_f64_f32_e32 v[2:3], v2
	v_cvt_f64_f32_e32 v[4:5], s10
	s_and_b32 s2, 0xffff, s4
	s_lshl_b64 s[0:1], s[6:7], 2
	s_mov_b32 s4, 0
	s_add_nc_u64 s[0:1], s[16:17], s[0:1]
	s_delay_alu instid0(VALU_DEP_2) | instskip(NEXT) | instid1(VALU_DEP_1)
	v_add_f64_e32 v[2:3], 0x3e7ad7f29abcaf48, v[2:3]
	v_div_scale_f64 v[6:7], null, v[2:3], v[2:3], v[4:5]
	s_delay_alu instid0(VALU_DEP_1) | instskip(SKIP_1) | instid1(TRANS32_DEP_1)
	v_rcp_f64_e32 v[8:9], v[6:7]
	v_nop
	v_fma_f64 v[10:11], -v[6:7], v[8:9], 1.0
	s_delay_alu instid0(VALU_DEP_1) | instskip(NEXT) | instid1(VALU_DEP_1)
	v_fmac_f64_e32 v[8:9], v[8:9], v[10:11]
	v_fma_f64 v[10:11], -v[6:7], v[8:9], 1.0
	s_delay_alu instid0(VALU_DEP_1) | instskip(SKIP_1) | instid1(VALU_DEP_1)
	v_fmac_f64_e32 v[8:9], v[8:9], v[10:11]
	v_div_scale_f64 v[10:11], vcc_lo, v[4:5], v[2:3], v[4:5]
	v_mul_f64_e32 v[12:13], v[10:11], v[8:9]
	s_delay_alu instid0(VALU_DEP_1) | instskip(NEXT) | instid1(VALU_DEP_1)
	v_fma_f64 v[6:7], -v[6:7], v[12:13], v[10:11]
	v_div_fmas_f64 v[6:7], v[6:7], v[8:9], v[12:13]
	s_delay_alu instid0(VALU_DEP_1) | instskip(NEXT) | instid1(VALU_DEP_1)
	v_div_fixup_f64 v[2:3], v[6:7], v[2:3], v[4:5]
	v_cvt_f32_f64_e32 v4, v[2:3]
	v_add_nc_u32_e32 v2, s2, v0
.LBB259_25:                             ; =>This Inner Loop Header: Depth=1
	v_mul_u64_e32 v[0:1], s[14:15], v[0:1]
	s_delay_alu instid0(VALU_DEP_2) | instskip(NEXT) | instid1(VALU_DEP_1)
	v_ashrrev_i32_e32 v3, 31, v2
	v_cmp_le_i64_e32 vcc_lo, s[8:9], v[2:3]
	s_or_b32 s4, vcc_lo, s4
	s_delay_alu instid0(VALU_DEP_3)
	v_lshl_add_u64 v[6:7], v[0:1], 2, s[0:1]
	v_mov_b64_e32 v[0:1], v[2:3]
	v_add_nc_u32_e32 v2, s2, v2
	global_load_b32 v5, v[6:7], off
	s_wait_loadcnt 0x0
	v_mul_f32_e32 v3, v5, v4
	global_store_b32 v[6:7], v3, off
	s_wait_xcnt 0x0
	s_and_not1_b32 exec_lo, exec_lo, s4
	s_cbranch_execnz .LBB259_25
.LBB259_26:
	s_or_b32 exec_lo, exec_lo, s3
.LBB259_27:
	s_delay_alu instid0(SALU_CYCLE_1)
	s_and_b32 vcc_lo, exec_lo, s18
	s_cbranch_vccnz .LBB259_30
.LBB259_28:
	s_endpgm
.LBB259_29:
	s_cbranch_execz .LBB259_28
.LBB259_30:
	s_trap 2
	; divergent unreachable
	s_endpgm
	.section	.rodata,"a",@progbits
	.p2align	6, 0x0
	.amdhsa_kernel _ZN2at6native12_GLOBAL__N_113renorm_kernelIffKlEEvPT_PT1_T0_S8_llllPS3_
		.amdhsa_group_segment_fixed_size 0
		.amdhsa_private_segment_fixed_size 0
		.amdhsa_kernarg_size 320
		.amdhsa_user_sgpr_count 2
		.amdhsa_user_sgpr_dispatch_ptr 0
		.amdhsa_user_sgpr_queue_ptr 0
		.amdhsa_user_sgpr_kernarg_segment_ptr 1
		.amdhsa_user_sgpr_dispatch_id 0
		.amdhsa_user_sgpr_kernarg_preload_length 0
		.amdhsa_user_sgpr_kernarg_preload_offset 0
		.amdhsa_user_sgpr_private_segment_size 0
		.amdhsa_wavefront_size32 1
		.amdhsa_uses_dynamic_stack 0
		.amdhsa_enable_private_segment 0
		.amdhsa_system_sgpr_workgroup_id_x 1
		.amdhsa_system_sgpr_workgroup_id_y 0
		.amdhsa_system_sgpr_workgroup_id_z 0
		.amdhsa_system_sgpr_workgroup_info 0
		.amdhsa_system_vgpr_workitem_id 0
		.amdhsa_next_free_vgpr 24
		.amdhsa_next_free_sgpr 27
		.amdhsa_named_barrier_count 0
		.amdhsa_reserve_vcc 1
		.amdhsa_float_round_mode_32 0
		.amdhsa_float_round_mode_16_64 0
		.amdhsa_float_denorm_mode_32 3
		.amdhsa_float_denorm_mode_16_64 3
		.amdhsa_fp16_overflow 0
		.amdhsa_memory_ordered 1
		.amdhsa_forward_progress 1
		.amdhsa_inst_pref_size 31
		.amdhsa_round_robin_scheduling 0
		.amdhsa_exception_fp_ieee_invalid_op 0
		.amdhsa_exception_fp_denorm_src 0
		.amdhsa_exception_fp_ieee_div_zero 0
		.amdhsa_exception_fp_ieee_overflow 0
		.amdhsa_exception_fp_ieee_underflow 0
		.amdhsa_exception_fp_ieee_inexact 0
		.amdhsa_exception_int_div_zero 0
	.end_amdhsa_kernel
	.section	.text._ZN2at6native12_GLOBAL__N_113renorm_kernelIffKlEEvPT_PT1_T0_S8_llllPS3_,"axG",@progbits,_ZN2at6native12_GLOBAL__N_113renorm_kernelIffKlEEvPT_PT1_T0_S8_llllPS3_,comdat
.Lfunc_end259:
	.size	_ZN2at6native12_GLOBAL__N_113renorm_kernelIffKlEEvPT_PT1_T0_S8_llllPS3_, .Lfunc_end259-_ZN2at6native12_GLOBAL__N_113renorm_kernelIffKlEEvPT_PT1_T0_S8_llllPS3_
                                        ; -- End function
	.set _ZN2at6native12_GLOBAL__N_113renorm_kernelIffKlEEvPT_PT1_T0_S8_llllPS3_.num_vgpr, 24
	.set _ZN2at6native12_GLOBAL__N_113renorm_kernelIffKlEEvPT_PT1_T0_S8_llllPS3_.num_agpr, 0
	.set _ZN2at6native12_GLOBAL__N_113renorm_kernelIffKlEEvPT_PT1_T0_S8_llllPS3_.numbered_sgpr, 27
	.set _ZN2at6native12_GLOBAL__N_113renorm_kernelIffKlEEvPT_PT1_T0_S8_llllPS3_.num_named_barrier, 0
	.set _ZN2at6native12_GLOBAL__N_113renorm_kernelIffKlEEvPT_PT1_T0_S8_llllPS3_.private_seg_size, 0
	.set _ZN2at6native12_GLOBAL__N_113renorm_kernelIffKlEEvPT_PT1_T0_S8_llllPS3_.uses_vcc, 1
	.set _ZN2at6native12_GLOBAL__N_113renorm_kernelIffKlEEvPT_PT1_T0_S8_llllPS3_.uses_flat_scratch, 0
	.set _ZN2at6native12_GLOBAL__N_113renorm_kernelIffKlEEvPT_PT1_T0_S8_llllPS3_.has_dyn_sized_stack, 0
	.set _ZN2at6native12_GLOBAL__N_113renorm_kernelIffKlEEvPT_PT1_T0_S8_llllPS3_.has_recursion, 0
	.set _ZN2at6native12_GLOBAL__N_113renorm_kernelIffKlEEvPT_PT1_T0_S8_llllPS3_.has_indirect_call, 0
	.section	.AMDGPU.csdata,"",@progbits
; Kernel info:
; codeLenInByte = 3928
; TotalNumSgprs: 29
; NumVgprs: 24
; ScratchSize: 0
; MemoryBound: 0
; FloatMode: 240
; IeeeMode: 1
; LDSByteSize: 0 bytes/workgroup (compile time only)
; SGPRBlocks: 0
; VGPRBlocks: 1
; NumSGPRsForWavesPerEU: 29
; NumVGPRsForWavesPerEU: 24
; NamedBarCnt: 0
; Occupancy: 16
; WaveLimiterHint : 1
; COMPUTE_PGM_RSRC2:SCRATCH_EN: 0
; COMPUTE_PGM_RSRC2:USER_SGPR: 2
; COMPUTE_PGM_RSRC2:TRAP_HANDLER: 0
; COMPUTE_PGM_RSRC2:TGID_X_EN: 1
; COMPUTE_PGM_RSRC2:TGID_Y_EN: 0
; COMPUTE_PGM_RSRC2:TGID_Z_EN: 0
; COMPUTE_PGM_RSRC2:TIDIG_COMP_CNT: 0
	.section	.text._ZN2at6native12_GLOBAL__N_113renorm_kernelIN3c104HalfEfKlEEvPT_PT1_T0_SA_llllPS5_,"axG",@progbits,_ZN2at6native12_GLOBAL__N_113renorm_kernelIN3c104HalfEfKlEEvPT_PT1_T0_SA_llllPS5_,comdat
	.globl	_ZN2at6native12_GLOBAL__N_113renorm_kernelIN3c104HalfEfKlEEvPT_PT1_T0_SA_llllPS5_ ; -- Begin function _ZN2at6native12_GLOBAL__N_113renorm_kernelIN3c104HalfEfKlEEvPT_PT1_T0_SA_llllPS5_
	.p2align	8
	.type	_ZN2at6native12_GLOBAL__N_113renorm_kernelIN3c104HalfEfKlEEvPT_PT1_T0_SA_llllPS5_,@function
_ZN2at6native12_GLOBAL__N_113renorm_kernelIN3c104HalfEfKlEEvPT_PT1_T0_SA_llllPS5_: ; @_ZN2at6native12_GLOBAL__N_113renorm_kernelIN3c104HalfEfKlEEvPT_PT1_T0_SA_llllPS5_
; %bb.0:
	s_load_b64 s[2:3], s[0:1], 0x38
	s_getreg_b32 s6, hwreg(HW_REG_IB_STS2, 6, 4)
	s_wait_kmcnt 0x0
	s_load_b64 s[4:5], s[2:3], 0x0
	s_wait_xcnt 0x0
	s_bfe_u32 s2, ttmp6, 0x4000c
	s_and_b32 s3, ttmp6, 15
	s_add_co_i32 s2, s2, 1
	s_delay_alu instid0(SALU_CYCLE_1) | instskip(NEXT) | instid1(SALU_CYCLE_1)
	s_mul_i32 s2, ttmp9, s2
	s_add_co_i32 s2, s3, s2
	s_cmp_eq_u32 s6, 0
	s_mov_b32 s3, 0
	s_cselect_b32 s2, ttmp9, s2
	s_wait_kmcnt 0x0
	v_cmp_le_i64_e64 s4, s[4:5], s[2:3]
	s_and_b32 vcc_lo, exec_lo, s4
	s_cbranch_vccnz .LBB260_28
; %bb.1:
	s_load_b128 s[16:19], s[0:1], 0x0
	s_lshl_b64 s[2:3], s[2:3], 3
	s_wait_kmcnt 0x0
	s_add_nc_u64 s[2:3], s[18:19], s[2:3]
	s_load_b64 s[4:5], s[2:3], 0x0
	s_wait_kmcnt 0x0
	v_cmp_lt_i64_e64 s2, s[4:5], 0
	s_and_b32 vcc_lo, exec_lo, s2
	s_cbranch_vccnz .LBB260_29
; %bb.2:
	s_load_b256 s[8:15], s[0:1], 0x18
	s_get_pc_i64 s[2:3]
	s_add_nc_u64 s[2:3], s[2:3], .str.5@rel64+4
	s_delay_alu instid0(SALU_CYCLE_1) | instskip(SKIP_4) | instid1(SALU_CYCLE_1)
	s_cmp_eq_u64 s[2:3], 0
	s_cselect_b32 s2, -1, 0
	s_wait_kmcnt 0x0
	v_cmp_ge_i64_e64 s6, s[4:5], s[10:11]
	s_or_b32 s18, s6, s2
	s_and_not1_b32 vcc_lo, exec_lo, s18
	s_cbranch_vccz .LBB260_27
; %bb.3:
	s_load_b64 s[10:11], s[0:1], 0x10
	v_mov_b32_e32 v1, 0
	s_mul_u64 s[6:7], s[4:5], s[12:13]
	s_delay_alu instid0(VALU_DEP_1)
	v_cmp_gt_i64_e64 s2, s[8:9], v[0:1]
	v_mov_b32_e32 v6, v1
	s_and_saveexec_b32 s19, s2
	s_cbranch_execz .LBB260_13
; %bb.4:
	s_load_b32 s3, s[0:1], 0x4c
	s_lshl_b64 s[4:5], s[6:7], 1
	s_wait_kmcnt 0x0
	s_cmp_neq_f32 s11, 1.0
	v_mov_b64_e32 v[4:5], v[0:1]
	s_add_nc_u64 s[12:13], s[16:17], s[4:5]
	s_mov_b32 s23, 0
	s_cselect_b32 s20, -1, 0
	s_cmp_neq_f32 s11, 2.0
	s_mov_b32 s24, 0x3e76c4e1
	s_cselect_b32 s21, -1, 0
	s_and_b32 s22, s3, 0xffff
	s_delay_alu instid0(SALU_CYCLE_1)
	v_dual_mov_b32 v6, 0 :: v_dual_add_nc_u32 v2, s22, v0
	s_branch .LBB260_7
.LBB260_5:                              ;   in Loop: Header=BB260_7 Depth=1
	s_delay_alu instid0(VALU_DEP_1)
	v_and_b32_e32 v4, 0x7fffffff, v3
.LBB260_6:                              ;   in Loop: Header=BB260_7 Depth=1
	s_delay_alu instid0(VALU_DEP_1) | instskip(NEXT) | instid1(VALU_DEP_1)
	v_dual_add_f32 v6, v6, v4 :: v_dual_ashrrev_i32 v3, 31, v2
	v_cmp_le_i64_e32 vcc_lo, s[8:9], v[2:3]
	v_mov_b64_e32 v[4:5], v[2:3]
	v_add_nc_u32_e32 v2, s22, v2
	s_or_b32 s23, vcc_lo, s23
	s_delay_alu instid0(SALU_CYCLE_1)
	s_and_not1_b32 exec_lo, exec_lo, s23
	s_cbranch_execz .LBB260_12
.LBB260_7:                              ; =>This Inner Loop Header: Depth=1
	s_delay_alu instid0(VALU_DEP_2) | instskip(SKIP_1) | instid1(VALU_DEP_1)
	v_mul_u64_e32 v[4:5], s[14:15], v[4:5]
	s_and_b32 vcc_lo, exec_lo, s20
	v_lshl_add_u64 v[4:5], v[4:5], 1, s[12:13]
	global_load_u16 v4, v[4:5], off
	s_wait_loadcnt 0x0
	v_cvt_f32_f16_e32 v3, v4
	s_cbranch_vccz .LBB260_5
; %bb.8:                                ;   in Loop: Header=BB260_7 Depth=1
	s_and_b32 vcc_lo, exec_lo, s21
	s_cbranch_vccz .LBB260_10
; %bb.9:                                ;   in Loop: Header=BB260_7 Depth=1
	v_cmp_neq_f16_e32 vcc_lo, 1.0, v4
	v_cndmask_b32_e64 v4, 1.0, s11, vcc_lo
	s_delay_alu instid0(VALU_DEP_1) | instskip(SKIP_2) | instid1(VALU_DEP_1)
	v_cmp_neq_f32_e32 vcc_lo, 0, v4
	v_cmp_neq_f32_e64 s25, v4, |v4|
	v_cndmask_b32_e32 v5, 1.0, v3, vcc_lo
	v_frexp_mant_f32_e64 v7, |v5|
	s_delay_alu instid0(VALU_DEP_1) | instskip(SKIP_1) | instid1(VALU_DEP_1)
	v_cmp_gt_f32_e32 vcc_lo, 0x3f2aaaab, v7
	v_cndmask_b32_e64 v8, 1.0, 2.0, vcc_lo
	v_mul_f32_e32 v7, v7, v8
	v_cmp_lt_f32_e64 s26, |v5|, 1.0
	v_cmp_eq_f32_e64 s5, 0, v5
	s_delay_alu instid0(VALU_DEP_3) | instskip(SKIP_1) | instid1(VALU_DEP_1)
	v_dual_add_f32 v8, 1.0, v7 :: v_dual_add_f32 v9, -1.0, v7
	s_xor_b32 s25, s25, s26
	v_rcp_f32_e32 v14, v8
	v_nop
	s_delay_alu instid0(TRANS32_DEP_1) | instskip(NEXT) | instid1(VALU_DEP_1)
	v_dual_add_f32 v11, -1.0, v8 :: v_dual_mul_f32 v15, v9, v14
	v_mul_f32_e32 v10, v8, v15
	s_delay_alu instid0(VALU_DEP_2) | instskip(NEXT) | instid1(VALU_DEP_2)
	v_sub_f32_e32 v7, v7, v11
	v_fma_f32 v12, v15, v8, -v10
	s_delay_alu instid0(VALU_DEP_1) | instskip(NEXT) | instid1(VALU_DEP_1)
	v_fmac_f32_e32 v12, v15, v7
	v_add_f32_e32 v8, v10, v12
	s_delay_alu instid0(VALU_DEP_1) | instskip(NEXT) | instid1(VALU_DEP_1)
	v_dual_sub_f32 v11, v9, v8 :: v_dual_mov_b32 v13, v8
	v_pk_add_f32 v[8:9], v[8:9], v[10:11] neg_lo:[0,1] neg_hi:[0,1]
	s_delay_alu instid0(VALU_DEP_1) | instskip(NEXT) | instid1(VALU_DEP_1)
	v_pk_add_f32 v[8:9], v[8:9], v[12:13] neg_lo:[0,1] neg_hi:[0,1]
	v_add_f32_e32 v7, v8, v9
	s_delay_alu instid0(VALU_DEP_1) | instskip(NEXT) | instid1(VALU_DEP_1)
	v_add_f32_e32 v7, v11, v7
	v_mul_f32_e32 v7, v14, v7
	s_delay_alu instid0(VALU_DEP_1) | instskip(NEXT) | instid1(VALU_DEP_1)
	v_add_f32_e32 v8, v15, v7
	v_dual_sub_f32 v9, v8, v15 :: v_dual_mul_f32 v11, v8, v8
	s_delay_alu instid0(VALU_DEP_1) | instskip(NEXT) | instid1(VALU_DEP_1)
	v_dual_sub_f32 v7, v7, v9 :: v_dual_fma_f32 v9, v8, v8, -v11
	v_add_f32_e32 v10, v7, v7
	s_delay_alu instid0(VALU_DEP_1) | instskip(NEXT) | instid1(VALU_DEP_1)
	v_fmac_f32_e32 v9, v8, v10
	v_add_f32_e32 v10, v11, v9
	s_delay_alu instid0(VALU_DEP_1) | instskip(NEXT) | instid1(VALU_DEP_1)
	v_sub_f32_e32 v11, v10, v11
	v_sub_f32_e32 v18, v9, v11
	v_fmaak_f32 v12, s24, v10, 0x3e91f4c4
	s_delay_alu instid0(VALU_DEP_1) | instskip(SKIP_1) | instid1(VALU_DEP_2)
	v_fmaak_f32 v14, v10, v12, 0x3ecccdef
	v_cvt_f64_f32_e64 v[12:13], |v5|
	v_mul_f32_e32 v15, v10, v14
	s_delay_alu instid0(VALU_DEP_1) | instskip(NEXT) | instid1(VALU_DEP_1)
	v_fma_f32 v9, v10, v14, -v15
	v_fmac_f32_e32 v9, v18, v14
	s_delay_alu instid0(VALU_DEP_1) | instskip(NEXT) | instid1(VALU_DEP_1)
	v_add_f32_e32 v11, v15, v9
	v_sub_f32_e32 v14, v11, v15
	v_add_f32_e32 v15, 0x3f2aaaaa, v11
	s_delay_alu instid0(VALU_DEP_1) | instskip(SKIP_1) | instid1(VALU_DEP_2)
	v_dual_sub_f32 v9, v9, v14 :: v_dual_add_f32 v14, 0xbf2aaaaa, v15
	v_frexp_exp_i32_f64_e32 v19, v[12:13]
	v_add_f32_e32 v9, 0x31739010, v9
	s_delay_alu instid0(VALU_DEP_3) | instskip(NEXT) | instid1(VALU_DEP_1)
	v_sub_f32_e32 v11, v11, v14
	v_pk_mul_f32 v[12:13], v[8:9], v[10:11]
	s_delay_alu instid0(VALU_DEP_1) | instskip(SKIP_1) | instid1(VALU_DEP_1)
	v_fma_f32 v14, v10, v8, -v12
	v_pk_add_f32 v[16:17], v[8:9], v[10:11]
	v_dual_fmac_f32 v14, v10, v7 :: v_dual_mov_b32 v13, v17
	v_ldexp_f32 v7, v7, 1
	s_delay_alu instid0(VALU_DEP_2) | instskip(NEXT) | instid1(VALU_DEP_1)
	v_fmac_f32_e32 v14, v18, v8
	v_pk_add_f32 v[10:11], v[12:13], v[14:15]
	v_subrev_co_ci_u32_e64 v9, null, 0, v19, vcc_lo
	s_delay_alu instid0(VALU_DEP_2) | instskip(NEXT) | instid1(VALU_DEP_3)
	v_mov_b32_e32 v16, v11
	v_dual_sub_f32 v13, v15, v11 :: v_dual_sub_f32 v15, v10, v12
	s_delay_alu instid0(VALU_DEP_3) | instskip(NEXT) | instid1(VALU_DEP_3)
	v_cvt_f32_i32_e32 v9, v9
	v_pk_mul_f32 v[18:19], v[10:11], v[16:17]
	s_delay_alu instid0(VALU_DEP_3) | instskip(NEXT) | instid1(VALU_DEP_2)
	v_sub_f32_e32 v14, v14, v15
	v_dual_fma_f32 v12, v10, v11, -v18 :: v_dual_add_f32 v13, v17, v13
	s_delay_alu instid0(VALU_DEP_1) | instskip(NEXT) | instid1(VALU_DEP_1)
	v_fmac_f32_e32 v12, v10, v13
	v_fmac_f32_e32 v12, v14, v11
	v_mul_f32_e32 v16, 0x3f317218, v9
	v_ldexp_f32 v11, v8, 1
	s_delay_alu instid0(VALU_DEP_3) | instskip(NEXT) | instid1(VALU_DEP_3)
	v_add_f32_e32 v17, v18, v12
	v_fma_f32 v10, 0x3f317218, v9, -v16
	s_delay_alu instid0(VALU_DEP_2) | instskip(NEXT) | instid1(VALU_DEP_2)
	v_dual_mov_b32 v19, v11 :: v_dual_mov_b32 v14, v17
	v_dual_fmac_f32 v10, 0xb102e308, v9 :: v_dual_mov_b32 v13, v17
	s_delay_alu instid0(VALU_DEP_1) | instskip(NEXT) | instid1(VALU_DEP_1)
	v_pk_add_f32 v[8:9], v[16:17], v[10:11]
	v_dual_mov_b32 v15, v9 :: v_dual_mov_b32 v11, v8
	s_delay_alu instid0(VALU_DEP_1) | instskip(NEXT) | instid1(VALU_DEP_1)
	v_pk_add_f32 v[14:15], v[14:15], v[18:19] neg_lo:[0,1] neg_hi:[0,1]
	v_pk_add_f32 v[12:13], v[12:13], v[14:15] neg_lo:[0,1] neg_hi:[0,1]
	s_delay_alu instid0(VALU_DEP_1) | instskip(NEXT) | instid1(VALU_DEP_1)
	v_add_f32_e32 v7, v7, v12
	v_add_f32_e32 v17, v7, v13
	s_delay_alu instid0(VALU_DEP_1) | instskip(SKIP_1) | instid1(VALU_DEP_2)
	v_pk_add_f32 v[12:13], v[8:9], v[16:17]
	v_pk_add_f32 v[14:15], v[8:9], v[16:17] neg_lo:[0,1] neg_hi:[0,1]
	v_dual_mov_b32 v22, v9 :: v_dual_mov_b32 v15, v13
	s_delay_alu instid0(VALU_DEP_1) | instskip(NEXT) | instid1(VALU_DEP_1)
	v_pk_add_f32 v[18:19], v[10:11], v[14:15]
	v_dual_mov_b32 v18, v13 :: v_dual_mov_b32 v16, v19
	v_pk_add_f32 v[10:11], v[10:11], v[14:15] neg_lo:[0,1] neg_hi:[0,1]
	s_delay_alu instid0(VALU_DEP_2) | instskip(SKIP_1) | instid1(VALU_DEP_2)
	v_pk_add_f32 v[20:21], v[16:17], v[8:9] neg_lo:[0,1] neg_hi:[0,1]
	v_dual_mov_b32 v9, v8 :: v_dual_mov_b32 v8, v17
	v_dual_mov_b32 v7, v20 :: v_dual_mov_b32 v23, v20
	s_delay_alu instid0(VALU_DEP_1) | instskip(NEXT) | instid1(VALU_DEP_2)
	v_pk_add_f32 v[12:13], v[12:13], v[6:7] neg_lo:[0,1] neg_hi:[0,1]
	v_pk_add_f32 v[14:15], v[18:19], v[22:23] neg_lo:[0,1] neg_hi:[0,1]
	v_mov_b32_e32 v12, v10
	s_delay_alu instid0(VALU_DEP_2) | instskip(NEXT) | instid1(VALU_DEP_1)
	v_pk_add_f32 v[8:9], v[8:9], v[14:15] neg_lo:[0,1] neg_hi:[0,1]
	v_pk_add_f32 v[12:13], v[12:13], v[8:9]
	s_delay_alu instid0(VALU_DEP_1) | instskip(NEXT) | instid1(VALU_DEP_1)
	v_mov_b32_e32 v14, v13
	v_pk_add_f32 v[14:15], v[12:13], v[14:15]
	s_delay_alu instid0(VALU_DEP_1) | instskip(NEXT) | instid1(VALU_DEP_1)
	v_pk_add_f32 v[16:17], v[16:17], v[14:15]
	v_dual_mov_b32 v11, v19 :: v_dual_mov_b32 v13, v16
	s_delay_alu instid0(VALU_DEP_1) | instskip(NEXT) | instid1(VALU_DEP_1)
	v_pk_add_f32 v[18:19], v[12:13], v[10:11] neg_lo:[0,1] neg_hi:[0,1]
	v_dual_mov_b32 v9, v14 :: v_dual_sub_f32 v7, v12, v18
	s_delay_alu instid0(VALU_DEP_1) | instskip(NEXT) | instid1(VALU_DEP_2)
	v_pk_add_f32 v[8:9], v[8:9], v[18:19] neg_lo:[0,1] neg_hi:[0,1]
	v_sub_f32_e32 v7, v10, v7
	s_delay_alu instid0(VALU_DEP_1) | instskip(NEXT) | instid1(VALU_DEP_1)
	v_add_f32_e32 v7, v8, v7
	v_add_f32_e32 v7, v7, v9
	s_delay_alu instid0(VALU_DEP_1) | instskip(NEXT) | instid1(VALU_DEP_1)
	v_add_f32_e32 v8, v16, v7
	v_sub_f32_e32 v9, v8, v16
	s_delay_alu instid0(VALU_DEP_1) | instskip(NEXT) | instid1(VALU_DEP_1)
	v_dual_mul_f32 v10, v4, v8 :: v_dual_sub_f32 v7, v7, v9
	v_cmp_class_f32_e64 vcc_lo, v10, 0x204
	v_fma_f32 v8, v4, v8, -v10
	s_delay_alu instid0(VALU_DEP_1) | instskip(NEXT) | instid1(VALU_DEP_1)
	v_fmac_f32_e32 v8, v4, v7
	v_add_f32_e32 v7, v10, v8
	s_delay_alu instid0(VALU_DEP_1) | instskip(NEXT) | instid1(VALU_DEP_1)
	v_cndmask_b32_e32 v9, v7, v10, vcc_lo
	v_cmp_eq_f32_e32 vcc_lo, 0x42b17218, v9
	v_cndmask_b32_e64 v11, 0, 0x37000000, vcc_lo
	v_cmp_neq_f32_e64 vcc_lo, 0x7f800000, |v9|
	s_delay_alu instid0(VALU_DEP_2) | instskip(SKIP_2) | instid1(VALU_DEP_3)
	v_sub_f32_e32 v12, v9, v11
	v_trunc_f32_e32 v9, v4
	v_sub_f32_e32 v7, v7, v10
	v_mul_f32_e32 v13, 0x3fb8aa3b, v12
	s_delay_alu instid0(VALU_DEP_2) | instskip(NEXT) | instid1(VALU_DEP_2)
	v_sub_f32_e32 v7, v8, v7
	v_fma_f32 v14, 0x3fb8aa3b, v12, -v13
	v_rndne_f32_e32 v15, v13
	s_delay_alu instid0(VALU_DEP_3) | instskip(SKIP_1) | instid1(VALU_DEP_3)
	v_cndmask_b32_e32 v7, 0, v7, vcc_lo
	v_cmp_ngt_f32_e32 vcc_lo, 0xc2ce8ed0, v12
	v_dual_fmac_f32 v14, 0x32a5705f, v12 :: v_dual_sub_f32 v13, v13, v15
	s_delay_alu instid0(VALU_DEP_1) | instskip(NEXT) | instid1(VALU_DEP_1)
	v_dual_add_f32 v7, v11, v7 :: v_dual_add_f32 v13, v13, v14
	v_exp_f32_e32 v10, v13
	v_nop
	v_cvt_i32_f32_e32 v13, v15
	s_delay_alu instid0(TRANS32_DEP_1) | instid1(VALU_DEP_1)
	v_ldexp_f32 v8, v10, v13
	v_mul_f32_e32 v10, 0.5, v4
	s_delay_alu instid0(VALU_DEP_2) | instskip(NEXT) | instid1(VALU_DEP_2)
	v_cndmask_b32_e32 v8, 0, v8, vcc_lo
	v_trunc_f32_e32 v13, v10
	v_cmp_nlt_f32_e32 vcc_lo, 0x42b17218, v12
	s_delay_alu instid0(VALU_DEP_2) | instskip(NEXT) | instid1(VALU_DEP_4)
	v_cmp_neq_f32_e64 s3, v13, v10
	v_cndmask_b32_e32 v8, 0x7f800000, v8, vcc_lo
	v_cmp_eq_f32_e32 vcc_lo, v9, v4
	s_delay_alu instid0(VALU_DEP_2) | instskip(SKIP_1) | instid1(SALU_CYCLE_1)
	v_cmp_class_f32_e64 s4, v8, 0x204
	s_and_b32 s3, vcc_lo, s3
	v_dual_fma_f32 v7, v8, v7, v8 :: v_dual_cndmask_b32 v9, 1.0, v5, s3
	s_delay_alu instid0(VALU_DEP_1) | instskip(SKIP_2) | instid1(VALU_DEP_3)
	v_cndmask_b32_e64 v7, v7, v8, s4
	v_cndmask_b32_e64 v8, 0x7f800000, 0, s25
	v_cmp_gt_f32_e64 s4, 0, v4
	v_bfi_b32 v7, 0x7fffffff, v7, v9
	s_xor_b32 s4, s4, s5
	s_delay_alu instid0(SALU_CYCLE_1) | instskip(NEXT) | instid1(VALU_DEP_2)
	v_cndmask_b32_e64 v10, 0x7f800000, 0, s4
	v_cndmask_b32_e32 v9, 0x7fc00000, v7, vcc_lo
	v_cmp_neq_f32_e64 vcc_lo, |v5|, 1.0
	v_cndmask_b32_e32 v8, 1.0, v8, vcc_lo
	v_cmp_gt_f32_e32 vcc_lo, 0, v5
	s_delay_alu instid0(VALU_DEP_4) | instskip(SKIP_3) | instid1(VALU_DEP_4)
	v_cndmask_b32_e32 v7, v7, v9, vcc_lo
	v_cmp_class_f32_e64 vcc_lo, v4, 0x204
	v_cndmask_b32_e64 v9, 0, v5, s3
	v_cmp_class_f32_e64 s3, v5, 0x204
	v_cndmask_b32_e32 v7, v7, v8, vcc_lo
	s_delay_alu instid0(VALU_DEP_3) | instskip(SKIP_1) | instid1(VALU_DEP_1)
	v_bfi_b32 v8, 0x7fffffff, v10, v9
	s_or_b32 vcc_lo, s5, s3
	v_cndmask_b32_e32 v7, v7, v8, vcc_lo
	v_cmp_o_f32_e32 vcc_lo, v5, v4
	s_delay_alu instid0(VALU_DEP_2)
	v_cndmask_b32_e32 v4, 0x7fc00000, v7, vcc_lo
	s_cbranch_execnz .LBB260_6
	s_branch .LBB260_11
.LBB260_10:                             ;   in Loop: Header=BB260_7 Depth=1
                                        ; implicit-def: $vgpr4
.LBB260_11:                             ;   in Loop: Header=BB260_7 Depth=1
	s_delay_alu instid0(VALU_DEP_1)
	v_mul_f32_e32 v4, v3, v3
	s_branch .LBB260_6
.LBB260_12:
	s_or_b32 exec_lo, exec_lo, s23
.LBB260_13:
	s_delay_alu instid0(SALU_CYCLE_1)
	s_or_b32 exec_lo, exec_lo, s19
; %bb.14:
	v_mbcnt_lo_u32_b32 v7, -1, 0
	s_mov_b32 s3, exec_lo
	s_barrier_signal -1
	s_barrier_wait -1
	s_delay_alu instid0(VALU_DEP_1) | instskip(SKIP_4) | instid1(VALU_DEP_2)
	v_lshl_or_b32 v2, v7, 2, 64
	v_cmp_gt_u32_e32 vcc_lo, 24, v7
	ds_bpermute_b32 v4, v2, v6
	v_cndmask_b32_e64 v3, 0, 8, vcc_lo
	v_cmp_gt_u32_e32 vcc_lo, 28, v7
	v_add_lshl_u32 v3, v3, v7, 2
	s_wait_dscnt 0x0
	v_add_f32_e32 v5, v6, v4
	v_cndmask_b32_e64 v4, 0, 4, vcc_lo
	v_cmp_gt_u32_e32 vcc_lo, 30, v7
	ds_bpermute_b32 v6, v3, v5
	v_add_lshl_u32 v4, v4, v7, 2
	s_wait_dscnt 0x0
	v_add_f32_e32 v6, v5, v6
	v_cndmask_b32_e64 v5, 0, 2, vcc_lo
	v_cmp_ne_u32_e32 vcc_lo, 31, v7
	ds_bpermute_b32 v8, v4, v6
	v_add_lshl_u32 v5, v5, v7, 2
	v_add_co_ci_u32_e64 v9, null, 0, v7, vcc_lo
	s_wait_dscnt 0x0
	v_add_f32_e32 v6, v6, v8
	ds_bpermute_b32 v8, v5, v6
	s_wait_dscnt 0x0
	v_dual_add_f32 v7, v6, v8 :: v_dual_lshlrev_b32 v6, 2, v9
	v_and_b32_e32 v8, 31, v0
	ds_bpermute_b32 v9, v6, v7
	v_cmpx_eq_u32_e32 0, v8
	s_cbranch_execz .LBB260_16
; %bb.15:
	s_wait_dscnt 0x0
	v_dual_add_f32 v7, v7, v9 :: v_dual_lshrrev_b32 v10, 3, v0
	s_delay_alu instid0(VALU_DEP_1)
	v_add_nc_u32_e32 v9, 0, v10
	ds_store_b32 v9, v7
.LBB260_16:
	s_or_b32 exec_lo, exec_lo, s3
	s_wait_dscnt 0x0
	s_barrier_signal -1
	s_barrier_wait -1
	s_load_b32 s4, s[0:1], 0x4c
	v_mov_b32_e32 v7, 0
	s_wait_kmcnt 0x0
	s_bfe_u32 s0, s4, 0xb0005
	s_delay_alu instid0(SALU_CYCLE_1)
	v_cmp_gt_u32_e32 vcc_lo, s0, v0
	s_and_saveexec_b32 s0, vcc_lo
; %bb.17:
	v_lshl_add_u32 v7, v8, 2, 0
	ds_load_b32 v7, v7
; %bb.18:
	s_or_b32 exec_lo, exec_lo, s0
	s_delay_alu instid0(SALU_CYCLE_1)
	s_mov_b32 s0, exec_lo
	v_cmpx_gt_u32_e32 32, v0
	s_cbranch_execz .LBB260_20
; %bb.19:
	s_wait_dscnt 0x0
	ds_bpermute_b32 v2, v2, v7
	s_wait_dscnt 0x0
	v_add_f32_e32 v2, v7, v2
	ds_bpermute_b32 v3, v3, v2
	s_wait_dscnt 0x0
	v_add_f32_e32 v2, v2, v3
	;; [unrolled: 3-line block ×5, first 2 shown]
.LBB260_20:
	s_or_b32 exec_lo, exec_lo, s0
	s_delay_alu instid0(SALU_CYCLE_1)
	s_mov_b32 s5, exec_lo
	v_cmpx_eq_u32_e32 0, v0
	s_cbranch_execz .LBB260_22
; %bb.21:
	v_div_scale_f32 v2, null, s11, s11, 1.0
	v_div_scale_f32 v5, vcc_lo, 1.0, s11, 1.0
	s_mov_b32 s0, 0x3e76c4e1
	v_rcp_f32_e32 v3, v2
	v_nop
	v_xor_b32_e32 v2, 0x80000000, v2
	s_delay_alu instid0(TRANS32_DEP_1) | instid1(VALU_DEP_1)
	v_fma_f32 v4, v2, v3, 1.0
	s_delay_alu instid0(VALU_DEP_1) | instskip(NEXT) | instid1(VALU_DEP_1)
	v_fmac_f32_e32 v3, v4, v3
	v_mul_f32_e32 v4, v5, v3
	s_delay_alu instid0(VALU_DEP_1) | instskip(NEXT) | instid1(VALU_DEP_1)
	v_fma_f32 v6, v2, v4, v5
	v_fmac_f32_e32 v4, v6, v3
	s_delay_alu instid0(VALU_DEP_1) | instskip(NEXT) | instid1(VALU_DEP_1)
	v_fmac_f32_e32 v5, v2, v4
	v_div_fmas_f32 v2, v5, v3, v4
	s_wait_dscnt 0x0
	v_cmp_neq_f32_e32 vcc_lo, 1.0, v7
	s_delay_alu instid0(VALU_DEP_2) | instskip(NEXT) | instid1(VALU_DEP_1)
	v_div_fixup_f32 v2, v2, s11, 1.0
	v_cndmask_b32_e32 v2, 1.0, v2, vcc_lo
	s_delay_alu instid0(VALU_DEP_1) | instskip(SKIP_2) | instid1(VALU_DEP_1)
	v_cmp_neq_f32_e32 vcc_lo, 0, v2
	v_cmp_neq_f32_e64 s11, v2, |v2|
	v_cndmask_b32_e32 v3, 1.0, v7, vcc_lo
	v_frexp_mant_f32_e64 v4, |v3|
	v_cmp_lt_f32_e64 s12, |v3|, 1.0
	v_cmp_eq_f32_e64 s3, 0, v3
	s_delay_alu instid0(VALU_DEP_3) | instskip(SKIP_2) | instid1(VALU_DEP_1)
	v_cmp_gt_f32_e32 vcc_lo, 0x3f2aaaab, v4
	s_xor_b32 s11, s11, s12
	v_cndmask_b32_e64 v5, 1.0, 2.0, vcc_lo
	v_mul_f32_e32 v4, v4, v5
	s_delay_alu instid0(VALU_DEP_1) | instskip(NEXT) | instid1(VALU_DEP_1)
	v_add_f32_e32 v7, 1.0, v4
	v_dual_add_f32 v8, -1.0, v7 :: v_dual_add_f32 v5, -1.0, v4
	v_rcp_f32_e32 v10, v7
	v_nop
	s_delay_alu instid0(TRANS32_DEP_1) | instskip(NEXT) | instid1(VALU_DEP_1)
	v_dual_sub_f32 v4, v4, v8 :: v_dual_mul_f32 v11, v5, v10
	v_mul_f32_e32 v6, v7, v11
	s_delay_alu instid0(VALU_DEP_1) | instskip(NEXT) | instid1(VALU_DEP_1)
	v_fma_f32 v8, v11, v7, -v6
	v_fmac_f32_e32 v8, v11, v4
	s_delay_alu instid0(VALU_DEP_1) | instskip(NEXT) | instid1(VALU_DEP_1)
	v_add_f32_e32 v4, v6, v8
	v_dual_sub_f32 v7, v5, v4 :: v_dual_mov_b32 v9, v4
	s_delay_alu instid0(VALU_DEP_1) | instskip(NEXT) | instid1(VALU_DEP_1)
	v_pk_add_f32 v[4:5], v[4:5], v[6:7] neg_lo:[0,1] neg_hi:[0,1]
	v_pk_add_f32 v[4:5], v[4:5], v[8:9] neg_lo:[0,1] neg_hi:[0,1]
	s_delay_alu instid0(VALU_DEP_1) | instskip(NEXT) | instid1(VALU_DEP_1)
	v_add_f32_e32 v4, v4, v5
	v_add_f32_e32 v4, v7, v4
	s_delay_alu instid0(VALU_DEP_1) | instskip(NEXT) | instid1(VALU_DEP_1)
	v_mul_f32_e32 v5, v10, v4
	v_add_f32_e32 v4, v11, v5
	s_delay_alu instid0(VALU_DEP_1) | instskip(NEXT) | instid1(VALU_DEP_1)
	v_sub_f32_e32 v6, v4, v11
	v_sub_f32_e32 v16, v5, v6
	s_delay_alu instid0(VALU_DEP_1) | instskip(SKIP_1) | instid1(VALU_DEP_1)
	v_add_f32_e32 v6, v16, v16
	v_mul_f32_e32 v7, v4, v4
	v_fma_f32 v5, v4, v4, -v7
	s_delay_alu instid0(VALU_DEP_1) | instskip(NEXT) | instid1(VALU_DEP_1)
	v_fmac_f32_e32 v5, v4, v6
	v_add_f32_e32 v6, v7, v5
	s_delay_alu instid0(VALU_DEP_1) | instskip(NEXT) | instid1(VALU_DEP_1)
	v_dual_fmaak_f32 v8, s0, v6, 0x3e91f4c4 :: v_dual_sub_f32 v7, v6, v7
	v_fmaak_f32 v10, v6, v8, 0x3ecccdef
	v_cvt_f64_f32_e64 v[8:9], |v3|
	s_delay_alu instid0(VALU_DEP_2) | instskip(NEXT) | instid1(VALU_DEP_1)
	v_dual_mul_f32 v11, v6, v10 :: v_dual_sub_f32 v14, v5, v7
	v_fma_f32 v5, v6, v10, -v11
	s_delay_alu instid0(VALU_DEP_1) | instskip(NEXT) | instid1(VALU_DEP_1)
	v_fmac_f32_e32 v5, v14, v10
	v_add_f32_e32 v7, v11, v5
	s_delay_alu instid0(VALU_DEP_1) | instskip(SKIP_1) | instid1(VALU_DEP_1)
	v_sub_f32_e32 v10, v7, v11
	v_add_f32_e32 v11, 0x3f2aaaaa, v7
	v_dual_sub_f32 v5, v5, v10 :: v_dual_add_f32 v10, 0xbf2aaaaa, v11
	v_frexp_exp_i32_f64_e32 v15, v[8:9]
	s_delay_alu instid0(VALU_DEP_2) | instskip(NEXT) | instid1(VALU_DEP_3)
	v_add_f32_e32 v5, 0x31739010, v5
	v_sub_f32_e32 v7, v7, v10
	s_delay_alu instid0(VALU_DEP_1) | instskip(NEXT) | instid1(VALU_DEP_1)
	v_pk_mul_f32 v[8:9], v[4:5], v[6:7]
	v_fma_f32 v10, v6, v4, -v8
	s_delay_alu instid0(VALU_DEP_1) | instskip(NEXT) | instid1(VALU_DEP_1)
	v_fmac_f32_e32 v10, v6, v16
	v_fmac_f32_e32 v10, v14, v4
	v_pk_add_f32 v[12:13], v[4:5], v[6:7]
	s_delay_alu instid0(VALU_DEP_1) | instskip(SKIP_1) | instid1(VALU_DEP_2)
	v_mov_b32_e32 v9, v13
	v_subrev_co_ci_u32_e64 v5, null, 0, v15, vcc_lo
	v_pk_add_f32 v[6:7], v[8:9], v[10:11]
	s_delay_alu instid0(VALU_DEP_2) | instskip(NEXT) | instid1(VALU_DEP_2)
	v_cvt_f32_i32_e32 v5, v5
	v_mov_b32_e32 v12, v7
	s_delay_alu instid0(VALU_DEP_3) | instskip(NEXT) | instid1(VALU_DEP_2)
	v_dual_sub_f32 v9, v11, v7 :: v_dual_sub_f32 v11, v6, v8
	v_pk_mul_f32 v[14:15], v[6:7], v[12:13]
	s_delay_alu instid0(VALU_DEP_2) | instskip(NEXT) | instid1(VALU_DEP_2)
	v_sub_f32_e32 v10, v10, v11
	v_dual_fma_f32 v8, v6, v7, -v14 :: v_dual_add_f32 v9, v13, v9
	s_delay_alu instid0(VALU_DEP_1) | instskip(NEXT) | instid1(VALU_DEP_1)
	v_fmac_f32_e32 v8, v6, v9
	v_fmac_f32_e32 v8, v10, v7
	v_mul_f32_e32 v12, 0x3f317218, v5
	v_ldexp_f32 v7, v4, 1
	s_delay_alu instid0(VALU_DEP_3) | instskip(NEXT) | instid1(VALU_DEP_3)
	v_add_f32_e32 v13, v14, v8
	v_fma_f32 v6, 0x3f317218, v5, -v12
	s_delay_alu instid0(VALU_DEP_2) | instskip(NEXT) | instid1(VALU_DEP_2)
	v_dual_mov_b32 v15, v7 :: v_dual_mov_b32 v10, v13
	v_fmamk_f32 v6, v5, 0xb102e308, v6
	s_delay_alu instid0(VALU_DEP_1) | instskip(SKIP_1) | instid1(VALU_DEP_2)
	v_pk_add_f32 v[4:5], v[12:13], v[6:7]
	v_ldexp_f32 v7, v16, 1
	v_dual_mov_b32 v9, v13 :: v_dual_mov_b32 v11, v5
	s_delay_alu instid0(VALU_DEP_1) | instskip(NEXT) | instid1(VALU_DEP_1)
	v_pk_add_f32 v[10:11], v[10:11], v[14:15] neg_lo:[0,1] neg_hi:[0,1]
	v_pk_add_f32 v[8:9], v[8:9], v[10:11] neg_lo:[0,1] neg_hi:[0,1]
	s_delay_alu instid0(VALU_DEP_1) | instskip(NEXT) | instid1(VALU_DEP_1)
	v_add_f32_e32 v7, v7, v8
	v_dual_add_f32 v13, v7, v9 :: v_dual_mov_b32 v7, v4
	s_delay_alu instid0(VALU_DEP_1) | instskip(SKIP_1) | instid1(VALU_DEP_2)
	v_pk_add_f32 v[8:9], v[4:5], v[12:13]
	v_pk_add_f32 v[10:11], v[4:5], v[12:13] neg_lo:[0,1] neg_hi:[0,1]
	v_dual_mov_b32 v18, v5 :: v_dual_mov_b32 v11, v9
	s_delay_alu instid0(VALU_DEP_1) | instskip(NEXT) | instid1(VALU_DEP_1)
	v_pk_add_f32 v[14:15], v[6:7], v[10:11]
	v_dual_mov_b32 v14, v9 :: v_dual_mov_b32 v12, v15
	v_pk_add_f32 v[6:7], v[6:7], v[10:11] neg_lo:[0,1] neg_hi:[0,1]
	s_delay_alu instid0(VALU_DEP_2) | instskip(SKIP_1) | instid1(VALU_DEP_2)
	v_pk_add_f32 v[16:17], v[12:13], v[4:5] neg_lo:[0,1] neg_hi:[0,1]
	v_dual_mov_b32 v5, v4 :: v_dual_mov_b32 v4, v13
	v_dual_mov_b32 v13, v16 :: v_dual_mov_b32 v19, v16
	s_delay_alu instid0(VALU_DEP_1) | instskip(NEXT) | instid1(VALU_DEP_2)
	v_pk_add_f32 v[8:9], v[8:9], v[12:13] neg_lo:[0,1] neg_hi:[0,1]
	v_pk_add_f32 v[10:11], v[14:15], v[18:19] neg_lo:[0,1] neg_hi:[0,1]
	v_mov_b32_e32 v8, v6
	s_delay_alu instid0(VALU_DEP_2) | instskip(NEXT) | instid1(VALU_DEP_1)
	v_pk_add_f32 v[4:5], v[4:5], v[10:11] neg_lo:[0,1] neg_hi:[0,1]
	v_pk_add_f32 v[8:9], v[8:9], v[4:5]
	s_delay_alu instid0(VALU_DEP_1) | instskip(NEXT) | instid1(VALU_DEP_1)
	v_mov_b32_e32 v10, v9
	v_pk_add_f32 v[10:11], v[8:9], v[10:11]
	s_delay_alu instid0(VALU_DEP_1) | instskip(NEXT) | instid1(VALU_DEP_1)
	v_pk_add_f32 v[12:13], v[12:13], v[10:11]
	v_dual_mov_b32 v7, v15 :: v_dual_mov_b32 v9, v12
	s_delay_alu instid0(VALU_DEP_1) | instskip(NEXT) | instid1(VALU_DEP_1)
	v_pk_add_f32 v[14:15], v[8:9], v[6:7] neg_lo:[0,1] neg_hi:[0,1]
	v_dual_mov_b32 v5, v10 :: v_dual_sub_f32 v7, v8, v14
	s_delay_alu instid0(VALU_DEP_1) | instskip(NEXT) | instid1(VALU_DEP_2)
	v_pk_add_f32 v[4:5], v[4:5], v[14:15] neg_lo:[0,1] neg_hi:[0,1]
	v_sub_f32_e32 v6, v6, v7
	s_delay_alu instid0(VALU_DEP_1) | instskip(NEXT) | instid1(VALU_DEP_1)
	v_add_f32_e32 v4, v4, v6
	v_add_f32_e32 v4, v4, v5
	s_delay_alu instid0(VALU_DEP_1) | instskip(NEXT) | instid1(VALU_DEP_1)
	v_add_f32_e32 v5, v12, v4
	v_dual_sub_f32 v6, v5, v12 :: v_dual_mul_f32 v7, v2, v5
	s_delay_alu instid0(VALU_DEP_1) | instskip(NEXT) | instid1(VALU_DEP_2)
	v_sub_f32_e32 v4, v4, v6
	v_cmp_class_f32_e64 vcc_lo, v7, 0x204
	v_fma_f32 v5, v2, v5, -v7
	s_delay_alu instid0(VALU_DEP_1) | instskip(NEXT) | instid1(VALU_DEP_1)
	v_fmac_f32_e32 v5, v2, v4
	v_add_f32_e32 v4, v7, v5
	s_delay_alu instid0(VALU_DEP_1) | instskip(NEXT) | instid1(VALU_DEP_1)
	v_cndmask_b32_e32 v6, v4, v7, vcc_lo
	v_cmp_eq_f32_e32 vcc_lo, 0x42b17218, v6
	v_cndmask_b32_e64 v8, 0, 0x37000000, vcc_lo
	v_cmp_neq_f32_e64 vcc_lo, 0x7f800000, |v6|
	s_delay_alu instid0(VALU_DEP_2) | instskip(SKIP_1) | instid1(VALU_DEP_2)
	v_dual_sub_f32 v9, v6, v8 :: v_dual_sub_f32 v4, v4, v7
	v_trunc_f32_e32 v6, v2
	v_mul_f32_e32 v10, 0x3fb8aa3b, v9
	s_delay_alu instid0(VALU_DEP_3) | instskip(NEXT) | instid1(VALU_DEP_2)
	v_sub_f32_e32 v4, v5, v4
	v_fma_f32 v11, 0x3fb8aa3b, v9, -v10
	v_rndne_f32_e32 v12, v10
	s_delay_alu instid0(VALU_DEP_3) | instskip(SKIP_1) | instid1(VALU_DEP_3)
	v_cndmask_b32_e32 v4, 0, v4, vcc_lo
	v_cmp_ngt_f32_e32 vcc_lo, 0xc2ce8ed0, v9
	v_dual_fmamk_f32 v11, v9, 0x32a5705f, v11 :: v_dual_sub_f32 v10, v10, v12
	s_delay_alu instid0(VALU_DEP_1) | instskip(NEXT) | instid1(VALU_DEP_1)
	v_dual_add_f32 v4, v8, v4 :: v_dual_add_f32 v10, v10, v11
	v_exp_f32_e32 v7, v10
	v_nop
	v_cvt_i32_f32_e32 v10, v12
	s_delay_alu instid0(TRANS32_DEP_1) | instid1(VALU_DEP_1)
	v_ldexp_f32 v5, v7, v10
	s_delay_alu instid0(VALU_DEP_1) | instskip(NEXT) | instid1(VALU_DEP_1)
	v_dual_mul_f32 v7, 0.5, v2 :: v_dual_cndmask_b32 v5, 0, v5, vcc_lo
	v_trunc_f32_e32 v10, v7
	v_cmp_nlt_f32_e32 vcc_lo, 0x42b17218, v9
	s_delay_alu instid0(VALU_DEP_2) | instskip(NEXT) | instid1(VALU_DEP_4)
	v_cmp_neq_f32_e64 s0, v10, v7
	v_cndmask_b32_e32 v5, 0x7f800000, v5, vcc_lo
	v_cmp_eq_f32_e32 vcc_lo, v6, v2
	s_delay_alu instid0(VALU_DEP_2) | instskip(SKIP_1) | instid1(SALU_CYCLE_1)
	v_cmp_class_f32_e64 s1, v5, 0x204
	s_and_b32 s0, vcc_lo, s0
	v_dual_fma_f32 v4, v5, v4, v5 :: v_dual_cndmask_b32 v6, 1.0, v3, s0
	s_delay_alu instid0(VALU_DEP_1) | instskip(SKIP_2) | instid1(VALU_DEP_3)
	v_cndmask_b32_e64 v4, v4, v5, s1
	v_cndmask_b32_e64 v5, 0x7f800000, 0, s11
	v_cmp_gt_f32_e64 s1, 0, v2
	v_bfi_b32 v4, 0x7fffffff, v4, v6
	s_xor_b32 s1, s1, s3
	s_delay_alu instid0(SALU_CYCLE_1) | instskip(NEXT) | instid1(VALU_DEP_2)
	v_cndmask_b32_e64 v6, 0x7f800000, 0, s1
	v_cndmask_b32_e32 v7, 0x7fc00000, v4, vcc_lo
	v_cmp_neq_f32_e64 vcc_lo, |v3|, 1.0
	v_cndmask_b32_e32 v5, 1.0, v5, vcc_lo
	v_cmp_gt_f32_e32 vcc_lo, 0, v3
	s_delay_alu instid0(VALU_DEP_4) | instskip(SKIP_3) | instid1(VALU_DEP_4)
	v_cndmask_b32_e32 v4, v4, v7, vcc_lo
	v_cmp_class_f32_e64 vcc_lo, v2, 0x204
	v_cndmask_b32_e64 v8, 0, v3, s0
	v_cmp_class_f32_e64 s0, v3, 0x204
	v_cndmask_b32_e32 v4, v4, v5, vcc_lo
	s_delay_alu instid0(VALU_DEP_3) | instskip(SKIP_1) | instid1(VALU_DEP_1)
	v_bfi_b32 v6, 0x7fffffff, v6, v8
	s_or_b32 vcc_lo, s3, s0
	v_cndmask_b32_e32 v4, v4, v6, vcc_lo
	v_cmp_o_f32_e32 vcc_lo, v3, v2
	s_delay_alu instid0(VALU_DEP_2)
	v_dual_mov_b32 v3, 0 :: v_dual_cndmask_b32 v2, 0x7fc00000, v4
	ds_store_b32 v3, v2
.LBB260_22:
	s_or_b32 exec_lo, exec_lo, s5
	v_mov_b32_e32 v2, 0
	s_wait_dscnt 0x0
	s_barrier_signal -1
	s_barrier_wait -1
	ds_load_b32 v2, v2
	s_wait_dscnt 0x0
	v_cmp_nlt_f32_e32 vcc_lo, s10, v2
	s_cbranch_vccnz .LBB260_27
; %bb.23:
	s_and_saveexec_b32 s3, s2
	s_cbranch_execz .LBB260_26
; %bb.24:
	v_cvt_f64_f32_e32 v[2:3], v2
	v_cvt_f64_f32_e32 v[4:5], s10
	s_delay_alu instid0(VALU_DEP_2) | instskip(NEXT) | instid1(VALU_DEP_1)
	v_add_f64_e32 v[2:3], 0x3e7ad7f29abcaf48, v[2:3]
	v_div_scale_f64 v[6:7], null, v[2:3], v[2:3], v[4:5]
	v_div_scale_f64 v[12:13], vcc_lo, v[4:5], v[2:3], v[4:5]
	s_delay_alu instid0(VALU_DEP_2) | instskip(SKIP_1) | instid1(TRANS32_DEP_1)
	v_rcp_f64_e32 v[8:9], v[6:7]
	v_nop
	v_fma_f64 v[10:11], -v[6:7], v[8:9], 1.0
	s_delay_alu instid0(VALU_DEP_1) | instskip(NEXT) | instid1(VALU_DEP_1)
	v_fmac_f64_e32 v[8:9], v[8:9], v[10:11]
	v_fma_f64 v[10:11], -v[6:7], v[8:9], 1.0
	s_delay_alu instid0(VALU_DEP_1) | instskip(NEXT) | instid1(VALU_DEP_1)
	v_fmac_f64_e32 v[8:9], v[8:9], v[10:11]
	v_mul_f64_e32 v[10:11], v[12:13], v[8:9]
	s_delay_alu instid0(VALU_DEP_1) | instskip(NEXT) | instid1(VALU_DEP_1)
	v_fma_f64 v[6:7], -v[6:7], v[10:11], v[12:13]
	v_div_fmas_f64 v[6:7], v[6:7], v[8:9], v[10:11]
	s_delay_alu instid0(VALU_DEP_1) | instskip(NEXT) | instid1(VALU_DEP_1)
	v_div_fixup_f64 v[2:3], v[6:7], v[2:3], v[4:5]
	v_readfirstlane_b32 s0, v3
	s_and_b32 s1, s0, 0x1ff
	s_lshr_b32 s5, s0, 8
	v_or_b32_e32 v2, s1, v2
	s_bfe_u32 s1, s0, 0xb0014
	s_and_b32 s5, s5, 0xffe
	s_sub_co_i32 s2, 0x3f1, s1
	s_delay_alu instid0(SALU_CYCLE_1) | instskip(SKIP_1) | instid1(VALU_DEP_2)
	v_med3_i32 v3, s2, 0, 13
	v_cmp_ne_u32_e32 vcc_lo, 0, v2
	v_readfirstlane_b32 s10, v3
	v_cndmask_b32_e64 v2, 0, 1, vcc_lo
	s_delay_alu instid0(VALU_DEP_1) | instskip(SKIP_1) | instid1(SALU_CYCLE_1)
	v_readfirstlane_b32 s2, v2
	s_or_b32 s2, s5, s2
	s_or_b32 s5, s2, 0x1000
	s_delay_alu instid0(SALU_CYCLE_1) | instskip(NEXT) | instid1(SALU_CYCLE_1)
	s_lshr_b32 s11, s5, s10
	s_lshl_b32 s10, s11, s10
	s_delay_alu instid0(SALU_CYCLE_1) | instskip(SKIP_4) | instid1(SALU_CYCLE_1)
	s_cmp_lg_u32 s10, s5
	s_cselect_b32 s5, 1, 0
	s_addk_co_i32 s1, 0xfc10
	s_or_b32 s5, s11, s5
	s_lshl_b32 s10, s1, 12
	s_or_b32 s10, s2, s10
	s_cmp_lt_i32 s1, 1
	s_cselect_b32 s5, s5, s10
	s_delay_alu instid0(SALU_CYCLE_1) | instskip(NEXT) | instid1(SALU_CYCLE_1)
	s_and_b32 s10, s5, 7
	s_cmp_gt_i32 s10, 5
	s_cselect_b32 s11, 1, 0
	s_cmp_eq_u32 s10, 3
	s_cselect_b32 s10, 1, 0
	s_lshr_b32 s5, s5, 2
	s_or_b32 s10, s10, s11
	s_delay_alu instid0(SALU_CYCLE_1)
	s_add_co_i32 s5, s5, s10
	s_cmp_lt_i32 s1, 31
	s_movk_i32 s10, 0x7e00
	s_cselect_b32 s5, s5, 0x7c00
	s_cmp_lg_u32 s2, 0
	s_mov_b32 s2, 0
	s_cselect_b32 s10, s10, 0x7c00
	s_cmp_eq_u32 s1, 0x40f
	s_cselect_b32 s5, s10, s5
	s_and_b32 s4, 0xffff, s4
	s_lshr_b32 s0, s0, 16
	v_add_nc_u32_e32 v2, s4, v0
	s_and_b32 s10, s0, 0x8000
	s_lshl_b64 s[0:1], s[6:7], 1
	s_or_b32 s5, s10, s5
	s_add_nc_u64 s[0:1], s[16:17], s[0:1]
.LBB260_25:                             ; =>This Inner Loop Header: Depth=1
	v_mul_u64_e32 v[0:1], s[14:15], v[0:1]
	v_ashrrev_i32_e32 v3, 31, v2
	s_delay_alu instid0(VALU_DEP_1) | instskip(SKIP_1) | instid1(VALU_DEP_3)
	v_cmp_le_i64_e32 vcc_lo, s[8:9], v[2:3]
	s_or_b32 s2, vcc_lo, s2
	v_lshl_add_u64 v[4:5], v[0:1], 1, s[0:1]
	v_mov_b64_e32 v[0:1], v[2:3]
	v_add_nc_u32_e32 v2, s4, v2
	global_load_u16 v6, v[4:5], off
	s_wait_loadcnt 0x0
	v_mul_f16_e32 v3, s5, v6
	global_store_b16 v[4:5], v3, off
	s_wait_xcnt 0x0
	s_and_not1_b32 exec_lo, exec_lo, s2
	s_cbranch_execnz .LBB260_25
.LBB260_26:
	s_or_b32 exec_lo, exec_lo, s3
.LBB260_27:
	s_delay_alu instid0(SALU_CYCLE_1)
	s_and_b32 vcc_lo, exec_lo, s18
	s_cbranch_vccnz .LBB260_30
.LBB260_28:
	s_endpgm
.LBB260_29:
	s_cbranch_execz .LBB260_28
.LBB260_30:
	s_trap 2
	; divergent unreachable
	s_endpgm
	.section	.rodata,"a",@progbits
	.p2align	6, 0x0
	.amdhsa_kernel _ZN2at6native12_GLOBAL__N_113renorm_kernelIN3c104HalfEfKlEEvPT_PT1_T0_SA_llllPS5_
		.amdhsa_group_segment_fixed_size 0
		.amdhsa_private_segment_fixed_size 0
		.amdhsa_kernarg_size 320
		.amdhsa_user_sgpr_count 2
		.amdhsa_user_sgpr_dispatch_ptr 0
		.amdhsa_user_sgpr_queue_ptr 0
		.amdhsa_user_sgpr_kernarg_segment_ptr 1
		.amdhsa_user_sgpr_dispatch_id 0
		.amdhsa_user_sgpr_kernarg_preload_length 0
		.amdhsa_user_sgpr_kernarg_preload_offset 0
		.amdhsa_user_sgpr_private_segment_size 0
		.amdhsa_wavefront_size32 1
		.amdhsa_uses_dynamic_stack 0
		.amdhsa_enable_private_segment 0
		.amdhsa_system_sgpr_workgroup_id_x 1
		.amdhsa_system_sgpr_workgroup_id_y 0
		.amdhsa_system_sgpr_workgroup_id_z 0
		.amdhsa_system_sgpr_workgroup_info 0
		.amdhsa_system_vgpr_workitem_id 0
		.amdhsa_next_free_vgpr 24
		.amdhsa_next_free_sgpr 27
		.amdhsa_named_barrier_count 0
		.amdhsa_reserve_vcc 1
		.amdhsa_float_round_mode_32 0
		.amdhsa_float_round_mode_16_64 0
		.amdhsa_float_denorm_mode_32 3
		.amdhsa_float_denorm_mode_16_64 3
		.amdhsa_fp16_overflow 0
		.amdhsa_memory_ordered 1
		.amdhsa_forward_progress 1
		.amdhsa_inst_pref_size 33
		.amdhsa_round_robin_scheduling 0
		.amdhsa_exception_fp_ieee_invalid_op 0
		.amdhsa_exception_fp_denorm_src 0
		.amdhsa_exception_fp_ieee_div_zero 0
		.amdhsa_exception_fp_ieee_overflow 0
		.amdhsa_exception_fp_ieee_underflow 0
		.amdhsa_exception_fp_ieee_inexact 0
		.amdhsa_exception_int_div_zero 0
	.end_amdhsa_kernel
	.section	.text._ZN2at6native12_GLOBAL__N_113renorm_kernelIN3c104HalfEfKlEEvPT_PT1_T0_SA_llllPS5_,"axG",@progbits,_ZN2at6native12_GLOBAL__N_113renorm_kernelIN3c104HalfEfKlEEvPT_PT1_T0_SA_llllPS5_,comdat
.Lfunc_end260:
	.size	_ZN2at6native12_GLOBAL__N_113renorm_kernelIN3c104HalfEfKlEEvPT_PT1_T0_SA_llllPS5_, .Lfunc_end260-_ZN2at6native12_GLOBAL__N_113renorm_kernelIN3c104HalfEfKlEEvPT_PT1_T0_SA_llllPS5_
                                        ; -- End function
	.set _ZN2at6native12_GLOBAL__N_113renorm_kernelIN3c104HalfEfKlEEvPT_PT1_T0_SA_llllPS5_.num_vgpr, 24
	.set _ZN2at6native12_GLOBAL__N_113renorm_kernelIN3c104HalfEfKlEEvPT_PT1_T0_SA_llllPS5_.num_agpr, 0
	.set _ZN2at6native12_GLOBAL__N_113renorm_kernelIN3c104HalfEfKlEEvPT_PT1_T0_SA_llllPS5_.numbered_sgpr, 27
	.set _ZN2at6native12_GLOBAL__N_113renorm_kernelIN3c104HalfEfKlEEvPT_PT1_T0_SA_llllPS5_.num_named_barrier, 0
	.set _ZN2at6native12_GLOBAL__N_113renorm_kernelIN3c104HalfEfKlEEvPT_PT1_T0_SA_llllPS5_.private_seg_size, 0
	.set _ZN2at6native12_GLOBAL__N_113renorm_kernelIN3c104HalfEfKlEEvPT_PT1_T0_SA_llllPS5_.uses_vcc, 1
	.set _ZN2at6native12_GLOBAL__N_113renorm_kernelIN3c104HalfEfKlEEvPT_PT1_T0_SA_llllPS5_.uses_flat_scratch, 0
	.set _ZN2at6native12_GLOBAL__N_113renorm_kernelIN3c104HalfEfKlEEvPT_PT1_T0_SA_llllPS5_.has_dyn_sized_stack, 0
	.set _ZN2at6native12_GLOBAL__N_113renorm_kernelIN3c104HalfEfKlEEvPT_PT1_T0_SA_llllPS5_.has_recursion, 0
	.set _ZN2at6native12_GLOBAL__N_113renorm_kernelIN3c104HalfEfKlEEvPT_PT1_T0_SA_llllPS5_.has_indirect_call, 0
	.section	.AMDGPU.csdata,"",@progbits
; Kernel info:
; codeLenInByte = 4156
; TotalNumSgprs: 29
; NumVgprs: 24
; ScratchSize: 0
; MemoryBound: 0
; FloatMode: 240
; IeeeMode: 1
; LDSByteSize: 0 bytes/workgroup (compile time only)
; SGPRBlocks: 0
; VGPRBlocks: 1
; NumSGPRsForWavesPerEU: 29
; NumVGPRsForWavesPerEU: 24
; NamedBarCnt: 0
; Occupancy: 16
; WaveLimiterHint : 1
; COMPUTE_PGM_RSRC2:SCRATCH_EN: 0
; COMPUTE_PGM_RSRC2:USER_SGPR: 2
; COMPUTE_PGM_RSRC2:TRAP_HANDLER: 0
; COMPUTE_PGM_RSRC2:TGID_X_EN: 1
; COMPUTE_PGM_RSRC2:TGID_Y_EN: 0
; COMPUTE_PGM_RSRC2:TGID_Z_EN: 0
; COMPUTE_PGM_RSRC2:TIDIG_COMP_CNT: 0
	.section	.text._ZN2at6native12_GLOBAL__N_113renorm_kernelIN3c108BFloat16EfKlEEvPT_PT1_T0_SA_llllPS5_,"axG",@progbits,_ZN2at6native12_GLOBAL__N_113renorm_kernelIN3c108BFloat16EfKlEEvPT_PT1_T0_SA_llllPS5_,comdat
	.globl	_ZN2at6native12_GLOBAL__N_113renorm_kernelIN3c108BFloat16EfKlEEvPT_PT1_T0_SA_llllPS5_ ; -- Begin function _ZN2at6native12_GLOBAL__N_113renorm_kernelIN3c108BFloat16EfKlEEvPT_PT1_T0_SA_llllPS5_
	.p2align	8
	.type	_ZN2at6native12_GLOBAL__N_113renorm_kernelIN3c108BFloat16EfKlEEvPT_PT1_T0_SA_llllPS5_,@function
_ZN2at6native12_GLOBAL__N_113renorm_kernelIN3c108BFloat16EfKlEEvPT_PT1_T0_SA_llllPS5_: ; @_ZN2at6native12_GLOBAL__N_113renorm_kernelIN3c108BFloat16EfKlEEvPT_PT1_T0_SA_llllPS5_
; %bb.0:
	s_load_b64 s[2:3], s[0:1], 0x38
	s_getreg_b32 s6, hwreg(HW_REG_IB_STS2, 6, 4)
	s_wait_kmcnt 0x0
	s_load_b64 s[4:5], s[2:3], 0x0
	s_wait_xcnt 0x0
	s_bfe_u32 s2, ttmp6, 0x4000c
	s_and_b32 s3, ttmp6, 15
	s_add_co_i32 s2, s2, 1
	s_delay_alu instid0(SALU_CYCLE_1) | instskip(NEXT) | instid1(SALU_CYCLE_1)
	s_mul_i32 s2, ttmp9, s2
	s_add_co_i32 s2, s3, s2
	s_cmp_eq_u32 s6, 0
	s_mov_b32 s3, 0
	s_cselect_b32 s2, ttmp9, s2
	s_wait_kmcnt 0x0
	v_cmp_le_i64_e64 s4, s[4:5], s[2:3]
	s_and_b32 vcc_lo, exec_lo, s4
	s_cbranch_vccnz .LBB261_27
; %bb.1:
	s_load_b128 s[16:19], s[0:1], 0x0
	s_lshl_b64 s[2:3], s[2:3], 3
	s_wait_kmcnt 0x0
	s_add_nc_u64 s[2:3], s[18:19], s[2:3]
	s_load_b64 s[4:5], s[2:3], 0x0
	s_wait_kmcnt 0x0
	v_cmp_lt_i64_e64 s2, s[4:5], 0
	s_and_b32 vcc_lo, exec_lo, s2
	s_cbranch_vccnz .LBB261_28
; %bb.2:
	s_load_b256 s[8:15], s[0:1], 0x18
	s_get_pc_i64 s[2:3]
	s_add_nc_u64 s[2:3], s[2:3], .str.5@rel64+4
	s_delay_alu instid0(SALU_CYCLE_1) | instskip(SKIP_4) | instid1(SALU_CYCLE_1)
	s_cmp_eq_u64 s[2:3], 0
	s_cselect_b32 s2, -1, 0
	s_wait_kmcnt 0x0
	v_cmp_ge_i64_e64 s6, s[4:5], s[10:11]
	s_or_b32 s18, s6, s2
	s_and_not1_b32 vcc_lo, exec_lo, s18
	s_cbranch_vccz .LBB261_26
; %bb.3:
	s_load_b64 s[10:11], s[0:1], 0x10
	v_mov_b32_e32 v1, 0
	s_mul_u64 s[6:7], s[4:5], s[12:13]
	s_mov_b32 s19, exec_lo
	s_delay_alu instid0(VALU_DEP_1)
	v_cmp_le_i64_e64 s2, s[8:9], v[0:1]
	v_mov_b32_e32 v6, v1
	v_cmpx_gt_i64_e64 s[8:9], v[0:1]
	s_cbranch_execz .LBB261_13
; %bb.4:
	s_load_b32 s3, s[0:1], 0x4c
	s_lshl_b64 s[4:5], s[6:7], 1
	s_wait_kmcnt 0x0
	s_cmp_neq_f32 s11, 1.0
	v_mov_b64_e32 v[4:5], v[0:1]
	s_add_nc_u64 s[12:13], s[16:17], s[4:5]
	s_mov_b32 s23, 0
	s_cselect_b32 s20, -1, 0
	s_cmp_neq_f32 s11, 2.0
	s_mov_b32 s24, 0x3e76c4e1
	s_cselect_b32 s21, -1, 0
	s_and_b32 s22, s3, 0xffff
	s_delay_alu instid0(SALU_CYCLE_1)
	v_dual_mov_b32 v6, 0 :: v_dual_add_nc_u32 v2, s22, v0
	s_branch .LBB261_7
.LBB261_5:                              ;   in Loop: Header=BB261_7 Depth=1
	s_delay_alu instid0(VALU_DEP_1)
	v_and_b32_e32 v4, 0x7fffffff, v3
.LBB261_6:                              ;   in Loop: Header=BB261_7 Depth=1
	s_delay_alu instid0(VALU_DEP_1) | instskip(NEXT) | instid1(VALU_DEP_1)
	v_dual_add_f32 v6, v6, v4 :: v_dual_ashrrev_i32 v3, 31, v2
	v_cmp_le_i64_e32 vcc_lo, s[8:9], v[2:3]
	v_mov_b64_e32 v[4:5], v[2:3]
	v_add_nc_u32_e32 v2, s22, v2
	s_or_b32 s23, vcc_lo, s23
	s_delay_alu instid0(SALU_CYCLE_1)
	s_and_not1_b32 exec_lo, exec_lo, s23
	s_cbranch_execz .LBB261_12
.LBB261_7:                              ; =>This Inner Loop Header: Depth=1
	s_delay_alu instid0(VALU_DEP_2) | instskip(SKIP_1) | instid1(VALU_DEP_1)
	v_mul_u64_e32 v[4:5], s[14:15], v[4:5]
	s_and_b32 vcc_lo, exec_lo, s20
	v_lshl_add_u64 v[4:5], v[4:5], 1, s[12:13]
	global_load_u16 v3, v[4:5], off
	s_wait_loadcnt 0x0
	v_lshlrev_b32_e32 v3, 16, v3
	s_cbranch_vccz .LBB261_5
; %bb.8:                                ;   in Loop: Header=BB261_7 Depth=1
	s_and_b32 vcc_lo, exec_lo, s21
	s_cbranch_vccz .LBB261_10
; %bb.9:                                ;   in Loop: Header=BB261_7 Depth=1
	s_delay_alu instid0(VALU_DEP_1) | instskip(SKIP_1) | instid1(VALU_DEP_1)
	v_cmp_neq_f32_e32 vcc_lo, 1.0, v3
	v_cndmask_b32_e64 v4, 1.0, s11, vcc_lo
	v_cmp_neq_f32_e32 vcc_lo, 0, v4
	v_cmp_neq_f32_e64 s25, v4, |v4|
	v_cndmask_b32_e32 v5, 1.0, v3, vcc_lo
	s_delay_alu instid0(VALU_DEP_1) | instskip(NEXT) | instid1(VALU_DEP_1)
	v_frexp_mant_f32_e64 v7, |v5|
	v_cmp_gt_f32_e32 vcc_lo, 0x3f2aaaab, v7
	v_cndmask_b32_e64 v8, 1.0, 2.0, vcc_lo
	s_delay_alu instid0(VALU_DEP_1) | instskip(SKIP_2) | instid1(VALU_DEP_3)
	v_mul_f32_e32 v7, v7, v8
	v_cmp_lt_f32_e64 s26, |v5|, 1.0
	v_cmp_eq_f32_e64 s5, 0, v5
	v_dual_add_f32 v8, 1.0, v7 :: v_dual_add_f32 v9, -1.0, v7
	s_xor_b32 s25, s25, s26
	s_delay_alu instid0(VALU_DEP_1) | instskip(SKIP_1) | instid1(TRANS32_DEP_1)
	v_rcp_f32_e32 v14, v8
	v_nop
	v_dual_add_f32 v11, -1.0, v8 :: v_dual_mul_f32 v15, v9, v14
	s_delay_alu instid0(VALU_DEP_1) | instskip(NEXT) | instid1(VALU_DEP_2)
	v_mul_f32_e32 v10, v8, v15
	v_sub_f32_e32 v7, v7, v11
	s_delay_alu instid0(VALU_DEP_2) | instskip(NEXT) | instid1(VALU_DEP_1)
	v_fma_f32 v12, v15, v8, -v10
	v_fmac_f32_e32 v12, v15, v7
	s_delay_alu instid0(VALU_DEP_1) | instskip(NEXT) | instid1(VALU_DEP_1)
	v_add_f32_e32 v8, v10, v12
	v_dual_sub_f32 v11, v9, v8 :: v_dual_mov_b32 v13, v8
	s_delay_alu instid0(VALU_DEP_1) | instskip(NEXT) | instid1(VALU_DEP_1)
	v_pk_add_f32 v[8:9], v[8:9], v[10:11] neg_lo:[0,1] neg_hi:[0,1]
	v_pk_add_f32 v[8:9], v[8:9], v[12:13] neg_lo:[0,1] neg_hi:[0,1]
	s_delay_alu instid0(VALU_DEP_1) | instskip(NEXT) | instid1(VALU_DEP_1)
	v_add_f32_e32 v7, v8, v9
	v_add_f32_e32 v7, v11, v7
	s_delay_alu instid0(VALU_DEP_1) | instskip(NEXT) | instid1(VALU_DEP_1)
	v_mul_f32_e32 v7, v14, v7
	v_add_f32_e32 v8, v15, v7
	s_delay_alu instid0(VALU_DEP_1) | instskip(NEXT) | instid1(VALU_DEP_1)
	v_dual_sub_f32 v9, v8, v15 :: v_dual_mul_f32 v11, v8, v8
	v_dual_sub_f32 v7, v7, v9 :: v_dual_fma_f32 v9, v8, v8, -v11
	s_delay_alu instid0(VALU_DEP_1) | instskip(NEXT) | instid1(VALU_DEP_1)
	v_add_f32_e32 v10, v7, v7
	v_fmac_f32_e32 v9, v8, v10
	s_delay_alu instid0(VALU_DEP_1) | instskip(NEXT) | instid1(VALU_DEP_1)
	v_add_f32_e32 v10, v11, v9
	v_sub_f32_e32 v11, v10, v11
	s_delay_alu instid0(VALU_DEP_1) | instskip(SKIP_1) | instid1(VALU_DEP_1)
	v_sub_f32_e32 v18, v9, v11
	v_fmaak_f32 v12, s24, v10, 0x3e91f4c4
	v_fmaak_f32 v14, v10, v12, 0x3ecccdef
	v_cvt_f64_f32_e64 v[12:13], |v5|
	s_delay_alu instid0(VALU_DEP_2) | instskip(NEXT) | instid1(VALU_DEP_1)
	v_mul_f32_e32 v15, v10, v14
	v_fma_f32 v9, v10, v14, -v15
	s_delay_alu instid0(VALU_DEP_1) | instskip(NEXT) | instid1(VALU_DEP_1)
	v_fmac_f32_e32 v9, v18, v14
	v_add_f32_e32 v11, v15, v9
	s_delay_alu instid0(VALU_DEP_1) | instskip(SKIP_1) | instid1(VALU_DEP_1)
	v_sub_f32_e32 v14, v11, v15
	v_add_f32_e32 v15, 0x3f2aaaaa, v11
	v_dual_sub_f32 v9, v9, v14 :: v_dual_add_f32 v14, 0xbf2aaaaa, v15
	v_frexp_exp_i32_f64_e32 v19, v[12:13]
	s_delay_alu instid0(VALU_DEP_2) | instskip(NEXT) | instid1(VALU_DEP_3)
	v_add_f32_e32 v9, 0x31739010, v9
	v_sub_f32_e32 v11, v11, v14
	s_delay_alu instid0(VALU_DEP_1) | instskip(NEXT) | instid1(VALU_DEP_1)
	v_pk_mul_f32 v[12:13], v[8:9], v[10:11]
	v_fma_f32 v14, v10, v8, -v12
	v_pk_add_f32 v[16:17], v[8:9], v[10:11]
	s_delay_alu instid0(VALU_DEP_1) | instskip(SKIP_1) | instid1(VALU_DEP_2)
	v_dual_fmac_f32 v14, v10, v7 :: v_dual_mov_b32 v13, v17
	v_ldexp_f32 v7, v7, 1
	v_fmac_f32_e32 v14, v18, v8
	s_delay_alu instid0(VALU_DEP_1) | instskip(SKIP_1) | instid1(VALU_DEP_2)
	v_pk_add_f32 v[10:11], v[12:13], v[14:15]
	v_subrev_co_ci_u32_e64 v9, null, 0, v19, vcc_lo
	v_mov_b32_e32 v16, v11
	s_delay_alu instid0(VALU_DEP_3) | instskip(NEXT) | instid1(VALU_DEP_3)
	v_dual_sub_f32 v13, v15, v11 :: v_dual_sub_f32 v15, v10, v12
	v_cvt_f32_i32_e32 v9, v9
	s_delay_alu instid0(VALU_DEP_3) | instskip(NEXT) | instid1(VALU_DEP_3)
	v_pk_mul_f32 v[18:19], v[10:11], v[16:17]
	v_sub_f32_e32 v14, v14, v15
	s_delay_alu instid0(VALU_DEP_2) | instskip(NEXT) | instid1(VALU_DEP_1)
	v_dual_fma_f32 v12, v10, v11, -v18 :: v_dual_add_f32 v13, v17, v13
	v_fmac_f32_e32 v12, v10, v13
	s_delay_alu instid0(VALU_DEP_1) | instskip(SKIP_2) | instid1(VALU_DEP_3)
	v_fmac_f32_e32 v12, v14, v11
	v_mul_f32_e32 v16, 0x3f317218, v9
	v_ldexp_f32 v11, v8, 1
	v_add_f32_e32 v17, v18, v12
	s_delay_alu instid0(VALU_DEP_3) | instskip(NEXT) | instid1(VALU_DEP_2)
	v_fma_f32 v10, 0x3f317218, v9, -v16
	v_dual_mov_b32 v19, v11 :: v_dual_mov_b32 v14, v17
	s_delay_alu instid0(VALU_DEP_2) | instskip(NEXT) | instid1(VALU_DEP_1)
	v_dual_fmac_f32 v10, 0xb102e308, v9 :: v_dual_mov_b32 v13, v17
	v_pk_add_f32 v[8:9], v[16:17], v[10:11]
	s_delay_alu instid0(VALU_DEP_1) | instskip(NEXT) | instid1(VALU_DEP_1)
	v_dual_mov_b32 v15, v9 :: v_dual_mov_b32 v11, v8
	v_pk_add_f32 v[14:15], v[14:15], v[18:19] neg_lo:[0,1] neg_hi:[0,1]
	s_delay_alu instid0(VALU_DEP_1) | instskip(NEXT) | instid1(VALU_DEP_1)
	v_pk_add_f32 v[12:13], v[12:13], v[14:15] neg_lo:[0,1] neg_hi:[0,1]
	v_add_f32_e32 v7, v7, v12
	s_delay_alu instid0(VALU_DEP_1) | instskip(NEXT) | instid1(VALU_DEP_1)
	v_add_f32_e32 v17, v7, v13
	v_pk_add_f32 v[12:13], v[8:9], v[16:17]
	v_pk_add_f32 v[14:15], v[8:9], v[16:17] neg_lo:[0,1] neg_hi:[0,1]
	s_delay_alu instid0(VALU_DEP_2) | instskip(NEXT) | instid1(VALU_DEP_1)
	v_dual_mov_b32 v22, v9 :: v_dual_mov_b32 v15, v13
	v_pk_add_f32 v[18:19], v[10:11], v[14:15]
	s_delay_alu instid0(VALU_DEP_1) | instskip(SKIP_1) | instid1(VALU_DEP_2)
	v_dual_mov_b32 v18, v13 :: v_dual_mov_b32 v16, v19
	v_pk_add_f32 v[10:11], v[10:11], v[14:15] neg_lo:[0,1] neg_hi:[0,1]
	v_pk_add_f32 v[20:21], v[16:17], v[8:9] neg_lo:[0,1] neg_hi:[0,1]
	v_dual_mov_b32 v9, v8 :: v_dual_mov_b32 v8, v17
	s_delay_alu instid0(VALU_DEP_2) | instskip(NEXT) | instid1(VALU_DEP_1)
	v_dual_mov_b32 v7, v20 :: v_dual_mov_b32 v23, v20
	v_pk_add_f32 v[12:13], v[12:13], v[6:7] neg_lo:[0,1] neg_hi:[0,1]
	s_delay_alu instid0(VALU_DEP_2) | instskip(SKIP_1) | instid1(VALU_DEP_2)
	v_pk_add_f32 v[14:15], v[18:19], v[22:23] neg_lo:[0,1] neg_hi:[0,1]
	v_mov_b32_e32 v12, v10
	v_pk_add_f32 v[8:9], v[8:9], v[14:15] neg_lo:[0,1] neg_hi:[0,1]
	s_delay_alu instid0(VALU_DEP_1) | instskip(NEXT) | instid1(VALU_DEP_1)
	v_pk_add_f32 v[12:13], v[12:13], v[8:9]
	v_mov_b32_e32 v14, v13
	s_delay_alu instid0(VALU_DEP_1) | instskip(NEXT) | instid1(VALU_DEP_1)
	v_pk_add_f32 v[14:15], v[12:13], v[14:15]
	v_pk_add_f32 v[16:17], v[16:17], v[14:15]
	s_delay_alu instid0(VALU_DEP_1) | instskip(NEXT) | instid1(VALU_DEP_1)
	v_dual_mov_b32 v11, v19 :: v_dual_mov_b32 v13, v16
	v_pk_add_f32 v[18:19], v[12:13], v[10:11] neg_lo:[0,1] neg_hi:[0,1]
	s_delay_alu instid0(VALU_DEP_1) | instskip(NEXT) | instid1(VALU_DEP_1)
	v_dual_mov_b32 v9, v14 :: v_dual_sub_f32 v7, v12, v18
	v_pk_add_f32 v[8:9], v[8:9], v[18:19] neg_lo:[0,1] neg_hi:[0,1]
	s_delay_alu instid0(VALU_DEP_2) | instskip(NEXT) | instid1(VALU_DEP_1)
	v_sub_f32_e32 v7, v10, v7
	v_add_f32_e32 v7, v8, v7
	s_delay_alu instid0(VALU_DEP_1) | instskip(NEXT) | instid1(VALU_DEP_1)
	v_add_f32_e32 v7, v7, v9
	v_add_f32_e32 v8, v16, v7
	s_delay_alu instid0(VALU_DEP_1) | instskip(NEXT) | instid1(VALU_DEP_1)
	v_sub_f32_e32 v9, v8, v16
	v_dual_mul_f32 v10, v4, v8 :: v_dual_sub_f32 v7, v7, v9
	s_delay_alu instid0(VALU_DEP_1) | instskip(SKIP_1) | instid1(VALU_DEP_1)
	v_cmp_class_f32_e64 vcc_lo, v10, 0x204
	v_fma_f32 v8, v4, v8, -v10
	v_fmac_f32_e32 v8, v4, v7
	s_delay_alu instid0(VALU_DEP_1) | instskip(NEXT) | instid1(VALU_DEP_1)
	v_add_f32_e32 v7, v10, v8
	v_cndmask_b32_e32 v9, v7, v10, vcc_lo
	s_delay_alu instid0(VALU_DEP_1) | instskip(SKIP_2) | instid1(VALU_DEP_2)
	v_cmp_eq_f32_e32 vcc_lo, 0x42b17218, v9
	v_cndmask_b32_e64 v11, 0, 0x37000000, vcc_lo
	v_cmp_neq_f32_e64 vcc_lo, 0x7f800000, |v9|
	v_sub_f32_e32 v12, v9, v11
	v_trunc_f32_e32 v9, v4
	v_sub_f32_e32 v7, v7, v10
	s_delay_alu instid0(VALU_DEP_3) | instskip(NEXT) | instid1(VALU_DEP_2)
	v_mul_f32_e32 v13, 0x3fb8aa3b, v12
	v_sub_f32_e32 v7, v8, v7
	s_delay_alu instid0(VALU_DEP_2) | instskip(SKIP_1) | instid1(VALU_DEP_3)
	v_fma_f32 v14, 0x3fb8aa3b, v12, -v13
	v_rndne_f32_e32 v15, v13
	v_cndmask_b32_e32 v7, 0, v7, vcc_lo
	v_cmp_ngt_f32_e32 vcc_lo, 0xc2ce8ed0, v12
	s_delay_alu instid0(VALU_DEP_3) | instskip(NEXT) | instid1(VALU_DEP_1)
	v_dual_fmac_f32 v14, 0x32a5705f, v12 :: v_dual_sub_f32 v13, v13, v15
	v_dual_add_f32 v7, v11, v7 :: v_dual_add_f32 v13, v13, v14
	s_delay_alu instid0(VALU_DEP_1)
	v_exp_f32_e32 v10, v13
	v_nop
	v_cvt_i32_f32_e32 v13, v15
	s_delay_alu instid0(TRANS32_DEP_1) | instid1(VALU_DEP_1)
	v_ldexp_f32 v8, v10, v13
	v_mul_f32_e32 v10, 0.5, v4
	s_delay_alu instid0(VALU_DEP_2) | instskip(NEXT) | instid1(VALU_DEP_2)
	v_cndmask_b32_e32 v8, 0, v8, vcc_lo
	v_trunc_f32_e32 v13, v10
	v_cmp_nlt_f32_e32 vcc_lo, 0x42b17218, v12
	s_delay_alu instid0(VALU_DEP_2) | instskip(NEXT) | instid1(VALU_DEP_4)
	v_cmp_neq_f32_e64 s3, v13, v10
	v_cndmask_b32_e32 v8, 0x7f800000, v8, vcc_lo
	v_cmp_eq_f32_e32 vcc_lo, v9, v4
	s_delay_alu instid0(VALU_DEP_2) | instskip(SKIP_1) | instid1(SALU_CYCLE_1)
	v_cmp_class_f32_e64 s4, v8, 0x204
	s_and_b32 s3, vcc_lo, s3
	v_dual_fma_f32 v7, v8, v7, v8 :: v_dual_cndmask_b32 v9, 1.0, v5, s3
	s_delay_alu instid0(VALU_DEP_1) | instskip(SKIP_2) | instid1(VALU_DEP_3)
	v_cndmask_b32_e64 v7, v7, v8, s4
	v_cndmask_b32_e64 v8, 0x7f800000, 0, s25
	v_cmp_gt_f32_e64 s4, 0, v4
	v_bfi_b32 v7, 0x7fffffff, v7, v9
	s_xor_b32 s4, s4, s5
	s_delay_alu instid0(SALU_CYCLE_1) | instskip(NEXT) | instid1(VALU_DEP_2)
	v_cndmask_b32_e64 v10, 0x7f800000, 0, s4
	v_cndmask_b32_e32 v9, 0x7fc00000, v7, vcc_lo
	v_cmp_neq_f32_e64 vcc_lo, |v5|, 1.0
	v_cndmask_b32_e32 v8, 1.0, v8, vcc_lo
	v_cmp_gt_f32_e32 vcc_lo, 0, v5
	s_delay_alu instid0(VALU_DEP_4) | instskip(SKIP_3) | instid1(VALU_DEP_4)
	v_cndmask_b32_e32 v7, v7, v9, vcc_lo
	v_cmp_class_f32_e64 vcc_lo, v4, 0x204
	v_cndmask_b32_e64 v9, 0, v5, s3
	v_cmp_class_f32_e64 s3, v5, 0x204
	v_cndmask_b32_e32 v7, v7, v8, vcc_lo
	s_delay_alu instid0(VALU_DEP_3) | instskip(SKIP_1) | instid1(VALU_DEP_1)
	v_bfi_b32 v8, 0x7fffffff, v10, v9
	s_or_b32 vcc_lo, s5, s3
	v_cndmask_b32_e32 v7, v7, v8, vcc_lo
	v_cmp_o_f32_e32 vcc_lo, v5, v4
	s_delay_alu instid0(VALU_DEP_2)
	v_cndmask_b32_e32 v4, 0x7fc00000, v7, vcc_lo
	s_cbranch_execnz .LBB261_6
	s_branch .LBB261_11
.LBB261_10:                             ;   in Loop: Header=BB261_7 Depth=1
                                        ; implicit-def: $vgpr4
.LBB261_11:                             ;   in Loop: Header=BB261_7 Depth=1
	s_delay_alu instid0(VALU_DEP_1)
	v_mul_f32_e32 v4, v3, v3
	s_branch .LBB261_6
.LBB261_12:
	s_or_b32 exec_lo, exec_lo, s23
.LBB261_13:
	s_delay_alu instid0(SALU_CYCLE_1)
	s_or_b32 exec_lo, exec_lo, s19
; %bb.14:
	v_mbcnt_lo_u32_b32 v7, -1, 0
	s_mov_b32 s3, exec_lo
	s_barrier_signal -1
	s_barrier_wait -1
	s_delay_alu instid0(VALU_DEP_1) | instskip(SKIP_4) | instid1(VALU_DEP_2)
	v_lshl_or_b32 v2, v7, 2, 64
	v_cmp_gt_u32_e32 vcc_lo, 24, v7
	ds_bpermute_b32 v4, v2, v6
	v_cndmask_b32_e64 v3, 0, 8, vcc_lo
	v_cmp_gt_u32_e32 vcc_lo, 28, v7
	v_add_lshl_u32 v3, v3, v7, 2
	s_wait_dscnt 0x0
	v_add_f32_e32 v5, v6, v4
	v_cndmask_b32_e64 v4, 0, 4, vcc_lo
	v_cmp_gt_u32_e32 vcc_lo, 30, v7
	ds_bpermute_b32 v6, v3, v5
	v_add_lshl_u32 v4, v4, v7, 2
	s_wait_dscnt 0x0
	v_add_f32_e32 v6, v5, v6
	v_cndmask_b32_e64 v5, 0, 2, vcc_lo
	v_cmp_ne_u32_e32 vcc_lo, 31, v7
	ds_bpermute_b32 v8, v4, v6
	v_add_lshl_u32 v5, v5, v7, 2
	v_add_co_ci_u32_e64 v9, null, 0, v7, vcc_lo
	s_wait_dscnt 0x0
	v_add_f32_e32 v6, v6, v8
	ds_bpermute_b32 v8, v5, v6
	s_wait_dscnt 0x0
	v_dual_add_f32 v7, v6, v8 :: v_dual_lshlrev_b32 v6, 2, v9
	v_and_b32_e32 v8, 31, v0
	ds_bpermute_b32 v9, v6, v7
	v_cmpx_eq_u32_e32 0, v8
	s_cbranch_execz .LBB261_16
; %bb.15:
	s_wait_dscnt 0x0
	v_dual_add_f32 v7, v7, v9 :: v_dual_lshrrev_b32 v10, 3, v0
	s_delay_alu instid0(VALU_DEP_1)
	v_add_nc_u32_e32 v9, 0, v10
	ds_store_b32 v9, v7
.LBB261_16:
	s_or_b32 exec_lo, exec_lo, s3
	s_wait_dscnt 0x0
	s_barrier_signal -1
	s_barrier_wait -1
	s_load_b32 s4, s[0:1], 0x4c
	v_mov_b32_e32 v7, 0
	s_wait_kmcnt 0x0
	s_bfe_u32 s0, s4, 0xb0005
	s_delay_alu instid0(SALU_CYCLE_1)
	v_cmp_gt_u32_e32 vcc_lo, s0, v0
	s_and_saveexec_b32 s0, vcc_lo
; %bb.17:
	v_lshl_add_u32 v7, v8, 2, 0
	ds_load_b32 v7, v7
; %bb.18:
	s_or_b32 exec_lo, exec_lo, s0
	s_delay_alu instid0(SALU_CYCLE_1)
	s_mov_b32 s0, exec_lo
	v_cmpx_gt_u32_e32 32, v0
	s_cbranch_execz .LBB261_20
; %bb.19:
	s_wait_dscnt 0x0
	ds_bpermute_b32 v2, v2, v7
	s_wait_dscnt 0x0
	v_add_f32_e32 v2, v7, v2
	ds_bpermute_b32 v3, v3, v2
	s_wait_dscnt 0x0
	v_add_f32_e32 v2, v2, v3
	;; [unrolled: 3-line block ×5, first 2 shown]
.LBB261_20:
	s_or_b32 exec_lo, exec_lo, s0
	s_delay_alu instid0(SALU_CYCLE_1)
	s_mov_b32 s5, exec_lo
	v_cmpx_eq_u32_e32 0, v0
	s_cbranch_execz .LBB261_22
; %bb.21:
	v_div_scale_f32 v2, null, s11, s11, 1.0
	v_div_scale_f32 v5, vcc_lo, 1.0, s11, 1.0
	s_mov_b32 s0, 0x3e76c4e1
	v_rcp_f32_e32 v3, v2
	v_nop
	v_xor_b32_e32 v2, 0x80000000, v2
	s_delay_alu instid0(TRANS32_DEP_1) | instid1(VALU_DEP_1)
	v_fma_f32 v4, v2, v3, 1.0
	s_delay_alu instid0(VALU_DEP_1) | instskip(NEXT) | instid1(VALU_DEP_1)
	v_fmac_f32_e32 v3, v4, v3
	v_mul_f32_e32 v4, v5, v3
	s_delay_alu instid0(VALU_DEP_1) | instskip(NEXT) | instid1(VALU_DEP_1)
	v_fma_f32 v6, v2, v4, v5
	v_fmac_f32_e32 v4, v6, v3
	s_delay_alu instid0(VALU_DEP_1) | instskip(NEXT) | instid1(VALU_DEP_1)
	v_fmac_f32_e32 v5, v2, v4
	v_div_fmas_f32 v2, v5, v3, v4
	s_wait_dscnt 0x0
	v_cmp_neq_f32_e32 vcc_lo, 1.0, v7
	s_delay_alu instid0(VALU_DEP_2) | instskip(NEXT) | instid1(VALU_DEP_1)
	v_div_fixup_f32 v2, v2, s11, 1.0
	v_cndmask_b32_e32 v2, 1.0, v2, vcc_lo
	s_delay_alu instid0(VALU_DEP_1) | instskip(SKIP_2) | instid1(VALU_DEP_1)
	v_cmp_neq_f32_e32 vcc_lo, 0, v2
	v_cmp_neq_f32_e64 s11, v2, |v2|
	v_cndmask_b32_e32 v3, 1.0, v7, vcc_lo
	v_frexp_mant_f32_e64 v4, |v3|
	v_cmp_lt_f32_e64 s12, |v3|, 1.0
	v_cmp_eq_f32_e64 s3, 0, v3
	s_delay_alu instid0(VALU_DEP_3) | instskip(SKIP_2) | instid1(VALU_DEP_1)
	v_cmp_gt_f32_e32 vcc_lo, 0x3f2aaaab, v4
	s_xor_b32 s11, s11, s12
	v_cndmask_b32_e64 v5, 1.0, 2.0, vcc_lo
	v_mul_f32_e32 v4, v4, v5
	s_delay_alu instid0(VALU_DEP_1) | instskip(NEXT) | instid1(VALU_DEP_1)
	v_add_f32_e32 v7, 1.0, v4
	v_dual_add_f32 v8, -1.0, v7 :: v_dual_add_f32 v5, -1.0, v4
	v_rcp_f32_e32 v10, v7
	v_nop
	s_delay_alu instid0(TRANS32_DEP_1) | instskip(NEXT) | instid1(VALU_DEP_1)
	v_dual_sub_f32 v4, v4, v8 :: v_dual_mul_f32 v11, v5, v10
	v_mul_f32_e32 v6, v7, v11
	s_delay_alu instid0(VALU_DEP_1) | instskip(NEXT) | instid1(VALU_DEP_1)
	v_fma_f32 v8, v11, v7, -v6
	v_fmac_f32_e32 v8, v11, v4
	s_delay_alu instid0(VALU_DEP_1) | instskip(NEXT) | instid1(VALU_DEP_1)
	v_add_f32_e32 v4, v6, v8
	v_dual_sub_f32 v7, v5, v4 :: v_dual_mov_b32 v9, v4
	s_delay_alu instid0(VALU_DEP_1) | instskip(NEXT) | instid1(VALU_DEP_1)
	v_pk_add_f32 v[4:5], v[4:5], v[6:7] neg_lo:[0,1] neg_hi:[0,1]
	v_pk_add_f32 v[4:5], v[4:5], v[8:9] neg_lo:[0,1] neg_hi:[0,1]
	s_delay_alu instid0(VALU_DEP_1) | instskip(NEXT) | instid1(VALU_DEP_1)
	v_add_f32_e32 v4, v4, v5
	v_add_f32_e32 v4, v7, v4
	s_delay_alu instid0(VALU_DEP_1) | instskip(NEXT) | instid1(VALU_DEP_1)
	v_mul_f32_e32 v5, v10, v4
	v_add_f32_e32 v4, v11, v5
	s_delay_alu instid0(VALU_DEP_1) | instskip(NEXT) | instid1(VALU_DEP_1)
	v_sub_f32_e32 v6, v4, v11
	v_sub_f32_e32 v16, v5, v6
	s_delay_alu instid0(VALU_DEP_1) | instskip(SKIP_1) | instid1(VALU_DEP_1)
	v_add_f32_e32 v6, v16, v16
	v_mul_f32_e32 v7, v4, v4
	v_fma_f32 v5, v4, v4, -v7
	s_delay_alu instid0(VALU_DEP_1) | instskip(NEXT) | instid1(VALU_DEP_1)
	v_fmac_f32_e32 v5, v4, v6
	v_add_f32_e32 v6, v7, v5
	s_delay_alu instid0(VALU_DEP_1) | instskip(NEXT) | instid1(VALU_DEP_1)
	v_dual_fmaak_f32 v8, s0, v6, 0x3e91f4c4 :: v_dual_sub_f32 v7, v6, v7
	v_fmaak_f32 v10, v6, v8, 0x3ecccdef
	v_cvt_f64_f32_e64 v[8:9], |v3|
	s_delay_alu instid0(VALU_DEP_2) | instskip(NEXT) | instid1(VALU_DEP_1)
	v_dual_mul_f32 v11, v6, v10 :: v_dual_sub_f32 v14, v5, v7
	v_fma_f32 v5, v6, v10, -v11
	s_delay_alu instid0(VALU_DEP_1) | instskip(NEXT) | instid1(VALU_DEP_1)
	v_fmac_f32_e32 v5, v14, v10
	v_add_f32_e32 v7, v11, v5
	s_delay_alu instid0(VALU_DEP_1) | instskip(SKIP_1) | instid1(VALU_DEP_1)
	v_sub_f32_e32 v10, v7, v11
	v_add_f32_e32 v11, 0x3f2aaaaa, v7
	v_dual_sub_f32 v5, v5, v10 :: v_dual_add_f32 v10, 0xbf2aaaaa, v11
	v_frexp_exp_i32_f64_e32 v15, v[8:9]
	s_delay_alu instid0(VALU_DEP_2) | instskip(NEXT) | instid1(VALU_DEP_3)
	v_add_f32_e32 v5, 0x31739010, v5
	v_sub_f32_e32 v7, v7, v10
	s_delay_alu instid0(VALU_DEP_1) | instskip(NEXT) | instid1(VALU_DEP_1)
	v_pk_mul_f32 v[8:9], v[4:5], v[6:7]
	v_fma_f32 v10, v6, v4, -v8
	s_delay_alu instid0(VALU_DEP_1) | instskip(NEXT) | instid1(VALU_DEP_1)
	v_fmac_f32_e32 v10, v6, v16
	v_fmac_f32_e32 v10, v14, v4
	v_pk_add_f32 v[12:13], v[4:5], v[6:7]
	s_delay_alu instid0(VALU_DEP_1) | instskip(SKIP_1) | instid1(VALU_DEP_2)
	v_mov_b32_e32 v9, v13
	v_subrev_co_ci_u32_e64 v5, null, 0, v15, vcc_lo
	v_pk_add_f32 v[6:7], v[8:9], v[10:11]
	s_delay_alu instid0(VALU_DEP_2) | instskip(NEXT) | instid1(VALU_DEP_2)
	v_cvt_f32_i32_e32 v5, v5
	v_mov_b32_e32 v12, v7
	s_delay_alu instid0(VALU_DEP_3) | instskip(NEXT) | instid1(VALU_DEP_2)
	v_dual_sub_f32 v9, v11, v7 :: v_dual_sub_f32 v11, v6, v8
	v_pk_mul_f32 v[14:15], v[6:7], v[12:13]
	s_delay_alu instid0(VALU_DEP_2) | instskip(NEXT) | instid1(VALU_DEP_2)
	v_sub_f32_e32 v10, v10, v11
	v_dual_fma_f32 v8, v6, v7, -v14 :: v_dual_add_f32 v9, v13, v9
	s_delay_alu instid0(VALU_DEP_1) | instskip(NEXT) | instid1(VALU_DEP_1)
	v_fmac_f32_e32 v8, v6, v9
	v_fmac_f32_e32 v8, v10, v7
	v_mul_f32_e32 v12, 0x3f317218, v5
	v_ldexp_f32 v7, v4, 1
	s_delay_alu instid0(VALU_DEP_3) | instskip(NEXT) | instid1(VALU_DEP_3)
	v_add_f32_e32 v13, v14, v8
	v_fma_f32 v6, 0x3f317218, v5, -v12
	s_delay_alu instid0(VALU_DEP_2) | instskip(NEXT) | instid1(VALU_DEP_2)
	v_dual_mov_b32 v15, v7 :: v_dual_mov_b32 v10, v13
	v_fmamk_f32 v6, v5, 0xb102e308, v6
	s_delay_alu instid0(VALU_DEP_1) | instskip(SKIP_1) | instid1(VALU_DEP_2)
	v_pk_add_f32 v[4:5], v[12:13], v[6:7]
	v_ldexp_f32 v7, v16, 1
	v_dual_mov_b32 v9, v13 :: v_dual_mov_b32 v11, v5
	s_delay_alu instid0(VALU_DEP_1) | instskip(NEXT) | instid1(VALU_DEP_1)
	v_pk_add_f32 v[10:11], v[10:11], v[14:15] neg_lo:[0,1] neg_hi:[0,1]
	v_pk_add_f32 v[8:9], v[8:9], v[10:11] neg_lo:[0,1] neg_hi:[0,1]
	s_delay_alu instid0(VALU_DEP_1) | instskip(NEXT) | instid1(VALU_DEP_1)
	v_add_f32_e32 v7, v7, v8
	v_dual_add_f32 v13, v7, v9 :: v_dual_mov_b32 v7, v4
	s_delay_alu instid0(VALU_DEP_1) | instskip(SKIP_1) | instid1(VALU_DEP_2)
	v_pk_add_f32 v[8:9], v[4:5], v[12:13]
	v_pk_add_f32 v[10:11], v[4:5], v[12:13] neg_lo:[0,1] neg_hi:[0,1]
	v_dual_mov_b32 v18, v5 :: v_dual_mov_b32 v11, v9
	s_delay_alu instid0(VALU_DEP_1) | instskip(NEXT) | instid1(VALU_DEP_1)
	v_pk_add_f32 v[14:15], v[6:7], v[10:11]
	v_dual_mov_b32 v14, v9 :: v_dual_mov_b32 v12, v15
	v_pk_add_f32 v[6:7], v[6:7], v[10:11] neg_lo:[0,1] neg_hi:[0,1]
	s_delay_alu instid0(VALU_DEP_2) | instskip(SKIP_1) | instid1(VALU_DEP_2)
	v_pk_add_f32 v[16:17], v[12:13], v[4:5] neg_lo:[0,1] neg_hi:[0,1]
	v_dual_mov_b32 v5, v4 :: v_dual_mov_b32 v4, v13
	v_dual_mov_b32 v13, v16 :: v_dual_mov_b32 v19, v16
	s_delay_alu instid0(VALU_DEP_1) | instskip(NEXT) | instid1(VALU_DEP_2)
	v_pk_add_f32 v[8:9], v[8:9], v[12:13] neg_lo:[0,1] neg_hi:[0,1]
	v_pk_add_f32 v[10:11], v[14:15], v[18:19] neg_lo:[0,1] neg_hi:[0,1]
	v_mov_b32_e32 v8, v6
	s_delay_alu instid0(VALU_DEP_2) | instskip(NEXT) | instid1(VALU_DEP_1)
	v_pk_add_f32 v[4:5], v[4:5], v[10:11] neg_lo:[0,1] neg_hi:[0,1]
	v_pk_add_f32 v[8:9], v[8:9], v[4:5]
	s_delay_alu instid0(VALU_DEP_1) | instskip(NEXT) | instid1(VALU_DEP_1)
	v_mov_b32_e32 v10, v9
	v_pk_add_f32 v[10:11], v[8:9], v[10:11]
	s_delay_alu instid0(VALU_DEP_1) | instskip(NEXT) | instid1(VALU_DEP_1)
	v_pk_add_f32 v[12:13], v[12:13], v[10:11]
	v_dual_mov_b32 v7, v15 :: v_dual_mov_b32 v9, v12
	s_delay_alu instid0(VALU_DEP_1) | instskip(NEXT) | instid1(VALU_DEP_1)
	v_pk_add_f32 v[14:15], v[8:9], v[6:7] neg_lo:[0,1] neg_hi:[0,1]
	v_dual_mov_b32 v5, v10 :: v_dual_sub_f32 v7, v8, v14
	s_delay_alu instid0(VALU_DEP_1) | instskip(NEXT) | instid1(VALU_DEP_2)
	v_pk_add_f32 v[4:5], v[4:5], v[14:15] neg_lo:[0,1] neg_hi:[0,1]
	v_sub_f32_e32 v6, v6, v7
	s_delay_alu instid0(VALU_DEP_1) | instskip(NEXT) | instid1(VALU_DEP_1)
	v_add_f32_e32 v4, v4, v6
	v_add_f32_e32 v4, v4, v5
	s_delay_alu instid0(VALU_DEP_1) | instskip(NEXT) | instid1(VALU_DEP_1)
	v_add_f32_e32 v5, v12, v4
	v_dual_sub_f32 v6, v5, v12 :: v_dual_mul_f32 v7, v2, v5
	s_delay_alu instid0(VALU_DEP_1) | instskip(NEXT) | instid1(VALU_DEP_2)
	v_sub_f32_e32 v4, v4, v6
	v_cmp_class_f32_e64 vcc_lo, v7, 0x204
	v_fma_f32 v5, v2, v5, -v7
	s_delay_alu instid0(VALU_DEP_1) | instskip(NEXT) | instid1(VALU_DEP_1)
	v_fmac_f32_e32 v5, v2, v4
	v_add_f32_e32 v4, v7, v5
	s_delay_alu instid0(VALU_DEP_1) | instskip(NEXT) | instid1(VALU_DEP_1)
	v_cndmask_b32_e32 v6, v4, v7, vcc_lo
	v_cmp_eq_f32_e32 vcc_lo, 0x42b17218, v6
	v_cndmask_b32_e64 v8, 0, 0x37000000, vcc_lo
	v_cmp_neq_f32_e64 vcc_lo, 0x7f800000, |v6|
	s_delay_alu instid0(VALU_DEP_2) | instskip(SKIP_1) | instid1(VALU_DEP_2)
	v_dual_sub_f32 v9, v6, v8 :: v_dual_sub_f32 v4, v4, v7
	v_trunc_f32_e32 v6, v2
	v_mul_f32_e32 v10, 0x3fb8aa3b, v9
	s_delay_alu instid0(VALU_DEP_3) | instskip(NEXT) | instid1(VALU_DEP_2)
	v_sub_f32_e32 v4, v5, v4
	v_fma_f32 v11, 0x3fb8aa3b, v9, -v10
	v_rndne_f32_e32 v12, v10
	s_delay_alu instid0(VALU_DEP_3) | instskip(SKIP_1) | instid1(VALU_DEP_3)
	v_cndmask_b32_e32 v4, 0, v4, vcc_lo
	v_cmp_ngt_f32_e32 vcc_lo, 0xc2ce8ed0, v9
	v_dual_fmamk_f32 v11, v9, 0x32a5705f, v11 :: v_dual_sub_f32 v10, v10, v12
	s_delay_alu instid0(VALU_DEP_1) | instskip(NEXT) | instid1(VALU_DEP_1)
	v_dual_add_f32 v4, v8, v4 :: v_dual_add_f32 v10, v10, v11
	v_exp_f32_e32 v7, v10
	v_nop
	v_cvt_i32_f32_e32 v10, v12
	s_delay_alu instid0(TRANS32_DEP_1) | instid1(VALU_DEP_1)
	v_ldexp_f32 v5, v7, v10
	s_delay_alu instid0(VALU_DEP_1) | instskip(NEXT) | instid1(VALU_DEP_1)
	v_dual_mul_f32 v7, 0.5, v2 :: v_dual_cndmask_b32 v5, 0, v5, vcc_lo
	v_trunc_f32_e32 v10, v7
	v_cmp_nlt_f32_e32 vcc_lo, 0x42b17218, v9
	s_delay_alu instid0(VALU_DEP_2) | instskip(NEXT) | instid1(VALU_DEP_4)
	v_cmp_neq_f32_e64 s0, v10, v7
	v_cndmask_b32_e32 v5, 0x7f800000, v5, vcc_lo
	v_cmp_eq_f32_e32 vcc_lo, v6, v2
	s_delay_alu instid0(VALU_DEP_2) | instskip(SKIP_1) | instid1(SALU_CYCLE_1)
	v_cmp_class_f32_e64 s1, v5, 0x204
	s_and_b32 s0, vcc_lo, s0
	v_dual_fma_f32 v4, v5, v4, v5 :: v_dual_cndmask_b32 v6, 1.0, v3, s0
	s_delay_alu instid0(VALU_DEP_1) | instskip(SKIP_2) | instid1(VALU_DEP_3)
	v_cndmask_b32_e64 v4, v4, v5, s1
	v_cndmask_b32_e64 v5, 0x7f800000, 0, s11
	v_cmp_gt_f32_e64 s1, 0, v2
	v_bfi_b32 v4, 0x7fffffff, v4, v6
	s_xor_b32 s1, s1, s3
	s_delay_alu instid0(SALU_CYCLE_1) | instskip(NEXT) | instid1(VALU_DEP_2)
	v_cndmask_b32_e64 v6, 0x7f800000, 0, s1
	v_cndmask_b32_e32 v7, 0x7fc00000, v4, vcc_lo
	v_cmp_neq_f32_e64 vcc_lo, |v3|, 1.0
	v_cndmask_b32_e32 v5, 1.0, v5, vcc_lo
	v_cmp_gt_f32_e32 vcc_lo, 0, v3
	s_delay_alu instid0(VALU_DEP_4) | instskip(SKIP_3) | instid1(VALU_DEP_4)
	v_cndmask_b32_e32 v4, v4, v7, vcc_lo
	v_cmp_class_f32_e64 vcc_lo, v2, 0x204
	v_cndmask_b32_e64 v8, 0, v3, s0
	v_cmp_class_f32_e64 s0, v3, 0x204
	v_cndmask_b32_e32 v4, v4, v5, vcc_lo
	s_delay_alu instid0(VALU_DEP_3) | instskip(SKIP_1) | instid1(VALU_DEP_1)
	v_bfi_b32 v6, 0x7fffffff, v6, v8
	s_or_b32 vcc_lo, s3, s0
	v_cndmask_b32_e32 v4, v4, v6, vcc_lo
	v_cmp_o_f32_e32 vcc_lo, v3, v2
	s_delay_alu instid0(VALU_DEP_2)
	v_dual_mov_b32 v3, 0 :: v_dual_cndmask_b32 v2, 0x7fc00000, v4
	ds_store_b32 v3, v2
.LBB261_22:
	s_or_b32 exec_lo, exec_lo, s5
	v_mov_b32_e32 v2, 0
	s_wait_dscnt 0x0
	s_barrier_signal -1
	s_barrier_wait -1
	ds_load_b32 v2, v2
	s_mov_b32 s1, 0
	s_wait_dscnt 0x0
	v_readfirstlane_b32 s0, v2
	s_cmp_gt_f32 s0, s10
	s_cselect_b32 s0, -1, 0
	s_xor_b32 s2, s2, -1
	s_delay_alu instid0(SALU_CYCLE_1) | instskip(NEXT) | instid1(SALU_CYCLE_1)
	s_and_b32 s0, s0, s2
	s_and_saveexec_b32 s5, s0
	s_cbranch_execz .LBB261_25
; %bb.23:
	v_cvt_f64_f32_e32 v[2:3], v2
	v_cvt_f64_f32_e32 v[4:5], s10
	s_and_b32 s4, 0xffff, s4
	s_lshl_b64 s[2:3], s[6:7], 1
	s_delay_alu instid0(SALU_CYCLE_1) | instskip(NEXT) | instid1(VALU_DEP_2)
	s_add_nc_u64 s[2:3], s[16:17], s[2:3]
	v_add_f64_e32 v[2:3], 0x3e7ad7f29abcaf48, v[2:3]
	s_delay_alu instid0(VALU_DEP_1) | instskip(SKIP_1) | instid1(VALU_DEP_2)
	v_div_scale_f64 v[6:7], null, v[2:3], v[2:3], v[4:5]
	v_div_scale_f64 v[12:13], vcc_lo, v[4:5], v[2:3], v[4:5]
	v_rcp_f64_e32 v[8:9], v[6:7]
	v_nop
	s_delay_alu instid0(TRANS32_DEP_1) | instskip(NEXT) | instid1(VALU_DEP_1)
	v_fma_f64 v[10:11], -v[6:7], v[8:9], 1.0
	v_fmac_f64_e32 v[8:9], v[8:9], v[10:11]
	s_delay_alu instid0(VALU_DEP_1) | instskip(NEXT) | instid1(VALU_DEP_1)
	v_fma_f64 v[10:11], -v[6:7], v[8:9], 1.0
	v_fmac_f64_e32 v[8:9], v[8:9], v[10:11]
	s_delay_alu instid0(VALU_DEP_1) | instskip(NEXT) | instid1(VALU_DEP_1)
	v_mul_f64_e32 v[10:11], v[12:13], v[8:9]
	v_fma_f64 v[6:7], -v[6:7], v[10:11], v[12:13]
	s_delay_alu instid0(VALU_DEP_1) | instskip(NEXT) | instid1(VALU_DEP_1)
	v_div_fmas_f64 v[6:7], v[6:7], v[8:9], v[10:11]
	v_div_fixup_f64 v[2:3], v[6:7], v[2:3], v[4:5]
	s_delay_alu instid0(VALU_DEP_1) | instskip(NEXT) | instid1(VALU_DEP_1)
	v_cvt_f32_f64_e32 v2, v[2:3]
	v_bfe_u32 v3, v2, 16, 1
	v_cmp_o_f32_e32 vcc_lo, v2, v2
	s_delay_alu instid0(VALU_DEP_2) | instskip(NEXT) | instid1(VALU_DEP_1)
	v_dual_add_nc_u32 v3, v2, v3 :: v_dual_add_nc_u32 v2, s4, v0
	v_add_nc_u32_e32 v3, 0x7fff, v3
	s_delay_alu instid0(VALU_DEP_1) | instskip(NEXT) | instid1(VALU_DEP_1)
	v_and_b32_e32 v3, 0xffff0000, v3
	v_cndmask_b32_e32 v4, 0x7fc00000, v3, vcc_lo
.LBB261_24:                             ; =>This Inner Loop Header: Depth=1
	v_mul_u64_e32 v[0:1], s[14:15], v[0:1]
	v_ashrrev_i32_e32 v3, 31, v2
	s_delay_alu instid0(VALU_DEP_1) | instskip(SKIP_1) | instid1(VALU_DEP_3)
	v_cmp_le_i64_e32 vcc_lo, s[8:9], v[2:3]
	s_or_b32 s1, vcc_lo, s1
	v_lshl_add_u64 v[6:7], v[0:1], 1, s[2:3]
	global_load_u16 v0, v[6:7], off
	s_wait_loadcnt 0x0
	v_lshlrev_b32_e32 v0, 16, v0
	s_delay_alu instid0(VALU_DEP_1) | instskip(NEXT) | instid1(VALU_DEP_1)
	v_mul_f32_e32 v5, v4, v0
	v_bfe_u32 v0, v5, 16, 1
	s_delay_alu instid0(VALU_DEP_1) | instskip(NEXT) | instid1(VALU_DEP_1)
	v_add3_u32 v0, v5, v0, 0x7fff
	v_lshrrev_b32_e32 v8, 16, v0
	v_cmp_o_f32_e64 s0, v5, v5
	v_mov_b64_e32 v[0:1], v[2:3]
	v_add_nc_u32_e32 v2, s4, v2
	s_delay_alu instid0(VALU_DEP_3)
	v_cndmask_b32_e64 v3, 0x7fc0, v8, s0
	global_store_b16 v[6:7], v3, off
	s_wait_xcnt 0x0
	s_and_not1_b32 exec_lo, exec_lo, s1
	s_cbranch_execnz .LBB261_24
.LBB261_25:
	s_or_b32 exec_lo, exec_lo, s5
.LBB261_26:
	s_delay_alu instid0(SALU_CYCLE_1)
	s_and_b32 vcc_lo, exec_lo, s18
	s_cbranch_vccnz .LBB261_29
.LBB261_27:
	s_endpgm
.LBB261_28:
	s_cbranch_execz .LBB261_27
.LBB261_29:
	s_trap 2
	; divergent unreachable
	s_endpgm
	.section	.rodata,"a",@progbits
	.p2align	6, 0x0
	.amdhsa_kernel _ZN2at6native12_GLOBAL__N_113renorm_kernelIN3c108BFloat16EfKlEEvPT_PT1_T0_SA_llllPS5_
		.amdhsa_group_segment_fixed_size 0
		.amdhsa_private_segment_fixed_size 0
		.amdhsa_kernarg_size 320
		.amdhsa_user_sgpr_count 2
		.amdhsa_user_sgpr_dispatch_ptr 0
		.amdhsa_user_sgpr_queue_ptr 0
		.amdhsa_user_sgpr_kernarg_segment_ptr 1
		.amdhsa_user_sgpr_dispatch_id 0
		.amdhsa_user_sgpr_kernarg_preload_length 0
		.amdhsa_user_sgpr_kernarg_preload_offset 0
		.amdhsa_user_sgpr_private_segment_size 0
		.amdhsa_wavefront_size32 1
		.amdhsa_uses_dynamic_stack 0
		.amdhsa_enable_private_segment 0
		.amdhsa_system_sgpr_workgroup_id_x 1
		.amdhsa_system_sgpr_workgroup_id_y 0
		.amdhsa_system_sgpr_workgroup_id_z 0
		.amdhsa_system_sgpr_workgroup_info 0
		.amdhsa_system_vgpr_workitem_id 0
		.amdhsa_next_free_vgpr 24
		.amdhsa_next_free_sgpr 27
		.amdhsa_named_barrier_count 0
		.amdhsa_reserve_vcc 1
		.amdhsa_float_round_mode_32 0
		.amdhsa_float_round_mode_16_64 0
		.amdhsa_float_denorm_mode_32 3
		.amdhsa_float_denorm_mode_16_64 3
		.amdhsa_fp16_overflow 0
		.amdhsa_memory_ordered 1
		.amdhsa_forward_progress 1
		.amdhsa_inst_pref_size 32
		.amdhsa_round_robin_scheduling 0
		.amdhsa_exception_fp_ieee_invalid_op 0
		.amdhsa_exception_fp_denorm_src 0
		.amdhsa_exception_fp_ieee_div_zero 0
		.amdhsa_exception_fp_ieee_overflow 0
		.amdhsa_exception_fp_ieee_underflow 0
		.amdhsa_exception_fp_ieee_inexact 0
		.amdhsa_exception_int_div_zero 0
	.end_amdhsa_kernel
	.section	.text._ZN2at6native12_GLOBAL__N_113renorm_kernelIN3c108BFloat16EfKlEEvPT_PT1_T0_SA_llllPS5_,"axG",@progbits,_ZN2at6native12_GLOBAL__N_113renorm_kernelIN3c108BFloat16EfKlEEvPT_PT1_T0_SA_llllPS5_,comdat
.Lfunc_end261:
	.size	_ZN2at6native12_GLOBAL__N_113renorm_kernelIN3c108BFloat16EfKlEEvPT_PT1_T0_SA_llllPS5_, .Lfunc_end261-_ZN2at6native12_GLOBAL__N_113renorm_kernelIN3c108BFloat16EfKlEEvPT_PT1_T0_SA_llllPS5_
                                        ; -- End function
	.set _ZN2at6native12_GLOBAL__N_113renorm_kernelIN3c108BFloat16EfKlEEvPT_PT1_T0_SA_llllPS5_.num_vgpr, 24
	.set _ZN2at6native12_GLOBAL__N_113renorm_kernelIN3c108BFloat16EfKlEEvPT_PT1_T0_SA_llllPS5_.num_agpr, 0
	.set _ZN2at6native12_GLOBAL__N_113renorm_kernelIN3c108BFloat16EfKlEEvPT_PT1_T0_SA_llllPS5_.numbered_sgpr, 27
	.set _ZN2at6native12_GLOBAL__N_113renorm_kernelIN3c108BFloat16EfKlEEvPT_PT1_T0_SA_llllPS5_.num_named_barrier, 0
	.set _ZN2at6native12_GLOBAL__N_113renorm_kernelIN3c108BFloat16EfKlEEvPT_PT1_T0_SA_llllPS5_.private_seg_size, 0
	.set _ZN2at6native12_GLOBAL__N_113renorm_kernelIN3c108BFloat16EfKlEEvPT_PT1_T0_SA_llllPS5_.uses_vcc, 1
	.set _ZN2at6native12_GLOBAL__N_113renorm_kernelIN3c108BFloat16EfKlEEvPT_PT1_T0_SA_llllPS5_.uses_flat_scratch, 0
	.set _ZN2at6native12_GLOBAL__N_113renorm_kernelIN3c108BFloat16EfKlEEvPT_PT1_T0_SA_llllPS5_.has_dyn_sized_stack, 0
	.set _ZN2at6native12_GLOBAL__N_113renorm_kernelIN3c108BFloat16EfKlEEvPT_PT1_T0_SA_llllPS5_.has_recursion, 0
	.set _ZN2at6native12_GLOBAL__N_113renorm_kernelIN3c108BFloat16EfKlEEvPT_PT1_T0_SA_llllPS5_.has_indirect_call, 0
	.section	.AMDGPU.csdata,"",@progbits
; Kernel info:
; codeLenInByte = 4068
; TotalNumSgprs: 29
; NumVgprs: 24
; ScratchSize: 0
; MemoryBound: 0
; FloatMode: 240
; IeeeMode: 1
; LDSByteSize: 0 bytes/workgroup (compile time only)
; SGPRBlocks: 0
; VGPRBlocks: 1
; NumSGPRsForWavesPerEU: 29
; NumVGPRsForWavesPerEU: 24
; NamedBarCnt: 0
; Occupancy: 16
; WaveLimiterHint : 1
; COMPUTE_PGM_RSRC2:SCRATCH_EN: 0
; COMPUTE_PGM_RSRC2:USER_SGPR: 2
; COMPUTE_PGM_RSRC2:TRAP_HANDLER: 0
; COMPUTE_PGM_RSRC2:TGID_X_EN: 1
; COMPUTE_PGM_RSRC2:TGID_Y_EN: 0
; COMPUTE_PGM_RSRC2:TGID_Z_EN: 0
; COMPUTE_PGM_RSRC2:TIDIG_COMP_CNT: 0
	.section	.AMDGPU.gpr_maximums,"",@progbits
	.set amdgpu.max_num_vgpr, 0
	.set amdgpu.max_num_agpr, 0
	.set amdgpu.max_num_sgpr, 0
	.section	.AMDGPU.csdata,"",@progbits
	.type	.str.5,@object                  ; @.str.5
	.section	.rodata.str1.1,"aMS",@progbits,1
.str.5:
	.asciz	"embedding_renorm_: index out of bounds"
	.size	.str.5, 39

	.type	__hip_cuid_89a7244c536d5e5c,@object ; @__hip_cuid_89a7244c536d5e5c
	.section	.bss,"aw",@nobits
	.globl	__hip_cuid_89a7244c536d5e5c
__hip_cuid_89a7244c536d5e5c:
	.byte	0                               ; 0x0
	.size	__hip_cuid_89a7244c536d5e5c, 1

	.ident	"AMD clang version 22.0.0git (https://github.com/RadeonOpenCompute/llvm-project roc-7.2.4 26084 f58b06dce1f9c15707c5f808fd002e18c2accf7e)"
	.section	".note.GNU-stack","",@progbits
	.addrsig
	.addrsig_sym __hip_cuid_89a7244c536d5e5c
	.amdgpu_metadata
---
amdhsa.kernels:
  - .args:
      - .address_space:  global
        .offset:         0
        .size:           8
        .value_kind:     global_buffer
      - .actual_access:  read_only
        .address_space:  global
        .offset:         8
        .size:           8
        .value_kind:     global_buffer
      - .address_space:  global
        .offset:         16
        .size:           8
        .value_kind:     global_buffer
      - .offset:         24
        .size:           4
        .value_kind:     by_value
      - .offset:         32
        .size:           8
        .value_kind:     by_value
      - .offset:         40
        .size:           4
        .value_kind:     by_value
      - .offset:         48
        .size:           4
        .value_kind:     hidden_block_count_x
      - .offset:         52
        .size:           4
        .value_kind:     hidden_block_count_y
      - .offset:         56
        .size:           4
        .value_kind:     hidden_block_count_z
      - .offset:         60
        .size:           2
        .value_kind:     hidden_group_size_x
      - .offset:         62
        .size:           2
        .value_kind:     hidden_group_size_y
      - .offset:         64
        .size:           2
        .value_kind:     hidden_group_size_z
      - .offset:         66
        .size:           2
        .value_kind:     hidden_remainder_x
      - .offset:         68
        .size:           2
        .value_kind:     hidden_remainder_y
      - .offset:         70
        .size:           2
        .value_kind:     hidden_remainder_z
      - .offset:         88
        .size:           8
        .value_kind:     hidden_global_offset_x
      - .offset:         96
        .size:           8
        .value_kind:     hidden_global_offset_y
      - .offset:         104
        .size:           8
        .value_kind:     hidden_global_offset_z
      - .offset:         112
        .size:           2
        .value_kind:     hidden_grid_dims
      - .offset:         168
        .size:           4
        .value_kind:     hidden_dynamic_lds_size
    .group_segment_fixed_size: 0
    .kernarg_segment_align: 8
    .kernarg_segment_size: 304
    .language:       OpenCL C
    .language_version:
      - 2
      - 0
    .max_flat_workgroup_size: 1024
    .name:           _ZN2at6native12_GLOBAL__N_133embedding_backward_feature_kernelIddiEEvPKT1_PKT_PS6_ili
    .private_segment_fixed_size: 0
    .sgpr_count:     21
    .sgpr_spill_count: 0
    .symbol:         _ZN2at6native12_GLOBAL__N_133embedding_backward_feature_kernelIddiEEvPKT1_PKT_PS6_ili.kd
    .uniform_work_group_size: 1
    .uses_dynamic_stack: false
    .vgpr_count:     24
    .vgpr_spill_count: 0
    .wavefront_size: 32
  - .args:
      - .address_space:  global
        .offset:         0
        .size:           8
        .value_kind:     global_buffer
      - .actual_access:  read_only
        .address_space:  global
        .offset:         8
        .size:           8
        .value_kind:     global_buffer
      - .address_space:  global
        .offset:         16
        .size:           8
        .value_kind:     global_buffer
      - .offset:         24
        .size:           4
        .value_kind:     by_value
      - .offset:         32
        .size:           8
        .value_kind:     by_value
      - .offset:         40
        .size:           4
        .value_kind:     by_value
      - .offset:         48
        .size:           4
        .value_kind:     hidden_block_count_x
      - .offset:         52
        .size:           4
        .value_kind:     hidden_block_count_y
      - .offset:         56
        .size:           4
        .value_kind:     hidden_block_count_z
      - .offset:         60
        .size:           2
        .value_kind:     hidden_group_size_x
      - .offset:         62
        .size:           2
        .value_kind:     hidden_group_size_y
      - .offset:         64
        .size:           2
        .value_kind:     hidden_group_size_z
      - .offset:         66
        .size:           2
        .value_kind:     hidden_remainder_x
      - .offset:         68
        .size:           2
        .value_kind:     hidden_remainder_y
      - .offset:         70
        .size:           2
        .value_kind:     hidden_remainder_z
      - .offset:         88
        .size:           8
        .value_kind:     hidden_global_offset_x
      - .offset:         96
        .size:           8
        .value_kind:     hidden_global_offset_y
      - .offset:         104
        .size:           8
        .value_kind:     hidden_global_offset_z
      - .offset:         112
        .size:           2
        .value_kind:     hidden_grid_dims
      - .offset:         168
        .size:           4
        .value_kind:     hidden_dynamic_lds_size
    .group_segment_fixed_size: 0
    .kernarg_segment_align: 8
    .kernarg_segment_size: 304
    .language:       OpenCL C
    .language_version:
      - 2
      - 0
    .max_flat_workgroup_size: 1024
    .name:           _ZN2at6native12_GLOBAL__N_133embedding_backward_feature_kernelIddlEEvPKT1_PKT_PS6_ili
    .private_segment_fixed_size: 0
    .sgpr_count:     21
    .sgpr_spill_count: 0
    .symbol:         _ZN2at6native12_GLOBAL__N_133embedding_backward_feature_kernelIddlEEvPKT1_PKT_PS6_ili.kd
    .uniform_work_group_size: 1
    .uses_dynamic_stack: false
    .vgpr_count:     24
    .vgpr_spill_count: 0
    .wavefront_size: 32
  - .args:
      - .address_space:  global
        .offset:         0
        .size:           8
        .value_kind:     global_buffer
      - .actual_access:  read_only
        .address_space:  global
        .offset:         8
        .size:           8
        .value_kind:     global_buffer
      - .address_space:  global
        .offset:         16
        .size:           8
        .value_kind:     global_buffer
      - .offset:         24
        .size:           4
        .value_kind:     by_value
      - .offset:         32
        .size:           8
        .value_kind:     by_value
      - .offset:         40
        .size:           4
        .value_kind:     by_value
      - .offset:         48
        .size:           4
        .value_kind:     hidden_block_count_x
      - .offset:         52
        .size:           4
        .value_kind:     hidden_block_count_y
      - .offset:         56
        .size:           4
        .value_kind:     hidden_block_count_z
      - .offset:         60
        .size:           2
        .value_kind:     hidden_group_size_x
      - .offset:         62
        .size:           2
        .value_kind:     hidden_group_size_y
      - .offset:         64
        .size:           2
        .value_kind:     hidden_group_size_z
      - .offset:         66
        .size:           2
        .value_kind:     hidden_remainder_x
      - .offset:         68
        .size:           2
        .value_kind:     hidden_remainder_y
      - .offset:         70
        .size:           2
        .value_kind:     hidden_remainder_z
      - .offset:         88
        .size:           8
        .value_kind:     hidden_global_offset_x
      - .offset:         96
        .size:           8
        .value_kind:     hidden_global_offset_y
      - .offset:         104
        .size:           8
        .value_kind:     hidden_global_offset_z
      - .offset:         112
        .size:           2
        .value_kind:     hidden_grid_dims
      - .offset:         168
        .size:           4
        .value_kind:     hidden_dynamic_lds_size
    .group_segment_fixed_size: 0
    .kernarg_segment_align: 8
    .kernarg_segment_size: 304
    .language:       OpenCL C
    .language_version:
      - 2
      - 0
    .max_flat_workgroup_size: 1024
    .name:           _ZN2at6native12_GLOBAL__N_133embedding_backward_feature_kernelIffiEEvPKT1_PKT_PS6_ili
    .private_segment_fixed_size: 0
    .sgpr_count:     21
    .sgpr_spill_count: 0
    .symbol:         _ZN2at6native12_GLOBAL__N_133embedding_backward_feature_kernelIffiEEvPKT1_PKT_PS6_ili.kd
    .uniform_work_group_size: 1
    .uses_dynamic_stack: false
    .vgpr_count:     23
    .vgpr_spill_count: 0
    .wavefront_size: 32
  - .args:
      - .address_space:  global
        .offset:         0
        .size:           8
        .value_kind:     global_buffer
      - .actual_access:  read_only
        .address_space:  global
        .offset:         8
        .size:           8
        .value_kind:     global_buffer
      - .address_space:  global
        .offset:         16
        .size:           8
        .value_kind:     global_buffer
      - .offset:         24
        .size:           4
        .value_kind:     by_value
      - .offset:         32
        .size:           8
        .value_kind:     by_value
      - .offset:         40
        .size:           4
        .value_kind:     by_value
      - .offset:         48
        .size:           4
        .value_kind:     hidden_block_count_x
      - .offset:         52
        .size:           4
        .value_kind:     hidden_block_count_y
      - .offset:         56
        .size:           4
        .value_kind:     hidden_block_count_z
      - .offset:         60
        .size:           2
        .value_kind:     hidden_group_size_x
      - .offset:         62
        .size:           2
        .value_kind:     hidden_group_size_y
      - .offset:         64
        .size:           2
        .value_kind:     hidden_group_size_z
      - .offset:         66
        .size:           2
        .value_kind:     hidden_remainder_x
      - .offset:         68
        .size:           2
        .value_kind:     hidden_remainder_y
      - .offset:         70
        .size:           2
        .value_kind:     hidden_remainder_z
      - .offset:         88
        .size:           8
        .value_kind:     hidden_global_offset_x
      - .offset:         96
        .size:           8
        .value_kind:     hidden_global_offset_y
      - .offset:         104
        .size:           8
        .value_kind:     hidden_global_offset_z
      - .offset:         112
        .size:           2
        .value_kind:     hidden_grid_dims
      - .offset:         168
        .size:           4
        .value_kind:     hidden_dynamic_lds_size
    .group_segment_fixed_size: 0
    .kernarg_segment_align: 8
    .kernarg_segment_size: 304
    .language:       OpenCL C
    .language_version:
      - 2
      - 0
    .max_flat_workgroup_size: 1024
    .name:           _ZN2at6native12_GLOBAL__N_133embedding_backward_feature_kernelIfflEEvPKT1_PKT_PS6_ili
    .private_segment_fixed_size: 0
    .sgpr_count:     21
    .sgpr_spill_count: 0
    .symbol:         _ZN2at6native12_GLOBAL__N_133embedding_backward_feature_kernelIfflEEvPKT1_PKT_PS6_ili.kd
    .uniform_work_group_size: 1
    .uses_dynamic_stack: false
    .vgpr_count:     23
    .vgpr_spill_count: 0
    .wavefront_size: 32
  - .args:
      - .address_space:  global
        .offset:         0
        .size:           8
        .value_kind:     global_buffer
      - .actual_access:  read_only
        .address_space:  global
        .offset:         8
        .size:           8
        .value_kind:     global_buffer
      - .address_space:  global
        .offset:         16
        .size:           8
        .value_kind:     global_buffer
      - .offset:         24
        .size:           4
        .value_kind:     by_value
      - .offset:         32
        .size:           8
        .value_kind:     by_value
      - .offset:         40
        .size:           4
        .value_kind:     by_value
      - .offset:         48
        .size:           4
        .value_kind:     hidden_block_count_x
      - .offset:         52
        .size:           4
        .value_kind:     hidden_block_count_y
      - .offset:         56
        .size:           4
        .value_kind:     hidden_block_count_z
      - .offset:         60
        .size:           2
        .value_kind:     hidden_group_size_x
      - .offset:         62
        .size:           2
        .value_kind:     hidden_group_size_y
      - .offset:         64
        .size:           2
        .value_kind:     hidden_group_size_z
      - .offset:         66
        .size:           2
        .value_kind:     hidden_remainder_x
      - .offset:         68
        .size:           2
        .value_kind:     hidden_remainder_y
      - .offset:         70
        .size:           2
        .value_kind:     hidden_remainder_z
      - .offset:         88
        .size:           8
        .value_kind:     hidden_global_offset_x
      - .offset:         96
        .size:           8
        .value_kind:     hidden_global_offset_y
      - .offset:         104
        .size:           8
        .value_kind:     hidden_global_offset_z
      - .offset:         112
        .size:           2
        .value_kind:     hidden_grid_dims
      - .offset:         168
        .size:           4
        .value_kind:     hidden_dynamic_lds_size
    .group_segment_fixed_size: 0
    .kernarg_segment_align: 8
    .kernarg_segment_size: 304
    .language:       OpenCL C
    .language_version:
      - 2
      - 0
    .max_flat_workgroup_size: 1024
    .name:           _ZN2at6native12_GLOBAL__N_133embedding_backward_feature_kernelIN3c104HalfEfiEEvPKT1_PKT_PS8_ili
    .private_segment_fixed_size: 0
    .sgpr_count:     21
    .sgpr_spill_count: 0
    .symbol:         _ZN2at6native12_GLOBAL__N_133embedding_backward_feature_kernelIN3c104HalfEfiEEvPKT1_PKT_PS8_ili.kd
    .uniform_work_group_size: 1
    .uses_dynamic_stack: false
    .vgpr_count:     23
    .vgpr_spill_count: 0
    .wavefront_size: 32
  - .args:
      - .address_space:  global
        .offset:         0
        .size:           8
        .value_kind:     global_buffer
      - .actual_access:  read_only
        .address_space:  global
        .offset:         8
        .size:           8
        .value_kind:     global_buffer
      - .address_space:  global
        .offset:         16
        .size:           8
        .value_kind:     global_buffer
      - .offset:         24
        .size:           4
        .value_kind:     by_value
      - .offset:         32
        .size:           8
        .value_kind:     by_value
      - .offset:         40
        .size:           4
        .value_kind:     by_value
      - .offset:         48
        .size:           4
        .value_kind:     hidden_block_count_x
      - .offset:         52
        .size:           4
        .value_kind:     hidden_block_count_y
      - .offset:         56
        .size:           4
        .value_kind:     hidden_block_count_z
      - .offset:         60
        .size:           2
        .value_kind:     hidden_group_size_x
      - .offset:         62
        .size:           2
        .value_kind:     hidden_group_size_y
      - .offset:         64
        .size:           2
        .value_kind:     hidden_group_size_z
      - .offset:         66
        .size:           2
        .value_kind:     hidden_remainder_x
      - .offset:         68
        .size:           2
        .value_kind:     hidden_remainder_y
      - .offset:         70
        .size:           2
        .value_kind:     hidden_remainder_z
      - .offset:         88
        .size:           8
        .value_kind:     hidden_global_offset_x
      - .offset:         96
        .size:           8
        .value_kind:     hidden_global_offset_y
      - .offset:         104
        .size:           8
        .value_kind:     hidden_global_offset_z
      - .offset:         112
        .size:           2
        .value_kind:     hidden_grid_dims
      - .offset:         168
        .size:           4
        .value_kind:     hidden_dynamic_lds_size
    .group_segment_fixed_size: 0
    .kernarg_segment_align: 8
    .kernarg_segment_size: 304
    .language:       OpenCL C
    .language_version:
      - 2
      - 0
    .max_flat_workgroup_size: 1024
    .name:           _ZN2at6native12_GLOBAL__N_133embedding_backward_feature_kernelIN3c104HalfEflEEvPKT1_PKT_PS8_ili
    .private_segment_fixed_size: 0
    .sgpr_count:     21
    .sgpr_spill_count: 0
    .symbol:         _ZN2at6native12_GLOBAL__N_133embedding_backward_feature_kernelIN3c104HalfEflEEvPKT1_PKT_PS8_ili.kd
    .uniform_work_group_size: 1
    .uses_dynamic_stack: false
    .vgpr_count:     23
    .vgpr_spill_count: 0
    .wavefront_size: 32
  - .args:
      - .address_space:  global
        .offset:         0
        .size:           8
        .value_kind:     global_buffer
      - .actual_access:  read_only
        .address_space:  global
        .offset:         8
        .size:           8
        .value_kind:     global_buffer
      - .address_space:  global
        .offset:         16
        .size:           8
        .value_kind:     global_buffer
      - .offset:         24
        .size:           4
        .value_kind:     by_value
      - .offset:         32
        .size:           8
        .value_kind:     by_value
      - .offset:         40
        .size:           4
        .value_kind:     by_value
      - .offset:         48
        .size:           4
        .value_kind:     hidden_block_count_x
      - .offset:         52
        .size:           4
        .value_kind:     hidden_block_count_y
      - .offset:         56
        .size:           4
        .value_kind:     hidden_block_count_z
      - .offset:         60
        .size:           2
        .value_kind:     hidden_group_size_x
      - .offset:         62
        .size:           2
        .value_kind:     hidden_group_size_y
      - .offset:         64
        .size:           2
        .value_kind:     hidden_group_size_z
      - .offset:         66
        .size:           2
        .value_kind:     hidden_remainder_x
      - .offset:         68
        .size:           2
        .value_kind:     hidden_remainder_y
      - .offset:         70
        .size:           2
        .value_kind:     hidden_remainder_z
      - .offset:         88
        .size:           8
        .value_kind:     hidden_global_offset_x
      - .offset:         96
        .size:           8
        .value_kind:     hidden_global_offset_y
      - .offset:         104
        .size:           8
        .value_kind:     hidden_global_offset_z
      - .offset:         112
        .size:           2
        .value_kind:     hidden_grid_dims
      - .offset:         168
        .size:           4
        .value_kind:     hidden_dynamic_lds_size
    .group_segment_fixed_size: 0
    .kernarg_segment_align: 8
    .kernarg_segment_size: 304
    .language:       OpenCL C
    .language_version:
      - 2
      - 0
    .max_flat_workgroup_size: 1024
    .name:           _ZN2at6native12_GLOBAL__N_133embedding_backward_feature_kernelIN3c108BFloat16EfiEEvPKT1_PKT_PS8_ili
    .private_segment_fixed_size: 0
    .sgpr_count:     21
    .sgpr_spill_count: 0
    .symbol:         _ZN2at6native12_GLOBAL__N_133embedding_backward_feature_kernelIN3c108BFloat16EfiEEvPKT1_PKT_PS8_ili.kd
    .uniform_work_group_size: 1
    .uses_dynamic_stack: false
    .vgpr_count:     23
    .vgpr_spill_count: 0
    .wavefront_size: 32
  - .args:
      - .address_space:  global
        .offset:         0
        .size:           8
        .value_kind:     global_buffer
      - .actual_access:  read_only
        .address_space:  global
        .offset:         8
        .size:           8
        .value_kind:     global_buffer
      - .address_space:  global
        .offset:         16
        .size:           8
        .value_kind:     global_buffer
      - .offset:         24
        .size:           4
        .value_kind:     by_value
      - .offset:         32
        .size:           8
        .value_kind:     by_value
      - .offset:         40
        .size:           4
        .value_kind:     by_value
      - .offset:         48
        .size:           4
        .value_kind:     hidden_block_count_x
      - .offset:         52
        .size:           4
        .value_kind:     hidden_block_count_y
      - .offset:         56
        .size:           4
        .value_kind:     hidden_block_count_z
      - .offset:         60
        .size:           2
        .value_kind:     hidden_group_size_x
      - .offset:         62
        .size:           2
        .value_kind:     hidden_group_size_y
      - .offset:         64
        .size:           2
        .value_kind:     hidden_group_size_z
      - .offset:         66
        .size:           2
        .value_kind:     hidden_remainder_x
      - .offset:         68
        .size:           2
        .value_kind:     hidden_remainder_y
      - .offset:         70
        .size:           2
        .value_kind:     hidden_remainder_z
      - .offset:         88
        .size:           8
        .value_kind:     hidden_global_offset_x
      - .offset:         96
        .size:           8
        .value_kind:     hidden_global_offset_y
      - .offset:         104
        .size:           8
        .value_kind:     hidden_global_offset_z
      - .offset:         112
        .size:           2
        .value_kind:     hidden_grid_dims
      - .offset:         168
        .size:           4
        .value_kind:     hidden_dynamic_lds_size
    .group_segment_fixed_size: 0
    .kernarg_segment_align: 8
    .kernarg_segment_size: 304
    .language:       OpenCL C
    .language_version:
      - 2
      - 0
    .max_flat_workgroup_size: 1024
    .name:           _ZN2at6native12_GLOBAL__N_133embedding_backward_feature_kernelIN3c108BFloat16EflEEvPKT1_PKT_PS8_ili
    .private_segment_fixed_size: 0
    .sgpr_count:     21
    .sgpr_spill_count: 0
    .symbol:         _ZN2at6native12_GLOBAL__N_133embedding_backward_feature_kernelIN3c108BFloat16EflEEvPKT1_PKT_PS8_ili.kd
    .uniform_work_group_size: 1
    .uses_dynamic_stack: false
    .vgpr_count:     23
    .vgpr_spill_count: 0
    .wavefront_size: 32
  - .args:
      - .address_space:  global
        .offset:         0
        .size:           8
        .value_kind:     global_buffer
      - .offset:         8
        .size:           4
        .value_kind:     by_value
      - .offset:         12
        .size:           4
        .value_kind:     by_value
      - .address_space:  global
        .offset:         16
        .size:           8
        .value_kind:     global_buffer
      - .address_space:  global
        .offset:         24
        .size:           8
        .value_kind:     global_buffer
      - .actual_access:  write_only
        .address_space:  global
        .offset:         32
        .size:           8
        .value_kind:     global_buffer
      - .offset:         40
        .size:           8
        .value_kind:     by_value
      - .offset:         48
        .size:           4
        .value_kind:     by_value
      - .offset:         52
        .size:           1
        .value_kind:     by_value
      - .offset:         56
        .size:           4
        .value_kind:     hidden_block_count_x
      - .offset:         60
        .size:           4
        .value_kind:     hidden_block_count_y
      - .offset:         64
        .size:           4
        .value_kind:     hidden_block_count_z
      - .offset:         68
        .size:           2
        .value_kind:     hidden_group_size_x
      - .offset:         70
        .size:           2
        .value_kind:     hidden_group_size_y
      - .offset:         72
        .size:           2
        .value_kind:     hidden_group_size_z
      - .offset:         74
        .size:           2
        .value_kind:     hidden_remainder_x
      - .offset:         76
        .size:           2
        .value_kind:     hidden_remainder_y
      - .offset:         78
        .size:           2
        .value_kind:     hidden_remainder_z
      - .offset:         96
        .size:           8
        .value_kind:     hidden_global_offset_x
      - .offset:         104
        .size:           8
        .value_kind:     hidden_global_offset_y
      - .offset:         112
        .size:           8
        .value_kind:     hidden_global_offset_z
      - .offset:         120
        .size:           2
        .value_kind:     hidden_grid_dims
    .group_segment_fixed_size: 0
    .kernarg_segment_align: 8
    .kernarg_segment_size: 312
    .language:       OpenCL C
    .language_version:
      - 2
      - 0
    .max_flat_workgroup_size: 256
    .name:           _ZN7rocprim17ROCPRIM_400000_NS6detail30init_device_scan_by_key_kernelINS1_19lookback_scan_stateINS0_5tupleIJibEEELb0ELb1EEEPKijNS1_16block_id_wrapperIjLb0EEEEEvT_jjPNSB_10value_typeET0_PNSt15iterator_traitsISE_E10value_typeEmT1_T2_
    .private_segment_fixed_size: 0
    .sgpr_count:     19
    .sgpr_spill_count: 0
    .symbol:         _ZN7rocprim17ROCPRIM_400000_NS6detail30init_device_scan_by_key_kernelINS1_19lookback_scan_stateINS0_5tupleIJibEEELb0ELb1EEEPKijNS1_16block_id_wrapperIjLb0EEEEEvT_jjPNSB_10value_typeET0_PNSt15iterator_traitsISE_E10value_typeEmT1_T2_.kd
    .uniform_work_group_size: 1
    .uses_dynamic_stack: false
    .vgpr_count:     10
    .vgpr_spill_count: 0
    .wavefront_size: 32
  - .args:
      - .address_space:  global
        .offset:         0
        .size:           8
        .value_kind:     global_buffer
      - .offset:         8
        .size:           4
        .value_kind:     by_value
      - .offset:         12
        .size:           4
        .value_kind:     by_value
      - .address_space:  global
        .offset:         16
        .size:           8
        .value_kind:     global_buffer
      - .offset:         24
        .size:           1
        .value_kind:     by_value
      - .offset:         32
        .size:           4
        .value_kind:     hidden_block_count_x
      - .offset:         36
        .size:           4
        .value_kind:     hidden_block_count_y
      - .offset:         40
        .size:           4
        .value_kind:     hidden_block_count_z
      - .offset:         44
        .size:           2
        .value_kind:     hidden_group_size_x
      - .offset:         46
        .size:           2
        .value_kind:     hidden_group_size_y
      - .offset:         48
        .size:           2
        .value_kind:     hidden_group_size_z
      - .offset:         50
        .size:           2
        .value_kind:     hidden_remainder_x
      - .offset:         52
        .size:           2
        .value_kind:     hidden_remainder_y
      - .offset:         54
        .size:           2
        .value_kind:     hidden_remainder_z
      - .offset:         72
        .size:           8
        .value_kind:     hidden_global_offset_x
      - .offset:         80
        .size:           8
        .value_kind:     hidden_global_offset_y
      - .offset:         88
        .size:           8
        .value_kind:     hidden_global_offset_z
      - .offset:         96
        .size:           2
        .value_kind:     hidden_grid_dims
    .group_segment_fixed_size: 0
    .kernarg_segment_align: 8
    .kernarg_segment_size: 288
    .language:       OpenCL C
    .language_version:
      - 2
      - 0
    .max_flat_workgroup_size: 256
    .name:           _ZN7rocprim17ROCPRIM_400000_NS6detail30init_device_scan_by_key_kernelINS1_19lookback_scan_stateINS0_5tupleIJibEEELb0ELb1EEENS1_16block_id_wrapperIjLb0EEEEEvT_jjPNS9_10value_typeET0_
    .private_segment_fixed_size: 0
    .sgpr_count:     13
    .sgpr_spill_count: 0
    .symbol:         _ZN7rocprim17ROCPRIM_400000_NS6detail30init_device_scan_by_key_kernelINS1_19lookback_scan_stateINS0_5tupleIJibEEELb0ELb1EEENS1_16block_id_wrapperIjLb0EEEEEvT_jjPNS9_10value_typeET0_.kd
    .uniform_work_group_size: 1
    .uses_dynamic_stack: false
    .vgpr_count:     9
    .vgpr_spill_count: 0
    .wavefront_size: 32
  - .args:
      - .offset:         0
        .size:           120
        .value_kind:     by_value
    .group_segment_fixed_size: 14336
    .kernarg_segment_align: 8
    .kernarg_segment_size: 120
    .language:       OpenCL C
    .language_version:
      - 2
      - 0
    .max_flat_workgroup_size: 256
    .name:           _ZN7rocprim17ROCPRIM_400000_NS6detail17trampoline_kernelINS0_14default_configENS1_27scan_by_key_config_selectorIiiEEZZNS1_16scan_by_key_implILNS1_25lookback_scan_determinismE0ELb0ES3_PKiN6hipcub16HIPCUB_304000_NS21ConstantInputIteratorIilEEPiiNSB_3SumENSB_8EqualityEiEE10hipError_tPvRmT2_T3_T4_T5_mT6_T7_P12ihipStream_tbENKUlT_T0_E_clISt17integral_constantIbLb0EESX_EEDaSS_ST_EUlSS_E_NS1_11comp_targetILNS1_3genE0ELNS1_11target_archE4294967295ELNS1_3gpuE0ELNS1_3repE0EEENS1_30default_config_static_selectorELNS0_4arch9wavefront6targetE0EEEvT1_
    .private_segment_fixed_size: 0
    .sgpr_count:     41
    .sgpr_spill_count: 0
    .symbol:         _ZN7rocprim17ROCPRIM_400000_NS6detail17trampoline_kernelINS0_14default_configENS1_27scan_by_key_config_selectorIiiEEZZNS1_16scan_by_key_implILNS1_25lookback_scan_determinismE0ELb0ES3_PKiN6hipcub16HIPCUB_304000_NS21ConstantInputIteratorIilEEPiiNSB_3SumENSB_8EqualityEiEE10hipError_tPvRmT2_T3_T4_T5_mT6_T7_P12ihipStream_tbENKUlT_T0_E_clISt17integral_constantIbLb0EESX_EEDaSS_ST_EUlSS_E_NS1_11comp_targetILNS1_3genE0ELNS1_11target_archE4294967295ELNS1_3gpuE0ELNS1_3repE0EEENS1_30default_config_static_selectorELNS0_4arch9wavefront6targetE0EEEvT1_.kd
    .uniform_work_group_size: 1
    .uses_dynamic_stack: false
    .vgpr_count:     60
    .vgpr_spill_count: 0
    .wavefront_size: 32
  - .args:
      - .offset:         0
        .size:           120
        .value_kind:     by_value
    .group_segment_fixed_size: 0
    .kernarg_segment_align: 8
    .kernarg_segment_size: 120
    .language:       OpenCL C
    .language_version:
      - 2
      - 0
    .max_flat_workgroup_size: 256
    .name:           _ZN7rocprim17ROCPRIM_400000_NS6detail17trampoline_kernelINS0_14default_configENS1_27scan_by_key_config_selectorIiiEEZZNS1_16scan_by_key_implILNS1_25lookback_scan_determinismE0ELb0ES3_PKiN6hipcub16HIPCUB_304000_NS21ConstantInputIteratorIilEEPiiNSB_3SumENSB_8EqualityEiEE10hipError_tPvRmT2_T3_T4_T5_mT6_T7_P12ihipStream_tbENKUlT_T0_E_clISt17integral_constantIbLb0EESX_EEDaSS_ST_EUlSS_E_NS1_11comp_targetILNS1_3genE10ELNS1_11target_archE1201ELNS1_3gpuE5ELNS1_3repE0EEENS1_30default_config_static_selectorELNS0_4arch9wavefront6targetE0EEEvT1_
    .private_segment_fixed_size: 0
    .sgpr_count:     0
    .sgpr_spill_count: 0
    .symbol:         _ZN7rocprim17ROCPRIM_400000_NS6detail17trampoline_kernelINS0_14default_configENS1_27scan_by_key_config_selectorIiiEEZZNS1_16scan_by_key_implILNS1_25lookback_scan_determinismE0ELb0ES3_PKiN6hipcub16HIPCUB_304000_NS21ConstantInputIteratorIilEEPiiNSB_3SumENSB_8EqualityEiEE10hipError_tPvRmT2_T3_T4_T5_mT6_T7_P12ihipStream_tbENKUlT_T0_E_clISt17integral_constantIbLb0EESX_EEDaSS_ST_EUlSS_E_NS1_11comp_targetILNS1_3genE10ELNS1_11target_archE1201ELNS1_3gpuE5ELNS1_3repE0EEENS1_30default_config_static_selectorELNS0_4arch9wavefront6targetE0EEEvT1_.kd
    .uniform_work_group_size: 1
    .uses_dynamic_stack: false
    .vgpr_count:     0
    .vgpr_spill_count: 0
    .wavefront_size: 32
  - .args:
      - .offset:         0
        .size:           120
        .value_kind:     by_value
    .group_segment_fixed_size: 0
    .kernarg_segment_align: 8
    .kernarg_segment_size: 120
    .language:       OpenCL C
    .language_version:
      - 2
      - 0
    .max_flat_workgroup_size: 256
    .name:           _ZN7rocprim17ROCPRIM_400000_NS6detail17trampoline_kernelINS0_14default_configENS1_27scan_by_key_config_selectorIiiEEZZNS1_16scan_by_key_implILNS1_25lookback_scan_determinismE0ELb0ES3_PKiN6hipcub16HIPCUB_304000_NS21ConstantInputIteratorIilEEPiiNSB_3SumENSB_8EqualityEiEE10hipError_tPvRmT2_T3_T4_T5_mT6_T7_P12ihipStream_tbENKUlT_T0_E_clISt17integral_constantIbLb0EESX_EEDaSS_ST_EUlSS_E_NS1_11comp_targetILNS1_3genE5ELNS1_11target_archE942ELNS1_3gpuE9ELNS1_3repE0EEENS1_30default_config_static_selectorELNS0_4arch9wavefront6targetE0EEEvT1_
    .private_segment_fixed_size: 0
    .sgpr_count:     0
    .sgpr_spill_count: 0
    .symbol:         _ZN7rocprim17ROCPRIM_400000_NS6detail17trampoline_kernelINS0_14default_configENS1_27scan_by_key_config_selectorIiiEEZZNS1_16scan_by_key_implILNS1_25lookback_scan_determinismE0ELb0ES3_PKiN6hipcub16HIPCUB_304000_NS21ConstantInputIteratorIilEEPiiNSB_3SumENSB_8EqualityEiEE10hipError_tPvRmT2_T3_T4_T5_mT6_T7_P12ihipStream_tbENKUlT_T0_E_clISt17integral_constantIbLb0EESX_EEDaSS_ST_EUlSS_E_NS1_11comp_targetILNS1_3genE5ELNS1_11target_archE942ELNS1_3gpuE9ELNS1_3repE0EEENS1_30default_config_static_selectorELNS0_4arch9wavefront6targetE0EEEvT1_.kd
    .uniform_work_group_size: 1
    .uses_dynamic_stack: false
    .vgpr_count:     0
    .vgpr_spill_count: 0
    .wavefront_size: 32
  - .args:
      - .offset:         0
        .size:           120
        .value_kind:     by_value
    .group_segment_fixed_size: 0
    .kernarg_segment_align: 8
    .kernarg_segment_size: 120
    .language:       OpenCL C
    .language_version:
      - 2
      - 0
    .max_flat_workgroup_size: 256
    .name:           _ZN7rocprim17ROCPRIM_400000_NS6detail17trampoline_kernelINS0_14default_configENS1_27scan_by_key_config_selectorIiiEEZZNS1_16scan_by_key_implILNS1_25lookback_scan_determinismE0ELb0ES3_PKiN6hipcub16HIPCUB_304000_NS21ConstantInputIteratorIilEEPiiNSB_3SumENSB_8EqualityEiEE10hipError_tPvRmT2_T3_T4_T5_mT6_T7_P12ihipStream_tbENKUlT_T0_E_clISt17integral_constantIbLb0EESX_EEDaSS_ST_EUlSS_E_NS1_11comp_targetILNS1_3genE4ELNS1_11target_archE910ELNS1_3gpuE8ELNS1_3repE0EEENS1_30default_config_static_selectorELNS0_4arch9wavefront6targetE0EEEvT1_
    .private_segment_fixed_size: 0
    .sgpr_count:     0
    .sgpr_spill_count: 0
    .symbol:         _ZN7rocprim17ROCPRIM_400000_NS6detail17trampoline_kernelINS0_14default_configENS1_27scan_by_key_config_selectorIiiEEZZNS1_16scan_by_key_implILNS1_25lookback_scan_determinismE0ELb0ES3_PKiN6hipcub16HIPCUB_304000_NS21ConstantInputIteratorIilEEPiiNSB_3SumENSB_8EqualityEiEE10hipError_tPvRmT2_T3_T4_T5_mT6_T7_P12ihipStream_tbENKUlT_T0_E_clISt17integral_constantIbLb0EESX_EEDaSS_ST_EUlSS_E_NS1_11comp_targetILNS1_3genE4ELNS1_11target_archE910ELNS1_3gpuE8ELNS1_3repE0EEENS1_30default_config_static_selectorELNS0_4arch9wavefront6targetE0EEEvT1_.kd
    .uniform_work_group_size: 1
    .uses_dynamic_stack: false
    .vgpr_count:     0
    .vgpr_spill_count: 0
    .wavefront_size: 32
  - .args:
      - .offset:         0
        .size:           120
        .value_kind:     by_value
    .group_segment_fixed_size: 0
    .kernarg_segment_align: 8
    .kernarg_segment_size: 120
    .language:       OpenCL C
    .language_version:
      - 2
      - 0
    .max_flat_workgroup_size: 256
    .name:           _ZN7rocprim17ROCPRIM_400000_NS6detail17trampoline_kernelINS0_14default_configENS1_27scan_by_key_config_selectorIiiEEZZNS1_16scan_by_key_implILNS1_25lookback_scan_determinismE0ELb0ES3_PKiN6hipcub16HIPCUB_304000_NS21ConstantInputIteratorIilEEPiiNSB_3SumENSB_8EqualityEiEE10hipError_tPvRmT2_T3_T4_T5_mT6_T7_P12ihipStream_tbENKUlT_T0_E_clISt17integral_constantIbLb0EESX_EEDaSS_ST_EUlSS_E_NS1_11comp_targetILNS1_3genE3ELNS1_11target_archE908ELNS1_3gpuE7ELNS1_3repE0EEENS1_30default_config_static_selectorELNS0_4arch9wavefront6targetE0EEEvT1_
    .private_segment_fixed_size: 0
    .sgpr_count:     0
    .sgpr_spill_count: 0
    .symbol:         _ZN7rocprim17ROCPRIM_400000_NS6detail17trampoline_kernelINS0_14default_configENS1_27scan_by_key_config_selectorIiiEEZZNS1_16scan_by_key_implILNS1_25lookback_scan_determinismE0ELb0ES3_PKiN6hipcub16HIPCUB_304000_NS21ConstantInputIteratorIilEEPiiNSB_3SumENSB_8EqualityEiEE10hipError_tPvRmT2_T3_T4_T5_mT6_T7_P12ihipStream_tbENKUlT_T0_E_clISt17integral_constantIbLb0EESX_EEDaSS_ST_EUlSS_E_NS1_11comp_targetILNS1_3genE3ELNS1_11target_archE908ELNS1_3gpuE7ELNS1_3repE0EEENS1_30default_config_static_selectorELNS0_4arch9wavefront6targetE0EEEvT1_.kd
    .uniform_work_group_size: 1
    .uses_dynamic_stack: false
    .vgpr_count:     0
    .vgpr_spill_count: 0
    .wavefront_size: 32
  - .args:
      - .offset:         0
        .size:           120
        .value_kind:     by_value
    .group_segment_fixed_size: 0
    .kernarg_segment_align: 8
    .kernarg_segment_size: 120
    .language:       OpenCL C
    .language_version:
      - 2
      - 0
    .max_flat_workgroup_size: 256
    .name:           _ZN7rocprim17ROCPRIM_400000_NS6detail17trampoline_kernelINS0_14default_configENS1_27scan_by_key_config_selectorIiiEEZZNS1_16scan_by_key_implILNS1_25lookback_scan_determinismE0ELb0ES3_PKiN6hipcub16HIPCUB_304000_NS21ConstantInputIteratorIilEEPiiNSB_3SumENSB_8EqualityEiEE10hipError_tPvRmT2_T3_T4_T5_mT6_T7_P12ihipStream_tbENKUlT_T0_E_clISt17integral_constantIbLb0EESX_EEDaSS_ST_EUlSS_E_NS1_11comp_targetILNS1_3genE2ELNS1_11target_archE906ELNS1_3gpuE6ELNS1_3repE0EEENS1_30default_config_static_selectorELNS0_4arch9wavefront6targetE0EEEvT1_
    .private_segment_fixed_size: 0
    .sgpr_count:     0
    .sgpr_spill_count: 0
    .symbol:         _ZN7rocprim17ROCPRIM_400000_NS6detail17trampoline_kernelINS0_14default_configENS1_27scan_by_key_config_selectorIiiEEZZNS1_16scan_by_key_implILNS1_25lookback_scan_determinismE0ELb0ES3_PKiN6hipcub16HIPCUB_304000_NS21ConstantInputIteratorIilEEPiiNSB_3SumENSB_8EqualityEiEE10hipError_tPvRmT2_T3_T4_T5_mT6_T7_P12ihipStream_tbENKUlT_T0_E_clISt17integral_constantIbLb0EESX_EEDaSS_ST_EUlSS_E_NS1_11comp_targetILNS1_3genE2ELNS1_11target_archE906ELNS1_3gpuE6ELNS1_3repE0EEENS1_30default_config_static_selectorELNS0_4arch9wavefront6targetE0EEEvT1_.kd
    .uniform_work_group_size: 1
    .uses_dynamic_stack: false
    .vgpr_count:     0
    .vgpr_spill_count: 0
    .wavefront_size: 32
  - .args:
      - .offset:         0
        .size:           120
        .value_kind:     by_value
    .group_segment_fixed_size: 0
    .kernarg_segment_align: 8
    .kernarg_segment_size: 120
    .language:       OpenCL C
    .language_version:
      - 2
      - 0
    .max_flat_workgroup_size: 256
    .name:           _ZN7rocprim17ROCPRIM_400000_NS6detail17trampoline_kernelINS0_14default_configENS1_27scan_by_key_config_selectorIiiEEZZNS1_16scan_by_key_implILNS1_25lookback_scan_determinismE0ELb0ES3_PKiN6hipcub16HIPCUB_304000_NS21ConstantInputIteratorIilEEPiiNSB_3SumENSB_8EqualityEiEE10hipError_tPvRmT2_T3_T4_T5_mT6_T7_P12ihipStream_tbENKUlT_T0_E_clISt17integral_constantIbLb0EESX_EEDaSS_ST_EUlSS_E_NS1_11comp_targetILNS1_3genE10ELNS1_11target_archE1200ELNS1_3gpuE4ELNS1_3repE0EEENS1_30default_config_static_selectorELNS0_4arch9wavefront6targetE0EEEvT1_
    .private_segment_fixed_size: 0
    .sgpr_count:     0
    .sgpr_spill_count: 0
    .symbol:         _ZN7rocprim17ROCPRIM_400000_NS6detail17trampoline_kernelINS0_14default_configENS1_27scan_by_key_config_selectorIiiEEZZNS1_16scan_by_key_implILNS1_25lookback_scan_determinismE0ELb0ES3_PKiN6hipcub16HIPCUB_304000_NS21ConstantInputIteratorIilEEPiiNSB_3SumENSB_8EqualityEiEE10hipError_tPvRmT2_T3_T4_T5_mT6_T7_P12ihipStream_tbENKUlT_T0_E_clISt17integral_constantIbLb0EESX_EEDaSS_ST_EUlSS_E_NS1_11comp_targetILNS1_3genE10ELNS1_11target_archE1200ELNS1_3gpuE4ELNS1_3repE0EEENS1_30default_config_static_selectorELNS0_4arch9wavefront6targetE0EEEvT1_.kd
    .uniform_work_group_size: 1
    .uses_dynamic_stack: false
    .vgpr_count:     0
    .vgpr_spill_count: 0
    .wavefront_size: 32
  - .args:
      - .offset:         0
        .size:           120
        .value_kind:     by_value
    .group_segment_fixed_size: 0
    .kernarg_segment_align: 8
    .kernarg_segment_size: 120
    .language:       OpenCL C
    .language_version:
      - 2
      - 0
    .max_flat_workgroup_size: 256
    .name:           _ZN7rocprim17ROCPRIM_400000_NS6detail17trampoline_kernelINS0_14default_configENS1_27scan_by_key_config_selectorIiiEEZZNS1_16scan_by_key_implILNS1_25lookback_scan_determinismE0ELb0ES3_PKiN6hipcub16HIPCUB_304000_NS21ConstantInputIteratorIilEEPiiNSB_3SumENSB_8EqualityEiEE10hipError_tPvRmT2_T3_T4_T5_mT6_T7_P12ihipStream_tbENKUlT_T0_E_clISt17integral_constantIbLb0EESX_EEDaSS_ST_EUlSS_E_NS1_11comp_targetILNS1_3genE9ELNS1_11target_archE1100ELNS1_3gpuE3ELNS1_3repE0EEENS1_30default_config_static_selectorELNS0_4arch9wavefront6targetE0EEEvT1_
    .private_segment_fixed_size: 0
    .sgpr_count:     0
    .sgpr_spill_count: 0
    .symbol:         _ZN7rocprim17ROCPRIM_400000_NS6detail17trampoline_kernelINS0_14default_configENS1_27scan_by_key_config_selectorIiiEEZZNS1_16scan_by_key_implILNS1_25lookback_scan_determinismE0ELb0ES3_PKiN6hipcub16HIPCUB_304000_NS21ConstantInputIteratorIilEEPiiNSB_3SumENSB_8EqualityEiEE10hipError_tPvRmT2_T3_T4_T5_mT6_T7_P12ihipStream_tbENKUlT_T0_E_clISt17integral_constantIbLb0EESX_EEDaSS_ST_EUlSS_E_NS1_11comp_targetILNS1_3genE9ELNS1_11target_archE1100ELNS1_3gpuE3ELNS1_3repE0EEENS1_30default_config_static_selectorELNS0_4arch9wavefront6targetE0EEEvT1_.kd
    .uniform_work_group_size: 1
    .uses_dynamic_stack: false
    .vgpr_count:     0
    .vgpr_spill_count: 0
    .wavefront_size: 32
  - .args:
      - .offset:         0
        .size:           120
        .value_kind:     by_value
    .group_segment_fixed_size: 0
    .kernarg_segment_align: 8
    .kernarg_segment_size: 120
    .language:       OpenCL C
    .language_version:
      - 2
      - 0
    .max_flat_workgroup_size: 256
    .name:           _ZN7rocprim17ROCPRIM_400000_NS6detail17trampoline_kernelINS0_14default_configENS1_27scan_by_key_config_selectorIiiEEZZNS1_16scan_by_key_implILNS1_25lookback_scan_determinismE0ELb0ES3_PKiN6hipcub16HIPCUB_304000_NS21ConstantInputIteratorIilEEPiiNSB_3SumENSB_8EqualityEiEE10hipError_tPvRmT2_T3_T4_T5_mT6_T7_P12ihipStream_tbENKUlT_T0_E_clISt17integral_constantIbLb0EESX_EEDaSS_ST_EUlSS_E_NS1_11comp_targetILNS1_3genE8ELNS1_11target_archE1030ELNS1_3gpuE2ELNS1_3repE0EEENS1_30default_config_static_selectorELNS0_4arch9wavefront6targetE0EEEvT1_
    .private_segment_fixed_size: 0
    .sgpr_count:     0
    .sgpr_spill_count: 0
    .symbol:         _ZN7rocprim17ROCPRIM_400000_NS6detail17trampoline_kernelINS0_14default_configENS1_27scan_by_key_config_selectorIiiEEZZNS1_16scan_by_key_implILNS1_25lookback_scan_determinismE0ELb0ES3_PKiN6hipcub16HIPCUB_304000_NS21ConstantInputIteratorIilEEPiiNSB_3SumENSB_8EqualityEiEE10hipError_tPvRmT2_T3_T4_T5_mT6_T7_P12ihipStream_tbENKUlT_T0_E_clISt17integral_constantIbLb0EESX_EEDaSS_ST_EUlSS_E_NS1_11comp_targetILNS1_3genE8ELNS1_11target_archE1030ELNS1_3gpuE2ELNS1_3repE0EEENS1_30default_config_static_selectorELNS0_4arch9wavefront6targetE0EEEvT1_.kd
    .uniform_work_group_size: 1
    .uses_dynamic_stack: false
    .vgpr_count:     0
    .vgpr_spill_count: 0
    .wavefront_size: 32
  - .args:
      - .address_space:  global
        .offset:         0
        .size:           8
        .value_kind:     global_buffer
      - .offset:         8
        .size:           4
        .value_kind:     by_value
      - .offset:         12
        .size:           4
        .value_kind:     by_value
      - .address_space:  global
        .offset:         16
        .size:           8
        .value_kind:     global_buffer
      - .address_space:  global
        .offset:         24
        .size:           8
        .value_kind:     global_buffer
      - .actual_access:  write_only
        .address_space:  global
        .offset:         32
        .size:           8
        .value_kind:     global_buffer
      - .offset:         40
        .size:           8
        .value_kind:     by_value
      - .offset:         48
        .size:           4
        .value_kind:     by_value
      - .address_space:  global
        .offset:         56
        .size:           8
        .value_kind:     global_buffer
      - .offset:         64
        .size:           4
        .value_kind:     hidden_block_count_x
      - .offset:         68
        .size:           4
        .value_kind:     hidden_block_count_y
      - .offset:         72
        .size:           4
        .value_kind:     hidden_block_count_z
      - .offset:         76
        .size:           2
        .value_kind:     hidden_group_size_x
      - .offset:         78
        .size:           2
        .value_kind:     hidden_group_size_y
      - .offset:         80
        .size:           2
        .value_kind:     hidden_group_size_z
      - .offset:         82
        .size:           2
        .value_kind:     hidden_remainder_x
      - .offset:         84
        .size:           2
        .value_kind:     hidden_remainder_y
      - .offset:         86
        .size:           2
        .value_kind:     hidden_remainder_z
      - .offset:         104
        .size:           8
        .value_kind:     hidden_global_offset_x
      - .offset:         112
        .size:           8
        .value_kind:     hidden_global_offset_y
      - .offset:         120
        .size:           8
        .value_kind:     hidden_global_offset_z
      - .offset:         128
        .size:           2
        .value_kind:     hidden_grid_dims
    .group_segment_fixed_size: 0
    .kernarg_segment_align: 8
    .kernarg_segment_size: 320
    .language:       OpenCL C
    .language_version:
      - 2
      - 0
    .max_flat_workgroup_size: 256
    .name:           _ZN7rocprim17ROCPRIM_400000_NS6detail30init_device_scan_by_key_kernelINS1_19lookback_scan_stateINS0_5tupleIJibEEELb1ELb1EEEPKijNS1_16block_id_wrapperIjLb1EEEEEvT_jjPNSB_10value_typeET0_PNSt15iterator_traitsISE_E10value_typeEmT1_T2_
    .private_segment_fixed_size: 0
    .sgpr_count:     19
    .sgpr_spill_count: 0
    .symbol:         _ZN7rocprim17ROCPRIM_400000_NS6detail30init_device_scan_by_key_kernelINS1_19lookback_scan_stateINS0_5tupleIJibEEELb1ELb1EEEPKijNS1_16block_id_wrapperIjLb1EEEEEvT_jjPNSB_10value_typeET0_PNSt15iterator_traitsISE_E10value_typeEmT1_T2_.kd
    .uniform_work_group_size: 1
    .uses_dynamic_stack: false
    .vgpr_count:     10
    .vgpr_spill_count: 0
    .wavefront_size: 32
  - .args:
      - .address_space:  global
        .offset:         0
        .size:           8
        .value_kind:     global_buffer
      - .offset:         8
        .size:           4
        .value_kind:     by_value
      - .offset:         12
        .size:           4
        .value_kind:     by_value
      - .address_space:  global
        .offset:         16
        .size:           8
        .value_kind:     global_buffer
      - .address_space:  global
        .offset:         24
        .size:           8
        .value_kind:     global_buffer
      - .offset:         32
        .size:           4
        .value_kind:     hidden_block_count_x
      - .offset:         36
        .size:           4
        .value_kind:     hidden_block_count_y
      - .offset:         40
        .size:           4
        .value_kind:     hidden_block_count_z
      - .offset:         44
        .size:           2
        .value_kind:     hidden_group_size_x
      - .offset:         46
        .size:           2
        .value_kind:     hidden_group_size_y
      - .offset:         48
        .size:           2
        .value_kind:     hidden_group_size_z
      - .offset:         50
        .size:           2
        .value_kind:     hidden_remainder_x
      - .offset:         52
        .size:           2
        .value_kind:     hidden_remainder_y
      - .offset:         54
        .size:           2
        .value_kind:     hidden_remainder_z
      - .offset:         72
        .size:           8
        .value_kind:     hidden_global_offset_x
      - .offset:         80
        .size:           8
        .value_kind:     hidden_global_offset_y
      - .offset:         88
        .size:           8
        .value_kind:     hidden_global_offset_z
      - .offset:         96
        .size:           2
        .value_kind:     hidden_grid_dims
    .group_segment_fixed_size: 0
    .kernarg_segment_align: 8
    .kernarg_segment_size: 288
    .language:       OpenCL C
    .language_version:
      - 2
      - 0
    .max_flat_workgroup_size: 256
    .name:           _ZN7rocprim17ROCPRIM_400000_NS6detail30init_device_scan_by_key_kernelINS1_19lookback_scan_stateINS0_5tupleIJibEEELb1ELb1EEENS1_16block_id_wrapperIjLb1EEEEEvT_jjPNS9_10value_typeET0_
    .private_segment_fixed_size: 0
    .sgpr_count:     15
    .sgpr_spill_count: 0
    .symbol:         _ZN7rocprim17ROCPRIM_400000_NS6detail30init_device_scan_by_key_kernelINS1_19lookback_scan_stateINS0_5tupleIJibEEELb1ELb1EEENS1_16block_id_wrapperIjLb1EEEEEvT_jjPNS9_10value_typeET0_.kd
    .uniform_work_group_size: 1
    .uses_dynamic_stack: false
    .vgpr_count:     9
    .vgpr_spill_count: 0
    .wavefront_size: 32
  - .args:
      - .offset:         0
        .size:           120
        .value_kind:     by_value
    .group_segment_fixed_size: 0
    .kernarg_segment_align: 8
    .kernarg_segment_size: 120
    .language:       OpenCL C
    .language_version:
      - 2
      - 0
    .max_flat_workgroup_size: 256
    .name:           _ZN7rocprim17ROCPRIM_400000_NS6detail17trampoline_kernelINS0_14default_configENS1_27scan_by_key_config_selectorIiiEEZZNS1_16scan_by_key_implILNS1_25lookback_scan_determinismE0ELb0ES3_PKiN6hipcub16HIPCUB_304000_NS21ConstantInputIteratorIilEEPiiNSB_3SumENSB_8EqualityEiEE10hipError_tPvRmT2_T3_T4_T5_mT6_T7_P12ihipStream_tbENKUlT_T0_E_clISt17integral_constantIbLb1EESX_EEDaSS_ST_EUlSS_E_NS1_11comp_targetILNS1_3genE0ELNS1_11target_archE4294967295ELNS1_3gpuE0ELNS1_3repE0EEENS1_30default_config_static_selectorELNS0_4arch9wavefront6targetE0EEEvT1_
    .private_segment_fixed_size: 0
    .sgpr_count:     0
    .sgpr_spill_count: 0
    .symbol:         _ZN7rocprim17ROCPRIM_400000_NS6detail17trampoline_kernelINS0_14default_configENS1_27scan_by_key_config_selectorIiiEEZZNS1_16scan_by_key_implILNS1_25lookback_scan_determinismE0ELb0ES3_PKiN6hipcub16HIPCUB_304000_NS21ConstantInputIteratorIilEEPiiNSB_3SumENSB_8EqualityEiEE10hipError_tPvRmT2_T3_T4_T5_mT6_T7_P12ihipStream_tbENKUlT_T0_E_clISt17integral_constantIbLb1EESX_EEDaSS_ST_EUlSS_E_NS1_11comp_targetILNS1_3genE0ELNS1_11target_archE4294967295ELNS1_3gpuE0ELNS1_3repE0EEENS1_30default_config_static_selectorELNS0_4arch9wavefront6targetE0EEEvT1_.kd
    .uniform_work_group_size: 1
    .uses_dynamic_stack: false
    .vgpr_count:     0
    .vgpr_spill_count: 0
    .wavefront_size: 32
  - .args:
      - .offset:         0
        .size:           120
        .value_kind:     by_value
    .group_segment_fixed_size: 0
    .kernarg_segment_align: 8
    .kernarg_segment_size: 120
    .language:       OpenCL C
    .language_version:
      - 2
      - 0
    .max_flat_workgroup_size: 256
    .name:           _ZN7rocprim17ROCPRIM_400000_NS6detail17trampoline_kernelINS0_14default_configENS1_27scan_by_key_config_selectorIiiEEZZNS1_16scan_by_key_implILNS1_25lookback_scan_determinismE0ELb0ES3_PKiN6hipcub16HIPCUB_304000_NS21ConstantInputIteratorIilEEPiiNSB_3SumENSB_8EqualityEiEE10hipError_tPvRmT2_T3_T4_T5_mT6_T7_P12ihipStream_tbENKUlT_T0_E_clISt17integral_constantIbLb1EESX_EEDaSS_ST_EUlSS_E_NS1_11comp_targetILNS1_3genE10ELNS1_11target_archE1201ELNS1_3gpuE5ELNS1_3repE0EEENS1_30default_config_static_selectorELNS0_4arch9wavefront6targetE0EEEvT1_
    .private_segment_fixed_size: 0
    .sgpr_count:     0
    .sgpr_spill_count: 0
    .symbol:         _ZN7rocprim17ROCPRIM_400000_NS6detail17trampoline_kernelINS0_14default_configENS1_27scan_by_key_config_selectorIiiEEZZNS1_16scan_by_key_implILNS1_25lookback_scan_determinismE0ELb0ES3_PKiN6hipcub16HIPCUB_304000_NS21ConstantInputIteratorIilEEPiiNSB_3SumENSB_8EqualityEiEE10hipError_tPvRmT2_T3_T4_T5_mT6_T7_P12ihipStream_tbENKUlT_T0_E_clISt17integral_constantIbLb1EESX_EEDaSS_ST_EUlSS_E_NS1_11comp_targetILNS1_3genE10ELNS1_11target_archE1201ELNS1_3gpuE5ELNS1_3repE0EEENS1_30default_config_static_selectorELNS0_4arch9wavefront6targetE0EEEvT1_.kd
    .uniform_work_group_size: 1
    .uses_dynamic_stack: false
    .vgpr_count:     0
    .vgpr_spill_count: 0
    .wavefront_size: 32
  - .args:
      - .offset:         0
        .size:           120
        .value_kind:     by_value
    .group_segment_fixed_size: 0
    .kernarg_segment_align: 8
    .kernarg_segment_size: 120
    .language:       OpenCL C
    .language_version:
      - 2
      - 0
    .max_flat_workgroup_size: 256
    .name:           _ZN7rocprim17ROCPRIM_400000_NS6detail17trampoline_kernelINS0_14default_configENS1_27scan_by_key_config_selectorIiiEEZZNS1_16scan_by_key_implILNS1_25lookback_scan_determinismE0ELb0ES3_PKiN6hipcub16HIPCUB_304000_NS21ConstantInputIteratorIilEEPiiNSB_3SumENSB_8EqualityEiEE10hipError_tPvRmT2_T3_T4_T5_mT6_T7_P12ihipStream_tbENKUlT_T0_E_clISt17integral_constantIbLb1EESX_EEDaSS_ST_EUlSS_E_NS1_11comp_targetILNS1_3genE5ELNS1_11target_archE942ELNS1_3gpuE9ELNS1_3repE0EEENS1_30default_config_static_selectorELNS0_4arch9wavefront6targetE0EEEvT1_
    .private_segment_fixed_size: 0
    .sgpr_count:     0
    .sgpr_spill_count: 0
    .symbol:         _ZN7rocprim17ROCPRIM_400000_NS6detail17trampoline_kernelINS0_14default_configENS1_27scan_by_key_config_selectorIiiEEZZNS1_16scan_by_key_implILNS1_25lookback_scan_determinismE0ELb0ES3_PKiN6hipcub16HIPCUB_304000_NS21ConstantInputIteratorIilEEPiiNSB_3SumENSB_8EqualityEiEE10hipError_tPvRmT2_T3_T4_T5_mT6_T7_P12ihipStream_tbENKUlT_T0_E_clISt17integral_constantIbLb1EESX_EEDaSS_ST_EUlSS_E_NS1_11comp_targetILNS1_3genE5ELNS1_11target_archE942ELNS1_3gpuE9ELNS1_3repE0EEENS1_30default_config_static_selectorELNS0_4arch9wavefront6targetE0EEEvT1_.kd
    .uniform_work_group_size: 1
    .uses_dynamic_stack: false
    .vgpr_count:     0
    .vgpr_spill_count: 0
    .wavefront_size: 32
  - .args:
      - .offset:         0
        .size:           120
        .value_kind:     by_value
    .group_segment_fixed_size: 0
    .kernarg_segment_align: 8
    .kernarg_segment_size: 120
    .language:       OpenCL C
    .language_version:
      - 2
      - 0
    .max_flat_workgroup_size: 256
    .name:           _ZN7rocprim17ROCPRIM_400000_NS6detail17trampoline_kernelINS0_14default_configENS1_27scan_by_key_config_selectorIiiEEZZNS1_16scan_by_key_implILNS1_25lookback_scan_determinismE0ELb0ES3_PKiN6hipcub16HIPCUB_304000_NS21ConstantInputIteratorIilEEPiiNSB_3SumENSB_8EqualityEiEE10hipError_tPvRmT2_T3_T4_T5_mT6_T7_P12ihipStream_tbENKUlT_T0_E_clISt17integral_constantIbLb1EESX_EEDaSS_ST_EUlSS_E_NS1_11comp_targetILNS1_3genE4ELNS1_11target_archE910ELNS1_3gpuE8ELNS1_3repE0EEENS1_30default_config_static_selectorELNS0_4arch9wavefront6targetE0EEEvT1_
    .private_segment_fixed_size: 0
    .sgpr_count:     0
    .sgpr_spill_count: 0
    .symbol:         _ZN7rocprim17ROCPRIM_400000_NS6detail17trampoline_kernelINS0_14default_configENS1_27scan_by_key_config_selectorIiiEEZZNS1_16scan_by_key_implILNS1_25lookback_scan_determinismE0ELb0ES3_PKiN6hipcub16HIPCUB_304000_NS21ConstantInputIteratorIilEEPiiNSB_3SumENSB_8EqualityEiEE10hipError_tPvRmT2_T3_T4_T5_mT6_T7_P12ihipStream_tbENKUlT_T0_E_clISt17integral_constantIbLb1EESX_EEDaSS_ST_EUlSS_E_NS1_11comp_targetILNS1_3genE4ELNS1_11target_archE910ELNS1_3gpuE8ELNS1_3repE0EEENS1_30default_config_static_selectorELNS0_4arch9wavefront6targetE0EEEvT1_.kd
    .uniform_work_group_size: 1
    .uses_dynamic_stack: false
    .vgpr_count:     0
    .vgpr_spill_count: 0
    .wavefront_size: 32
  - .args:
      - .offset:         0
        .size:           120
        .value_kind:     by_value
    .group_segment_fixed_size: 0
    .kernarg_segment_align: 8
    .kernarg_segment_size: 120
    .language:       OpenCL C
    .language_version:
      - 2
      - 0
    .max_flat_workgroup_size: 256
    .name:           _ZN7rocprim17ROCPRIM_400000_NS6detail17trampoline_kernelINS0_14default_configENS1_27scan_by_key_config_selectorIiiEEZZNS1_16scan_by_key_implILNS1_25lookback_scan_determinismE0ELb0ES3_PKiN6hipcub16HIPCUB_304000_NS21ConstantInputIteratorIilEEPiiNSB_3SumENSB_8EqualityEiEE10hipError_tPvRmT2_T3_T4_T5_mT6_T7_P12ihipStream_tbENKUlT_T0_E_clISt17integral_constantIbLb1EESX_EEDaSS_ST_EUlSS_E_NS1_11comp_targetILNS1_3genE3ELNS1_11target_archE908ELNS1_3gpuE7ELNS1_3repE0EEENS1_30default_config_static_selectorELNS0_4arch9wavefront6targetE0EEEvT1_
    .private_segment_fixed_size: 0
    .sgpr_count:     0
    .sgpr_spill_count: 0
    .symbol:         _ZN7rocprim17ROCPRIM_400000_NS6detail17trampoline_kernelINS0_14default_configENS1_27scan_by_key_config_selectorIiiEEZZNS1_16scan_by_key_implILNS1_25lookback_scan_determinismE0ELb0ES3_PKiN6hipcub16HIPCUB_304000_NS21ConstantInputIteratorIilEEPiiNSB_3SumENSB_8EqualityEiEE10hipError_tPvRmT2_T3_T4_T5_mT6_T7_P12ihipStream_tbENKUlT_T0_E_clISt17integral_constantIbLb1EESX_EEDaSS_ST_EUlSS_E_NS1_11comp_targetILNS1_3genE3ELNS1_11target_archE908ELNS1_3gpuE7ELNS1_3repE0EEENS1_30default_config_static_selectorELNS0_4arch9wavefront6targetE0EEEvT1_.kd
    .uniform_work_group_size: 1
    .uses_dynamic_stack: false
    .vgpr_count:     0
    .vgpr_spill_count: 0
    .wavefront_size: 32
  - .args:
      - .offset:         0
        .size:           120
        .value_kind:     by_value
    .group_segment_fixed_size: 0
    .kernarg_segment_align: 8
    .kernarg_segment_size: 120
    .language:       OpenCL C
    .language_version:
      - 2
      - 0
    .max_flat_workgroup_size: 256
    .name:           _ZN7rocprim17ROCPRIM_400000_NS6detail17trampoline_kernelINS0_14default_configENS1_27scan_by_key_config_selectorIiiEEZZNS1_16scan_by_key_implILNS1_25lookback_scan_determinismE0ELb0ES3_PKiN6hipcub16HIPCUB_304000_NS21ConstantInputIteratorIilEEPiiNSB_3SumENSB_8EqualityEiEE10hipError_tPvRmT2_T3_T4_T5_mT6_T7_P12ihipStream_tbENKUlT_T0_E_clISt17integral_constantIbLb1EESX_EEDaSS_ST_EUlSS_E_NS1_11comp_targetILNS1_3genE2ELNS1_11target_archE906ELNS1_3gpuE6ELNS1_3repE0EEENS1_30default_config_static_selectorELNS0_4arch9wavefront6targetE0EEEvT1_
    .private_segment_fixed_size: 0
    .sgpr_count:     0
    .sgpr_spill_count: 0
    .symbol:         _ZN7rocprim17ROCPRIM_400000_NS6detail17trampoline_kernelINS0_14default_configENS1_27scan_by_key_config_selectorIiiEEZZNS1_16scan_by_key_implILNS1_25lookback_scan_determinismE0ELb0ES3_PKiN6hipcub16HIPCUB_304000_NS21ConstantInputIteratorIilEEPiiNSB_3SumENSB_8EqualityEiEE10hipError_tPvRmT2_T3_T4_T5_mT6_T7_P12ihipStream_tbENKUlT_T0_E_clISt17integral_constantIbLb1EESX_EEDaSS_ST_EUlSS_E_NS1_11comp_targetILNS1_3genE2ELNS1_11target_archE906ELNS1_3gpuE6ELNS1_3repE0EEENS1_30default_config_static_selectorELNS0_4arch9wavefront6targetE0EEEvT1_.kd
    .uniform_work_group_size: 1
    .uses_dynamic_stack: false
    .vgpr_count:     0
    .vgpr_spill_count: 0
    .wavefront_size: 32
  - .args:
      - .offset:         0
        .size:           120
        .value_kind:     by_value
    .group_segment_fixed_size: 0
    .kernarg_segment_align: 8
    .kernarg_segment_size: 120
    .language:       OpenCL C
    .language_version:
      - 2
      - 0
    .max_flat_workgroup_size: 256
    .name:           _ZN7rocprim17ROCPRIM_400000_NS6detail17trampoline_kernelINS0_14default_configENS1_27scan_by_key_config_selectorIiiEEZZNS1_16scan_by_key_implILNS1_25lookback_scan_determinismE0ELb0ES3_PKiN6hipcub16HIPCUB_304000_NS21ConstantInputIteratorIilEEPiiNSB_3SumENSB_8EqualityEiEE10hipError_tPvRmT2_T3_T4_T5_mT6_T7_P12ihipStream_tbENKUlT_T0_E_clISt17integral_constantIbLb1EESX_EEDaSS_ST_EUlSS_E_NS1_11comp_targetILNS1_3genE10ELNS1_11target_archE1200ELNS1_3gpuE4ELNS1_3repE0EEENS1_30default_config_static_selectorELNS0_4arch9wavefront6targetE0EEEvT1_
    .private_segment_fixed_size: 0
    .sgpr_count:     0
    .sgpr_spill_count: 0
    .symbol:         _ZN7rocprim17ROCPRIM_400000_NS6detail17trampoline_kernelINS0_14default_configENS1_27scan_by_key_config_selectorIiiEEZZNS1_16scan_by_key_implILNS1_25lookback_scan_determinismE0ELb0ES3_PKiN6hipcub16HIPCUB_304000_NS21ConstantInputIteratorIilEEPiiNSB_3SumENSB_8EqualityEiEE10hipError_tPvRmT2_T3_T4_T5_mT6_T7_P12ihipStream_tbENKUlT_T0_E_clISt17integral_constantIbLb1EESX_EEDaSS_ST_EUlSS_E_NS1_11comp_targetILNS1_3genE10ELNS1_11target_archE1200ELNS1_3gpuE4ELNS1_3repE0EEENS1_30default_config_static_selectorELNS0_4arch9wavefront6targetE0EEEvT1_.kd
    .uniform_work_group_size: 1
    .uses_dynamic_stack: false
    .vgpr_count:     0
    .vgpr_spill_count: 0
    .wavefront_size: 32
  - .args:
      - .offset:         0
        .size:           120
        .value_kind:     by_value
    .group_segment_fixed_size: 0
    .kernarg_segment_align: 8
    .kernarg_segment_size: 120
    .language:       OpenCL C
    .language_version:
      - 2
      - 0
    .max_flat_workgroup_size: 256
    .name:           _ZN7rocprim17ROCPRIM_400000_NS6detail17trampoline_kernelINS0_14default_configENS1_27scan_by_key_config_selectorIiiEEZZNS1_16scan_by_key_implILNS1_25lookback_scan_determinismE0ELb0ES3_PKiN6hipcub16HIPCUB_304000_NS21ConstantInputIteratorIilEEPiiNSB_3SumENSB_8EqualityEiEE10hipError_tPvRmT2_T3_T4_T5_mT6_T7_P12ihipStream_tbENKUlT_T0_E_clISt17integral_constantIbLb1EESX_EEDaSS_ST_EUlSS_E_NS1_11comp_targetILNS1_3genE9ELNS1_11target_archE1100ELNS1_3gpuE3ELNS1_3repE0EEENS1_30default_config_static_selectorELNS0_4arch9wavefront6targetE0EEEvT1_
    .private_segment_fixed_size: 0
    .sgpr_count:     0
    .sgpr_spill_count: 0
    .symbol:         _ZN7rocprim17ROCPRIM_400000_NS6detail17trampoline_kernelINS0_14default_configENS1_27scan_by_key_config_selectorIiiEEZZNS1_16scan_by_key_implILNS1_25lookback_scan_determinismE0ELb0ES3_PKiN6hipcub16HIPCUB_304000_NS21ConstantInputIteratorIilEEPiiNSB_3SumENSB_8EqualityEiEE10hipError_tPvRmT2_T3_T4_T5_mT6_T7_P12ihipStream_tbENKUlT_T0_E_clISt17integral_constantIbLb1EESX_EEDaSS_ST_EUlSS_E_NS1_11comp_targetILNS1_3genE9ELNS1_11target_archE1100ELNS1_3gpuE3ELNS1_3repE0EEENS1_30default_config_static_selectorELNS0_4arch9wavefront6targetE0EEEvT1_.kd
    .uniform_work_group_size: 1
    .uses_dynamic_stack: false
    .vgpr_count:     0
    .vgpr_spill_count: 0
    .wavefront_size: 32
  - .args:
      - .offset:         0
        .size:           120
        .value_kind:     by_value
    .group_segment_fixed_size: 0
    .kernarg_segment_align: 8
    .kernarg_segment_size: 120
    .language:       OpenCL C
    .language_version:
      - 2
      - 0
    .max_flat_workgroup_size: 256
    .name:           _ZN7rocprim17ROCPRIM_400000_NS6detail17trampoline_kernelINS0_14default_configENS1_27scan_by_key_config_selectorIiiEEZZNS1_16scan_by_key_implILNS1_25lookback_scan_determinismE0ELb0ES3_PKiN6hipcub16HIPCUB_304000_NS21ConstantInputIteratorIilEEPiiNSB_3SumENSB_8EqualityEiEE10hipError_tPvRmT2_T3_T4_T5_mT6_T7_P12ihipStream_tbENKUlT_T0_E_clISt17integral_constantIbLb1EESX_EEDaSS_ST_EUlSS_E_NS1_11comp_targetILNS1_3genE8ELNS1_11target_archE1030ELNS1_3gpuE2ELNS1_3repE0EEENS1_30default_config_static_selectorELNS0_4arch9wavefront6targetE0EEEvT1_
    .private_segment_fixed_size: 0
    .sgpr_count:     0
    .sgpr_spill_count: 0
    .symbol:         _ZN7rocprim17ROCPRIM_400000_NS6detail17trampoline_kernelINS0_14default_configENS1_27scan_by_key_config_selectorIiiEEZZNS1_16scan_by_key_implILNS1_25lookback_scan_determinismE0ELb0ES3_PKiN6hipcub16HIPCUB_304000_NS21ConstantInputIteratorIilEEPiiNSB_3SumENSB_8EqualityEiEE10hipError_tPvRmT2_T3_T4_T5_mT6_T7_P12ihipStream_tbENKUlT_T0_E_clISt17integral_constantIbLb1EESX_EEDaSS_ST_EUlSS_E_NS1_11comp_targetILNS1_3genE8ELNS1_11target_archE1030ELNS1_3gpuE2ELNS1_3repE0EEENS1_30default_config_static_selectorELNS0_4arch9wavefront6targetE0EEEvT1_.kd
    .uniform_work_group_size: 1
    .uses_dynamic_stack: false
    .vgpr_count:     0
    .vgpr_spill_count: 0
    .wavefront_size: 32
  - .args:
      - .address_space:  global
        .offset:         0
        .size:           8
        .value_kind:     global_buffer
      - .offset:         8
        .size:           4
        .value_kind:     by_value
      - .offset:         12
        .size:           4
        .value_kind:     by_value
      - .address_space:  global
        .offset:         16
        .size:           8
        .value_kind:     global_buffer
      - .address_space:  global
        .offset:         24
        .size:           8
        .value_kind:     global_buffer
      - .actual_access:  write_only
        .address_space:  global
        .offset:         32
        .size:           8
        .value_kind:     global_buffer
      - .offset:         40
        .size:           8
        .value_kind:     by_value
      - .offset:         48
        .size:           4
        .value_kind:     by_value
      - .offset:         52
        .size:           1
        .value_kind:     by_value
      - .offset:         56
        .size:           4
        .value_kind:     hidden_block_count_x
      - .offset:         60
        .size:           4
        .value_kind:     hidden_block_count_y
      - .offset:         64
        .size:           4
        .value_kind:     hidden_block_count_z
      - .offset:         68
        .size:           2
        .value_kind:     hidden_group_size_x
      - .offset:         70
        .size:           2
        .value_kind:     hidden_group_size_y
      - .offset:         72
        .size:           2
        .value_kind:     hidden_group_size_z
      - .offset:         74
        .size:           2
        .value_kind:     hidden_remainder_x
      - .offset:         76
        .size:           2
        .value_kind:     hidden_remainder_y
      - .offset:         78
        .size:           2
        .value_kind:     hidden_remainder_z
      - .offset:         96
        .size:           8
        .value_kind:     hidden_global_offset_x
      - .offset:         104
        .size:           8
        .value_kind:     hidden_global_offset_y
      - .offset:         112
        .size:           8
        .value_kind:     hidden_global_offset_z
      - .offset:         120
        .size:           2
        .value_kind:     hidden_grid_dims
    .group_segment_fixed_size: 0
    .kernarg_segment_align: 8
    .kernarg_segment_size: 312
    .language:       OpenCL C
    .language_version:
      - 2
      - 0
    .max_flat_workgroup_size: 256
    .name:           _ZN7rocprim17ROCPRIM_400000_NS6detail30init_device_scan_by_key_kernelINS1_19lookback_scan_stateINS0_5tupleIJibEEELb1ELb1EEEPKijNS1_16block_id_wrapperIjLb0EEEEEvT_jjPNSB_10value_typeET0_PNSt15iterator_traitsISE_E10value_typeEmT1_T2_
    .private_segment_fixed_size: 0
    .sgpr_count:     19
    .sgpr_spill_count: 0
    .symbol:         _ZN7rocprim17ROCPRIM_400000_NS6detail30init_device_scan_by_key_kernelINS1_19lookback_scan_stateINS0_5tupleIJibEEELb1ELb1EEEPKijNS1_16block_id_wrapperIjLb0EEEEEvT_jjPNSB_10value_typeET0_PNSt15iterator_traitsISE_E10value_typeEmT1_T2_.kd
    .uniform_work_group_size: 1
    .uses_dynamic_stack: false
    .vgpr_count:     10
    .vgpr_spill_count: 0
    .wavefront_size: 32
  - .args:
      - .address_space:  global
        .offset:         0
        .size:           8
        .value_kind:     global_buffer
      - .offset:         8
        .size:           4
        .value_kind:     by_value
      - .offset:         12
        .size:           4
        .value_kind:     by_value
      - .address_space:  global
        .offset:         16
        .size:           8
        .value_kind:     global_buffer
      - .offset:         24
        .size:           1
        .value_kind:     by_value
      - .offset:         32
        .size:           4
        .value_kind:     hidden_block_count_x
      - .offset:         36
        .size:           4
        .value_kind:     hidden_block_count_y
      - .offset:         40
        .size:           4
        .value_kind:     hidden_block_count_z
      - .offset:         44
        .size:           2
        .value_kind:     hidden_group_size_x
      - .offset:         46
        .size:           2
        .value_kind:     hidden_group_size_y
      - .offset:         48
        .size:           2
        .value_kind:     hidden_group_size_z
      - .offset:         50
        .size:           2
        .value_kind:     hidden_remainder_x
      - .offset:         52
        .size:           2
        .value_kind:     hidden_remainder_y
      - .offset:         54
        .size:           2
        .value_kind:     hidden_remainder_z
      - .offset:         72
        .size:           8
        .value_kind:     hidden_global_offset_x
      - .offset:         80
        .size:           8
        .value_kind:     hidden_global_offset_y
      - .offset:         88
        .size:           8
        .value_kind:     hidden_global_offset_z
      - .offset:         96
        .size:           2
        .value_kind:     hidden_grid_dims
    .group_segment_fixed_size: 0
    .kernarg_segment_align: 8
    .kernarg_segment_size: 288
    .language:       OpenCL C
    .language_version:
      - 2
      - 0
    .max_flat_workgroup_size: 256
    .name:           _ZN7rocprim17ROCPRIM_400000_NS6detail30init_device_scan_by_key_kernelINS1_19lookback_scan_stateINS0_5tupleIJibEEELb1ELb1EEENS1_16block_id_wrapperIjLb0EEEEEvT_jjPNS9_10value_typeET0_
    .private_segment_fixed_size: 0
    .sgpr_count:     13
    .sgpr_spill_count: 0
    .symbol:         _ZN7rocprim17ROCPRIM_400000_NS6detail30init_device_scan_by_key_kernelINS1_19lookback_scan_stateINS0_5tupleIJibEEELb1ELb1EEENS1_16block_id_wrapperIjLb0EEEEEvT_jjPNS9_10value_typeET0_.kd
    .uniform_work_group_size: 1
    .uses_dynamic_stack: false
    .vgpr_count:     9
    .vgpr_spill_count: 0
    .wavefront_size: 32
  - .args:
      - .offset:         0
        .size:           120
        .value_kind:     by_value
    .group_segment_fixed_size: 0
    .kernarg_segment_align: 8
    .kernarg_segment_size: 120
    .language:       OpenCL C
    .language_version:
      - 2
      - 0
    .max_flat_workgroup_size: 256
    .name:           _ZN7rocprim17ROCPRIM_400000_NS6detail17trampoline_kernelINS0_14default_configENS1_27scan_by_key_config_selectorIiiEEZZNS1_16scan_by_key_implILNS1_25lookback_scan_determinismE0ELb0ES3_PKiN6hipcub16HIPCUB_304000_NS21ConstantInputIteratorIilEEPiiNSB_3SumENSB_8EqualityEiEE10hipError_tPvRmT2_T3_T4_T5_mT6_T7_P12ihipStream_tbENKUlT_T0_E_clISt17integral_constantIbLb1EESW_IbLb0EEEEDaSS_ST_EUlSS_E_NS1_11comp_targetILNS1_3genE0ELNS1_11target_archE4294967295ELNS1_3gpuE0ELNS1_3repE0EEENS1_30default_config_static_selectorELNS0_4arch9wavefront6targetE0EEEvT1_
    .private_segment_fixed_size: 0
    .sgpr_count:     0
    .sgpr_spill_count: 0
    .symbol:         _ZN7rocprim17ROCPRIM_400000_NS6detail17trampoline_kernelINS0_14default_configENS1_27scan_by_key_config_selectorIiiEEZZNS1_16scan_by_key_implILNS1_25lookback_scan_determinismE0ELb0ES3_PKiN6hipcub16HIPCUB_304000_NS21ConstantInputIteratorIilEEPiiNSB_3SumENSB_8EqualityEiEE10hipError_tPvRmT2_T3_T4_T5_mT6_T7_P12ihipStream_tbENKUlT_T0_E_clISt17integral_constantIbLb1EESW_IbLb0EEEEDaSS_ST_EUlSS_E_NS1_11comp_targetILNS1_3genE0ELNS1_11target_archE4294967295ELNS1_3gpuE0ELNS1_3repE0EEENS1_30default_config_static_selectorELNS0_4arch9wavefront6targetE0EEEvT1_.kd
    .uniform_work_group_size: 1
    .uses_dynamic_stack: false
    .vgpr_count:     0
    .vgpr_spill_count: 0
    .wavefront_size: 32
  - .args:
      - .offset:         0
        .size:           120
        .value_kind:     by_value
    .group_segment_fixed_size: 0
    .kernarg_segment_align: 8
    .kernarg_segment_size: 120
    .language:       OpenCL C
    .language_version:
      - 2
      - 0
    .max_flat_workgroup_size: 256
    .name:           _ZN7rocprim17ROCPRIM_400000_NS6detail17trampoline_kernelINS0_14default_configENS1_27scan_by_key_config_selectorIiiEEZZNS1_16scan_by_key_implILNS1_25lookback_scan_determinismE0ELb0ES3_PKiN6hipcub16HIPCUB_304000_NS21ConstantInputIteratorIilEEPiiNSB_3SumENSB_8EqualityEiEE10hipError_tPvRmT2_T3_T4_T5_mT6_T7_P12ihipStream_tbENKUlT_T0_E_clISt17integral_constantIbLb1EESW_IbLb0EEEEDaSS_ST_EUlSS_E_NS1_11comp_targetILNS1_3genE10ELNS1_11target_archE1201ELNS1_3gpuE5ELNS1_3repE0EEENS1_30default_config_static_selectorELNS0_4arch9wavefront6targetE0EEEvT1_
    .private_segment_fixed_size: 0
    .sgpr_count:     0
    .sgpr_spill_count: 0
    .symbol:         _ZN7rocprim17ROCPRIM_400000_NS6detail17trampoline_kernelINS0_14default_configENS1_27scan_by_key_config_selectorIiiEEZZNS1_16scan_by_key_implILNS1_25lookback_scan_determinismE0ELb0ES3_PKiN6hipcub16HIPCUB_304000_NS21ConstantInputIteratorIilEEPiiNSB_3SumENSB_8EqualityEiEE10hipError_tPvRmT2_T3_T4_T5_mT6_T7_P12ihipStream_tbENKUlT_T0_E_clISt17integral_constantIbLb1EESW_IbLb0EEEEDaSS_ST_EUlSS_E_NS1_11comp_targetILNS1_3genE10ELNS1_11target_archE1201ELNS1_3gpuE5ELNS1_3repE0EEENS1_30default_config_static_selectorELNS0_4arch9wavefront6targetE0EEEvT1_.kd
    .uniform_work_group_size: 1
    .uses_dynamic_stack: false
    .vgpr_count:     0
    .vgpr_spill_count: 0
    .wavefront_size: 32
  - .args:
      - .offset:         0
        .size:           120
        .value_kind:     by_value
    .group_segment_fixed_size: 0
    .kernarg_segment_align: 8
    .kernarg_segment_size: 120
    .language:       OpenCL C
    .language_version:
      - 2
      - 0
    .max_flat_workgroup_size: 256
    .name:           _ZN7rocprim17ROCPRIM_400000_NS6detail17trampoline_kernelINS0_14default_configENS1_27scan_by_key_config_selectorIiiEEZZNS1_16scan_by_key_implILNS1_25lookback_scan_determinismE0ELb0ES3_PKiN6hipcub16HIPCUB_304000_NS21ConstantInputIteratorIilEEPiiNSB_3SumENSB_8EqualityEiEE10hipError_tPvRmT2_T3_T4_T5_mT6_T7_P12ihipStream_tbENKUlT_T0_E_clISt17integral_constantIbLb1EESW_IbLb0EEEEDaSS_ST_EUlSS_E_NS1_11comp_targetILNS1_3genE5ELNS1_11target_archE942ELNS1_3gpuE9ELNS1_3repE0EEENS1_30default_config_static_selectorELNS0_4arch9wavefront6targetE0EEEvT1_
    .private_segment_fixed_size: 0
    .sgpr_count:     0
    .sgpr_spill_count: 0
    .symbol:         _ZN7rocprim17ROCPRIM_400000_NS6detail17trampoline_kernelINS0_14default_configENS1_27scan_by_key_config_selectorIiiEEZZNS1_16scan_by_key_implILNS1_25lookback_scan_determinismE0ELb0ES3_PKiN6hipcub16HIPCUB_304000_NS21ConstantInputIteratorIilEEPiiNSB_3SumENSB_8EqualityEiEE10hipError_tPvRmT2_T3_T4_T5_mT6_T7_P12ihipStream_tbENKUlT_T0_E_clISt17integral_constantIbLb1EESW_IbLb0EEEEDaSS_ST_EUlSS_E_NS1_11comp_targetILNS1_3genE5ELNS1_11target_archE942ELNS1_3gpuE9ELNS1_3repE0EEENS1_30default_config_static_selectorELNS0_4arch9wavefront6targetE0EEEvT1_.kd
    .uniform_work_group_size: 1
    .uses_dynamic_stack: false
    .vgpr_count:     0
    .vgpr_spill_count: 0
    .wavefront_size: 32
  - .args:
      - .offset:         0
        .size:           120
        .value_kind:     by_value
    .group_segment_fixed_size: 0
    .kernarg_segment_align: 8
    .kernarg_segment_size: 120
    .language:       OpenCL C
    .language_version:
      - 2
      - 0
    .max_flat_workgroup_size: 256
    .name:           _ZN7rocprim17ROCPRIM_400000_NS6detail17trampoline_kernelINS0_14default_configENS1_27scan_by_key_config_selectorIiiEEZZNS1_16scan_by_key_implILNS1_25lookback_scan_determinismE0ELb0ES3_PKiN6hipcub16HIPCUB_304000_NS21ConstantInputIteratorIilEEPiiNSB_3SumENSB_8EqualityEiEE10hipError_tPvRmT2_T3_T4_T5_mT6_T7_P12ihipStream_tbENKUlT_T0_E_clISt17integral_constantIbLb1EESW_IbLb0EEEEDaSS_ST_EUlSS_E_NS1_11comp_targetILNS1_3genE4ELNS1_11target_archE910ELNS1_3gpuE8ELNS1_3repE0EEENS1_30default_config_static_selectorELNS0_4arch9wavefront6targetE0EEEvT1_
    .private_segment_fixed_size: 0
    .sgpr_count:     0
    .sgpr_spill_count: 0
    .symbol:         _ZN7rocprim17ROCPRIM_400000_NS6detail17trampoline_kernelINS0_14default_configENS1_27scan_by_key_config_selectorIiiEEZZNS1_16scan_by_key_implILNS1_25lookback_scan_determinismE0ELb0ES3_PKiN6hipcub16HIPCUB_304000_NS21ConstantInputIteratorIilEEPiiNSB_3SumENSB_8EqualityEiEE10hipError_tPvRmT2_T3_T4_T5_mT6_T7_P12ihipStream_tbENKUlT_T0_E_clISt17integral_constantIbLb1EESW_IbLb0EEEEDaSS_ST_EUlSS_E_NS1_11comp_targetILNS1_3genE4ELNS1_11target_archE910ELNS1_3gpuE8ELNS1_3repE0EEENS1_30default_config_static_selectorELNS0_4arch9wavefront6targetE0EEEvT1_.kd
    .uniform_work_group_size: 1
    .uses_dynamic_stack: false
    .vgpr_count:     0
    .vgpr_spill_count: 0
    .wavefront_size: 32
  - .args:
      - .offset:         0
        .size:           120
        .value_kind:     by_value
    .group_segment_fixed_size: 0
    .kernarg_segment_align: 8
    .kernarg_segment_size: 120
    .language:       OpenCL C
    .language_version:
      - 2
      - 0
    .max_flat_workgroup_size: 256
    .name:           _ZN7rocprim17ROCPRIM_400000_NS6detail17trampoline_kernelINS0_14default_configENS1_27scan_by_key_config_selectorIiiEEZZNS1_16scan_by_key_implILNS1_25lookback_scan_determinismE0ELb0ES3_PKiN6hipcub16HIPCUB_304000_NS21ConstantInputIteratorIilEEPiiNSB_3SumENSB_8EqualityEiEE10hipError_tPvRmT2_T3_T4_T5_mT6_T7_P12ihipStream_tbENKUlT_T0_E_clISt17integral_constantIbLb1EESW_IbLb0EEEEDaSS_ST_EUlSS_E_NS1_11comp_targetILNS1_3genE3ELNS1_11target_archE908ELNS1_3gpuE7ELNS1_3repE0EEENS1_30default_config_static_selectorELNS0_4arch9wavefront6targetE0EEEvT1_
    .private_segment_fixed_size: 0
    .sgpr_count:     0
    .sgpr_spill_count: 0
    .symbol:         _ZN7rocprim17ROCPRIM_400000_NS6detail17trampoline_kernelINS0_14default_configENS1_27scan_by_key_config_selectorIiiEEZZNS1_16scan_by_key_implILNS1_25lookback_scan_determinismE0ELb0ES3_PKiN6hipcub16HIPCUB_304000_NS21ConstantInputIteratorIilEEPiiNSB_3SumENSB_8EqualityEiEE10hipError_tPvRmT2_T3_T4_T5_mT6_T7_P12ihipStream_tbENKUlT_T0_E_clISt17integral_constantIbLb1EESW_IbLb0EEEEDaSS_ST_EUlSS_E_NS1_11comp_targetILNS1_3genE3ELNS1_11target_archE908ELNS1_3gpuE7ELNS1_3repE0EEENS1_30default_config_static_selectorELNS0_4arch9wavefront6targetE0EEEvT1_.kd
    .uniform_work_group_size: 1
    .uses_dynamic_stack: false
    .vgpr_count:     0
    .vgpr_spill_count: 0
    .wavefront_size: 32
  - .args:
      - .offset:         0
        .size:           120
        .value_kind:     by_value
    .group_segment_fixed_size: 0
    .kernarg_segment_align: 8
    .kernarg_segment_size: 120
    .language:       OpenCL C
    .language_version:
      - 2
      - 0
    .max_flat_workgroup_size: 256
    .name:           _ZN7rocprim17ROCPRIM_400000_NS6detail17trampoline_kernelINS0_14default_configENS1_27scan_by_key_config_selectorIiiEEZZNS1_16scan_by_key_implILNS1_25lookback_scan_determinismE0ELb0ES3_PKiN6hipcub16HIPCUB_304000_NS21ConstantInputIteratorIilEEPiiNSB_3SumENSB_8EqualityEiEE10hipError_tPvRmT2_T3_T4_T5_mT6_T7_P12ihipStream_tbENKUlT_T0_E_clISt17integral_constantIbLb1EESW_IbLb0EEEEDaSS_ST_EUlSS_E_NS1_11comp_targetILNS1_3genE2ELNS1_11target_archE906ELNS1_3gpuE6ELNS1_3repE0EEENS1_30default_config_static_selectorELNS0_4arch9wavefront6targetE0EEEvT1_
    .private_segment_fixed_size: 0
    .sgpr_count:     0
    .sgpr_spill_count: 0
    .symbol:         _ZN7rocprim17ROCPRIM_400000_NS6detail17trampoline_kernelINS0_14default_configENS1_27scan_by_key_config_selectorIiiEEZZNS1_16scan_by_key_implILNS1_25lookback_scan_determinismE0ELb0ES3_PKiN6hipcub16HIPCUB_304000_NS21ConstantInputIteratorIilEEPiiNSB_3SumENSB_8EqualityEiEE10hipError_tPvRmT2_T3_T4_T5_mT6_T7_P12ihipStream_tbENKUlT_T0_E_clISt17integral_constantIbLb1EESW_IbLb0EEEEDaSS_ST_EUlSS_E_NS1_11comp_targetILNS1_3genE2ELNS1_11target_archE906ELNS1_3gpuE6ELNS1_3repE0EEENS1_30default_config_static_selectorELNS0_4arch9wavefront6targetE0EEEvT1_.kd
    .uniform_work_group_size: 1
    .uses_dynamic_stack: false
    .vgpr_count:     0
    .vgpr_spill_count: 0
    .wavefront_size: 32
  - .args:
      - .offset:         0
        .size:           120
        .value_kind:     by_value
    .group_segment_fixed_size: 0
    .kernarg_segment_align: 8
    .kernarg_segment_size: 120
    .language:       OpenCL C
    .language_version:
      - 2
      - 0
    .max_flat_workgroup_size: 256
    .name:           _ZN7rocprim17ROCPRIM_400000_NS6detail17trampoline_kernelINS0_14default_configENS1_27scan_by_key_config_selectorIiiEEZZNS1_16scan_by_key_implILNS1_25lookback_scan_determinismE0ELb0ES3_PKiN6hipcub16HIPCUB_304000_NS21ConstantInputIteratorIilEEPiiNSB_3SumENSB_8EqualityEiEE10hipError_tPvRmT2_T3_T4_T5_mT6_T7_P12ihipStream_tbENKUlT_T0_E_clISt17integral_constantIbLb1EESW_IbLb0EEEEDaSS_ST_EUlSS_E_NS1_11comp_targetILNS1_3genE10ELNS1_11target_archE1200ELNS1_3gpuE4ELNS1_3repE0EEENS1_30default_config_static_selectorELNS0_4arch9wavefront6targetE0EEEvT1_
    .private_segment_fixed_size: 0
    .sgpr_count:     0
    .sgpr_spill_count: 0
    .symbol:         _ZN7rocprim17ROCPRIM_400000_NS6detail17trampoline_kernelINS0_14default_configENS1_27scan_by_key_config_selectorIiiEEZZNS1_16scan_by_key_implILNS1_25lookback_scan_determinismE0ELb0ES3_PKiN6hipcub16HIPCUB_304000_NS21ConstantInputIteratorIilEEPiiNSB_3SumENSB_8EqualityEiEE10hipError_tPvRmT2_T3_T4_T5_mT6_T7_P12ihipStream_tbENKUlT_T0_E_clISt17integral_constantIbLb1EESW_IbLb0EEEEDaSS_ST_EUlSS_E_NS1_11comp_targetILNS1_3genE10ELNS1_11target_archE1200ELNS1_3gpuE4ELNS1_3repE0EEENS1_30default_config_static_selectorELNS0_4arch9wavefront6targetE0EEEvT1_.kd
    .uniform_work_group_size: 1
    .uses_dynamic_stack: false
    .vgpr_count:     0
    .vgpr_spill_count: 0
    .wavefront_size: 32
  - .args:
      - .offset:         0
        .size:           120
        .value_kind:     by_value
    .group_segment_fixed_size: 0
    .kernarg_segment_align: 8
    .kernarg_segment_size: 120
    .language:       OpenCL C
    .language_version:
      - 2
      - 0
    .max_flat_workgroup_size: 256
    .name:           _ZN7rocprim17ROCPRIM_400000_NS6detail17trampoline_kernelINS0_14default_configENS1_27scan_by_key_config_selectorIiiEEZZNS1_16scan_by_key_implILNS1_25lookback_scan_determinismE0ELb0ES3_PKiN6hipcub16HIPCUB_304000_NS21ConstantInputIteratorIilEEPiiNSB_3SumENSB_8EqualityEiEE10hipError_tPvRmT2_T3_T4_T5_mT6_T7_P12ihipStream_tbENKUlT_T0_E_clISt17integral_constantIbLb1EESW_IbLb0EEEEDaSS_ST_EUlSS_E_NS1_11comp_targetILNS1_3genE9ELNS1_11target_archE1100ELNS1_3gpuE3ELNS1_3repE0EEENS1_30default_config_static_selectorELNS0_4arch9wavefront6targetE0EEEvT1_
    .private_segment_fixed_size: 0
    .sgpr_count:     0
    .sgpr_spill_count: 0
    .symbol:         _ZN7rocprim17ROCPRIM_400000_NS6detail17trampoline_kernelINS0_14default_configENS1_27scan_by_key_config_selectorIiiEEZZNS1_16scan_by_key_implILNS1_25lookback_scan_determinismE0ELb0ES3_PKiN6hipcub16HIPCUB_304000_NS21ConstantInputIteratorIilEEPiiNSB_3SumENSB_8EqualityEiEE10hipError_tPvRmT2_T3_T4_T5_mT6_T7_P12ihipStream_tbENKUlT_T0_E_clISt17integral_constantIbLb1EESW_IbLb0EEEEDaSS_ST_EUlSS_E_NS1_11comp_targetILNS1_3genE9ELNS1_11target_archE1100ELNS1_3gpuE3ELNS1_3repE0EEENS1_30default_config_static_selectorELNS0_4arch9wavefront6targetE0EEEvT1_.kd
    .uniform_work_group_size: 1
    .uses_dynamic_stack: false
    .vgpr_count:     0
    .vgpr_spill_count: 0
    .wavefront_size: 32
  - .args:
      - .offset:         0
        .size:           120
        .value_kind:     by_value
    .group_segment_fixed_size: 0
    .kernarg_segment_align: 8
    .kernarg_segment_size: 120
    .language:       OpenCL C
    .language_version:
      - 2
      - 0
    .max_flat_workgroup_size: 256
    .name:           _ZN7rocprim17ROCPRIM_400000_NS6detail17trampoline_kernelINS0_14default_configENS1_27scan_by_key_config_selectorIiiEEZZNS1_16scan_by_key_implILNS1_25lookback_scan_determinismE0ELb0ES3_PKiN6hipcub16HIPCUB_304000_NS21ConstantInputIteratorIilEEPiiNSB_3SumENSB_8EqualityEiEE10hipError_tPvRmT2_T3_T4_T5_mT6_T7_P12ihipStream_tbENKUlT_T0_E_clISt17integral_constantIbLb1EESW_IbLb0EEEEDaSS_ST_EUlSS_E_NS1_11comp_targetILNS1_3genE8ELNS1_11target_archE1030ELNS1_3gpuE2ELNS1_3repE0EEENS1_30default_config_static_selectorELNS0_4arch9wavefront6targetE0EEEvT1_
    .private_segment_fixed_size: 0
    .sgpr_count:     0
    .sgpr_spill_count: 0
    .symbol:         _ZN7rocprim17ROCPRIM_400000_NS6detail17trampoline_kernelINS0_14default_configENS1_27scan_by_key_config_selectorIiiEEZZNS1_16scan_by_key_implILNS1_25lookback_scan_determinismE0ELb0ES3_PKiN6hipcub16HIPCUB_304000_NS21ConstantInputIteratorIilEEPiiNSB_3SumENSB_8EqualityEiEE10hipError_tPvRmT2_T3_T4_T5_mT6_T7_P12ihipStream_tbENKUlT_T0_E_clISt17integral_constantIbLb1EESW_IbLb0EEEEDaSS_ST_EUlSS_E_NS1_11comp_targetILNS1_3genE8ELNS1_11target_archE1030ELNS1_3gpuE2ELNS1_3repE0EEENS1_30default_config_static_selectorELNS0_4arch9wavefront6targetE0EEEvT1_.kd
    .uniform_work_group_size: 1
    .uses_dynamic_stack: false
    .vgpr_count:     0
    .vgpr_spill_count: 0
    .wavefront_size: 32
  - .args:
      - .address_space:  global
        .offset:         0
        .size:           8
        .value_kind:     global_buffer
      - .offset:         8
        .size:           4
        .value_kind:     by_value
      - .offset:         12
        .size:           4
        .value_kind:     by_value
      - .address_space:  global
        .offset:         16
        .size:           8
        .value_kind:     global_buffer
      - .address_space:  global
        .offset:         24
        .size:           8
        .value_kind:     global_buffer
      - .actual_access:  write_only
        .address_space:  global
        .offset:         32
        .size:           8
        .value_kind:     global_buffer
      - .offset:         40
        .size:           8
        .value_kind:     by_value
      - .offset:         48
        .size:           4
        .value_kind:     by_value
      - .address_space:  global
        .offset:         56
        .size:           8
        .value_kind:     global_buffer
      - .offset:         64
        .size:           4
        .value_kind:     hidden_block_count_x
      - .offset:         68
        .size:           4
        .value_kind:     hidden_block_count_y
      - .offset:         72
        .size:           4
        .value_kind:     hidden_block_count_z
      - .offset:         76
        .size:           2
        .value_kind:     hidden_group_size_x
      - .offset:         78
        .size:           2
        .value_kind:     hidden_group_size_y
      - .offset:         80
        .size:           2
        .value_kind:     hidden_group_size_z
      - .offset:         82
        .size:           2
        .value_kind:     hidden_remainder_x
      - .offset:         84
        .size:           2
        .value_kind:     hidden_remainder_y
      - .offset:         86
        .size:           2
        .value_kind:     hidden_remainder_z
      - .offset:         104
        .size:           8
        .value_kind:     hidden_global_offset_x
      - .offset:         112
        .size:           8
        .value_kind:     hidden_global_offset_y
      - .offset:         120
        .size:           8
        .value_kind:     hidden_global_offset_z
      - .offset:         128
        .size:           2
        .value_kind:     hidden_grid_dims
    .group_segment_fixed_size: 0
    .kernarg_segment_align: 8
    .kernarg_segment_size: 320
    .language:       OpenCL C
    .language_version:
      - 2
      - 0
    .max_flat_workgroup_size: 256
    .name:           _ZN7rocprim17ROCPRIM_400000_NS6detail30init_device_scan_by_key_kernelINS1_19lookback_scan_stateINS0_5tupleIJibEEELb0ELb1EEEPKijNS1_16block_id_wrapperIjLb1EEEEEvT_jjPNSB_10value_typeET0_PNSt15iterator_traitsISE_E10value_typeEmT1_T2_
    .private_segment_fixed_size: 0
    .sgpr_count:     19
    .sgpr_spill_count: 0
    .symbol:         _ZN7rocprim17ROCPRIM_400000_NS6detail30init_device_scan_by_key_kernelINS1_19lookback_scan_stateINS0_5tupleIJibEEELb0ELb1EEEPKijNS1_16block_id_wrapperIjLb1EEEEEvT_jjPNSB_10value_typeET0_PNSt15iterator_traitsISE_E10value_typeEmT1_T2_.kd
    .uniform_work_group_size: 1
    .uses_dynamic_stack: false
    .vgpr_count:     10
    .vgpr_spill_count: 0
    .wavefront_size: 32
  - .args:
      - .address_space:  global
        .offset:         0
        .size:           8
        .value_kind:     global_buffer
      - .offset:         8
        .size:           4
        .value_kind:     by_value
      - .offset:         12
        .size:           4
        .value_kind:     by_value
      - .address_space:  global
        .offset:         16
        .size:           8
        .value_kind:     global_buffer
      - .address_space:  global
        .offset:         24
        .size:           8
        .value_kind:     global_buffer
      - .offset:         32
        .size:           4
        .value_kind:     hidden_block_count_x
      - .offset:         36
        .size:           4
        .value_kind:     hidden_block_count_y
      - .offset:         40
        .size:           4
        .value_kind:     hidden_block_count_z
      - .offset:         44
        .size:           2
        .value_kind:     hidden_group_size_x
      - .offset:         46
        .size:           2
        .value_kind:     hidden_group_size_y
      - .offset:         48
        .size:           2
        .value_kind:     hidden_group_size_z
      - .offset:         50
        .size:           2
        .value_kind:     hidden_remainder_x
      - .offset:         52
        .size:           2
        .value_kind:     hidden_remainder_y
      - .offset:         54
        .size:           2
        .value_kind:     hidden_remainder_z
      - .offset:         72
        .size:           8
        .value_kind:     hidden_global_offset_x
      - .offset:         80
        .size:           8
        .value_kind:     hidden_global_offset_y
      - .offset:         88
        .size:           8
        .value_kind:     hidden_global_offset_z
      - .offset:         96
        .size:           2
        .value_kind:     hidden_grid_dims
    .group_segment_fixed_size: 0
    .kernarg_segment_align: 8
    .kernarg_segment_size: 288
    .language:       OpenCL C
    .language_version:
      - 2
      - 0
    .max_flat_workgroup_size: 256
    .name:           _ZN7rocprim17ROCPRIM_400000_NS6detail30init_device_scan_by_key_kernelINS1_19lookback_scan_stateINS0_5tupleIJibEEELb0ELb1EEENS1_16block_id_wrapperIjLb1EEEEEvT_jjPNS9_10value_typeET0_
    .private_segment_fixed_size: 0
    .sgpr_count:     15
    .sgpr_spill_count: 0
    .symbol:         _ZN7rocprim17ROCPRIM_400000_NS6detail30init_device_scan_by_key_kernelINS1_19lookback_scan_stateINS0_5tupleIJibEEELb0ELb1EEENS1_16block_id_wrapperIjLb1EEEEEvT_jjPNS9_10value_typeET0_.kd
    .uniform_work_group_size: 1
    .uses_dynamic_stack: false
    .vgpr_count:     9
    .vgpr_spill_count: 0
    .wavefront_size: 32
  - .args:
      - .offset:         0
        .size:           120
        .value_kind:     by_value
    .group_segment_fixed_size: 14336
    .kernarg_segment_align: 8
    .kernarg_segment_size: 120
    .language:       OpenCL C
    .language_version:
      - 2
      - 0
    .max_flat_workgroup_size: 256
    .name:           _ZN7rocprim17ROCPRIM_400000_NS6detail17trampoline_kernelINS0_14default_configENS1_27scan_by_key_config_selectorIiiEEZZNS1_16scan_by_key_implILNS1_25lookback_scan_determinismE0ELb0ES3_PKiN6hipcub16HIPCUB_304000_NS21ConstantInputIteratorIilEEPiiNSB_3SumENSB_8EqualityEiEE10hipError_tPvRmT2_T3_T4_T5_mT6_T7_P12ihipStream_tbENKUlT_T0_E_clISt17integral_constantIbLb0EESW_IbLb1EEEEDaSS_ST_EUlSS_E_NS1_11comp_targetILNS1_3genE0ELNS1_11target_archE4294967295ELNS1_3gpuE0ELNS1_3repE0EEENS1_30default_config_static_selectorELNS0_4arch9wavefront6targetE0EEEvT1_
    .private_segment_fixed_size: 0
    .sgpr_count:     44
    .sgpr_spill_count: 0
    .symbol:         _ZN7rocprim17ROCPRIM_400000_NS6detail17trampoline_kernelINS0_14default_configENS1_27scan_by_key_config_selectorIiiEEZZNS1_16scan_by_key_implILNS1_25lookback_scan_determinismE0ELb0ES3_PKiN6hipcub16HIPCUB_304000_NS21ConstantInputIteratorIilEEPiiNSB_3SumENSB_8EqualityEiEE10hipError_tPvRmT2_T3_T4_T5_mT6_T7_P12ihipStream_tbENKUlT_T0_E_clISt17integral_constantIbLb0EESW_IbLb1EEEEDaSS_ST_EUlSS_E_NS1_11comp_targetILNS1_3genE0ELNS1_11target_archE4294967295ELNS1_3gpuE0ELNS1_3repE0EEENS1_30default_config_static_selectorELNS0_4arch9wavefront6targetE0EEEvT1_.kd
    .uniform_work_group_size: 1
    .uses_dynamic_stack: false
    .vgpr_count:     60
    .vgpr_spill_count: 0
    .wavefront_size: 32
  - .args:
      - .offset:         0
        .size:           120
        .value_kind:     by_value
    .group_segment_fixed_size: 0
    .kernarg_segment_align: 8
    .kernarg_segment_size: 120
    .language:       OpenCL C
    .language_version:
      - 2
      - 0
    .max_flat_workgroup_size: 256
    .name:           _ZN7rocprim17ROCPRIM_400000_NS6detail17trampoline_kernelINS0_14default_configENS1_27scan_by_key_config_selectorIiiEEZZNS1_16scan_by_key_implILNS1_25lookback_scan_determinismE0ELb0ES3_PKiN6hipcub16HIPCUB_304000_NS21ConstantInputIteratorIilEEPiiNSB_3SumENSB_8EqualityEiEE10hipError_tPvRmT2_T3_T4_T5_mT6_T7_P12ihipStream_tbENKUlT_T0_E_clISt17integral_constantIbLb0EESW_IbLb1EEEEDaSS_ST_EUlSS_E_NS1_11comp_targetILNS1_3genE10ELNS1_11target_archE1201ELNS1_3gpuE5ELNS1_3repE0EEENS1_30default_config_static_selectorELNS0_4arch9wavefront6targetE0EEEvT1_
    .private_segment_fixed_size: 0
    .sgpr_count:     0
    .sgpr_spill_count: 0
    .symbol:         _ZN7rocprim17ROCPRIM_400000_NS6detail17trampoline_kernelINS0_14default_configENS1_27scan_by_key_config_selectorIiiEEZZNS1_16scan_by_key_implILNS1_25lookback_scan_determinismE0ELb0ES3_PKiN6hipcub16HIPCUB_304000_NS21ConstantInputIteratorIilEEPiiNSB_3SumENSB_8EqualityEiEE10hipError_tPvRmT2_T3_T4_T5_mT6_T7_P12ihipStream_tbENKUlT_T0_E_clISt17integral_constantIbLb0EESW_IbLb1EEEEDaSS_ST_EUlSS_E_NS1_11comp_targetILNS1_3genE10ELNS1_11target_archE1201ELNS1_3gpuE5ELNS1_3repE0EEENS1_30default_config_static_selectorELNS0_4arch9wavefront6targetE0EEEvT1_.kd
    .uniform_work_group_size: 1
    .uses_dynamic_stack: false
    .vgpr_count:     0
    .vgpr_spill_count: 0
    .wavefront_size: 32
  - .args:
      - .offset:         0
        .size:           120
        .value_kind:     by_value
    .group_segment_fixed_size: 0
    .kernarg_segment_align: 8
    .kernarg_segment_size: 120
    .language:       OpenCL C
    .language_version:
      - 2
      - 0
    .max_flat_workgroup_size: 256
    .name:           _ZN7rocprim17ROCPRIM_400000_NS6detail17trampoline_kernelINS0_14default_configENS1_27scan_by_key_config_selectorIiiEEZZNS1_16scan_by_key_implILNS1_25lookback_scan_determinismE0ELb0ES3_PKiN6hipcub16HIPCUB_304000_NS21ConstantInputIteratorIilEEPiiNSB_3SumENSB_8EqualityEiEE10hipError_tPvRmT2_T3_T4_T5_mT6_T7_P12ihipStream_tbENKUlT_T0_E_clISt17integral_constantIbLb0EESW_IbLb1EEEEDaSS_ST_EUlSS_E_NS1_11comp_targetILNS1_3genE5ELNS1_11target_archE942ELNS1_3gpuE9ELNS1_3repE0EEENS1_30default_config_static_selectorELNS0_4arch9wavefront6targetE0EEEvT1_
    .private_segment_fixed_size: 0
    .sgpr_count:     0
    .sgpr_spill_count: 0
    .symbol:         _ZN7rocprim17ROCPRIM_400000_NS6detail17trampoline_kernelINS0_14default_configENS1_27scan_by_key_config_selectorIiiEEZZNS1_16scan_by_key_implILNS1_25lookback_scan_determinismE0ELb0ES3_PKiN6hipcub16HIPCUB_304000_NS21ConstantInputIteratorIilEEPiiNSB_3SumENSB_8EqualityEiEE10hipError_tPvRmT2_T3_T4_T5_mT6_T7_P12ihipStream_tbENKUlT_T0_E_clISt17integral_constantIbLb0EESW_IbLb1EEEEDaSS_ST_EUlSS_E_NS1_11comp_targetILNS1_3genE5ELNS1_11target_archE942ELNS1_3gpuE9ELNS1_3repE0EEENS1_30default_config_static_selectorELNS0_4arch9wavefront6targetE0EEEvT1_.kd
    .uniform_work_group_size: 1
    .uses_dynamic_stack: false
    .vgpr_count:     0
    .vgpr_spill_count: 0
    .wavefront_size: 32
  - .args:
      - .offset:         0
        .size:           120
        .value_kind:     by_value
    .group_segment_fixed_size: 0
    .kernarg_segment_align: 8
    .kernarg_segment_size: 120
    .language:       OpenCL C
    .language_version:
      - 2
      - 0
    .max_flat_workgroup_size: 256
    .name:           _ZN7rocprim17ROCPRIM_400000_NS6detail17trampoline_kernelINS0_14default_configENS1_27scan_by_key_config_selectorIiiEEZZNS1_16scan_by_key_implILNS1_25lookback_scan_determinismE0ELb0ES3_PKiN6hipcub16HIPCUB_304000_NS21ConstantInputIteratorIilEEPiiNSB_3SumENSB_8EqualityEiEE10hipError_tPvRmT2_T3_T4_T5_mT6_T7_P12ihipStream_tbENKUlT_T0_E_clISt17integral_constantIbLb0EESW_IbLb1EEEEDaSS_ST_EUlSS_E_NS1_11comp_targetILNS1_3genE4ELNS1_11target_archE910ELNS1_3gpuE8ELNS1_3repE0EEENS1_30default_config_static_selectorELNS0_4arch9wavefront6targetE0EEEvT1_
    .private_segment_fixed_size: 0
    .sgpr_count:     0
    .sgpr_spill_count: 0
    .symbol:         _ZN7rocprim17ROCPRIM_400000_NS6detail17trampoline_kernelINS0_14default_configENS1_27scan_by_key_config_selectorIiiEEZZNS1_16scan_by_key_implILNS1_25lookback_scan_determinismE0ELb0ES3_PKiN6hipcub16HIPCUB_304000_NS21ConstantInputIteratorIilEEPiiNSB_3SumENSB_8EqualityEiEE10hipError_tPvRmT2_T3_T4_T5_mT6_T7_P12ihipStream_tbENKUlT_T0_E_clISt17integral_constantIbLb0EESW_IbLb1EEEEDaSS_ST_EUlSS_E_NS1_11comp_targetILNS1_3genE4ELNS1_11target_archE910ELNS1_3gpuE8ELNS1_3repE0EEENS1_30default_config_static_selectorELNS0_4arch9wavefront6targetE0EEEvT1_.kd
    .uniform_work_group_size: 1
    .uses_dynamic_stack: false
    .vgpr_count:     0
    .vgpr_spill_count: 0
    .wavefront_size: 32
  - .args:
      - .offset:         0
        .size:           120
        .value_kind:     by_value
    .group_segment_fixed_size: 0
    .kernarg_segment_align: 8
    .kernarg_segment_size: 120
    .language:       OpenCL C
    .language_version:
      - 2
      - 0
    .max_flat_workgroup_size: 256
    .name:           _ZN7rocprim17ROCPRIM_400000_NS6detail17trampoline_kernelINS0_14default_configENS1_27scan_by_key_config_selectorIiiEEZZNS1_16scan_by_key_implILNS1_25lookback_scan_determinismE0ELb0ES3_PKiN6hipcub16HIPCUB_304000_NS21ConstantInputIteratorIilEEPiiNSB_3SumENSB_8EqualityEiEE10hipError_tPvRmT2_T3_T4_T5_mT6_T7_P12ihipStream_tbENKUlT_T0_E_clISt17integral_constantIbLb0EESW_IbLb1EEEEDaSS_ST_EUlSS_E_NS1_11comp_targetILNS1_3genE3ELNS1_11target_archE908ELNS1_3gpuE7ELNS1_3repE0EEENS1_30default_config_static_selectorELNS0_4arch9wavefront6targetE0EEEvT1_
    .private_segment_fixed_size: 0
    .sgpr_count:     0
    .sgpr_spill_count: 0
    .symbol:         _ZN7rocprim17ROCPRIM_400000_NS6detail17trampoline_kernelINS0_14default_configENS1_27scan_by_key_config_selectorIiiEEZZNS1_16scan_by_key_implILNS1_25lookback_scan_determinismE0ELb0ES3_PKiN6hipcub16HIPCUB_304000_NS21ConstantInputIteratorIilEEPiiNSB_3SumENSB_8EqualityEiEE10hipError_tPvRmT2_T3_T4_T5_mT6_T7_P12ihipStream_tbENKUlT_T0_E_clISt17integral_constantIbLb0EESW_IbLb1EEEEDaSS_ST_EUlSS_E_NS1_11comp_targetILNS1_3genE3ELNS1_11target_archE908ELNS1_3gpuE7ELNS1_3repE0EEENS1_30default_config_static_selectorELNS0_4arch9wavefront6targetE0EEEvT1_.kd
    .uniform_work_group_size: 1
    .uses_dynamic_stack: false
    .vgpr_count:     0
    .vgpr_spill_count: 0
    .wavefront_size: 32
  - .args:
      - .offset:         0
        .size:           120
        .value_kind:     by_value
    .group_segment_fixed_size: 0
    .kernarg_segment_align: 8
    .kernarg_segment_size: 120
    .language:       OpenCL C
    .language_version:
      - 2
      - 0
    .max_flat_workgroup_size: 256
    .name:           _ZN7rocprim17ROCPRIM_400000_NS6detail17trampoline_kernelINS0_14default_configENS1_27scan_by_key_config_selectorIiiEEZZNS1_16scan_by_key_implILNS1_25lookback_scan_determinismE0ELb0ES3_PKiN6hipcub16HIPCUB_304000_NS21ConstantInputIteratorIilEEPiiNSB_3SumENSB_8EqualityEiEE10hipError_tPvRmT2_T3_T4_T5_mT6_T7_P12ihipStream_tbENKUlT_T0_E_clISt17integral_constantIbLb0EESW_IbLb1EEEEDaSS_ST_EUlSS_E_NS1_11comp_targetILNS1_3genE2ELNS1_11target_archE906ELNS1_3gpuE6ELNS1_3repE0EEENS1_30default_config_static_selectorELNS0_4arch9wavefront6targetE0EEEvT1_
    .private_segment_fixed_size: 0
    .sgpr_count:     0
    .sgpr_spill_count: 0
    .symbol:         _ZN7rocprim17ROCPRIM_400000_NS6detail17trampoline_kernelINS0_14default_configENS1_27scan_by_key_config_selectorIiiEEZZNS1_16scan_by_key_implILNS1_25lookback_scan_determinismE0ELb0ES3_PKiN6hipcub16HIPCUB_304000_NS21ConstantInputIteratorIilEEPiiNSB_3SumENSB_8EqualityEiEE10hipError_tPvRmT2_T3_T4_T5_mT6_T7_P12ihipStream_tbENKUlT_T0_E_clISt17integral_constantIbLb0EESW_IbLb1EEEEDaSS_ST_EUlSS_E_NS1_11comp_targetILNS1_3genE2ELNS1_11target_archE906ELNS1_3gpuE6ELNS1_3repE0EEENS1_30default_config_static_selectorELNS0_4arch9wavefront6targetE0EEEvT1_.kd
    .uniform_work_group_size: 1
    .uses_dynamic_stack: false
    .vgpr_count:     0
    .vgpr_spill_count: 0
    .wavefront_size: 32
  - .args:
      - .offset:         0
        .size:           120
        .value_kind:     by_value
    .group_segment_fixed_size: 0
    .kernarg_segment_align: 8
    .kernarg_segment_size: 120
    .language:       OpenCL C
    .language_version:
      - 2
      - 0
    .max_flat_workgroup_size: 256
    .name:           _ZN7rocprim17ROCPRIM_400000_NS6detail17trampoline_kernelINS0_14default_configENS1_27scan_by_key_config_selectorIiiEEZZNS1_16scan_by_key_implILNS1_25lookback_scan_determinismE0ELb0ES3_PKiN6hipcub16HIPCUB_304000_NS21ConstantInputIteratorIilEEPiiNSB_3SumENSB_8EqualityEiEE10hipError_tPvRmT2_T3_T4_T5_mT6_T7_P12ihipStream_tbENKUlT_T0_E_clISt17integral_constantIbLb0EESW_IbLb1EEEEDaSS_ST_EUlSS_E_NS1_11comp_targetILNS1_3genE10ELNS1_11target_archE1200ELNS1_3gpuE4ELNS1_3repE0EEENS1_30default_config_static_selectorELNS0_4arch9wavefront6targetE0EEEvT1_
    .private_segment_fixed_size: 0
    .sgpr_count:     0
    .sgpr_spill_count: 0
    .symbol:         _ZN7rocprim17ROCPRIM_400000_NS6detail17trampoline_kernelINS0_14default_configENS1_27scan_by_key_config_selectorIiiEEZZNS1_16scan_by_key_implILNS1_25lookback_scan_determinismE0ELb0ES3_PKiN6hipcub16HIPCUB_304000_NS21ConstantInputIteratorIilEEPiiNSB_3SumENSB_8EqualityEiEE10hipError_tPvRmT2_T3_T4_T5_mT6_T7_P12ihipStream_tbENKUlT_T0_E_clISt17integral_constantIbLb0EESW_IbLb1EEEEDaSS_ST_EUlSS_E_NS1_11comp_targetILNS1_3genE10ELNS1_11target_archE1200ELNS1_3gpuE4ELNS1_3repE0EEENS1_30default_config_static_selectorELNS0_4arch9wavefront6targetE0EEEvT1_.kd
    .uniform_work_group_size: 1
    .uses_dynamic_stack: false
    .vgpr_count:     0
    .vgpr_spill_count: 0
    .wavefront_size: 32
  - .args:
      - .offset:         0
        .size:           120
        .value_kind:     by_value
    .group_segment_fixed_size: 0
    .kernarg_segment_align: 8
    .kernarg_segment_size: 120
    .language:       OpenCL C
    .language_version:
      - 2
      - 0
    .max_flat_workgroup_size: 256
    .name:           _ZN7rocprim17ROCPRIM_400000_NS6detail17trampoline_kernelINS0_14default_configENS1_27scan_by_key_config_selectorIiiEEZZNS1_16scan_by_key_implILNS1_25lookback_scan_determinismE0ELb0ES3_PKiN6hipcub16HIPCUB_304000_NS21ConstantInputIteratorIilEEPiiNSB_3SumENSB_8EqualityEiEE10hipError_tPvRmT2_T3_T4_T5_mT6_T7_P12ihipStream_tbENKUlT_T0_E_clISt17integral_constantIbLb0EESW_IbLb1EEEEDaSS_ST_EUlSS_E_NS1_11comp_targetILNS1_3genE9ELNS1_11target_archE1100ELNS1_3gpuE3ELNS1_3repE0EEENS1_30default_config_static_selectorELNS0_4arch9wavefront6targetE0EEEvT1_
    .private_segment_fixed_size: 0
    .sgpr_count:     0
    .sgpr_spill_count: 0
    .symbol:         _ZN7rocprim17ROCPRIM_400000_NS6detail17trampoline_kernelINS0_14default_configENS1_27scan_by_key_config_selectorIiiEEZZNS1_16scan_by_key_implILNS1_25lookback_scan_determinismE0ELb0ES3_PKiN6hipcub16HIPCUB_304000_NS21ConstantInputIteratorIilEEPiiNSB_3SumENSB_8EqualityEiEE10hipError_tPvRmT2_T3_T4_T5_mT6_T7_P12ihipStream_tbENKUlT_T0_E_clISt17integral_constantIbLb0EESW_IbLb1EEEEDaSS_ST_EUlSS_E_NS1_11comp_targetILNS1_3genE9ELNS1_11target_archE1100ELNS1_3gpuE3ELNS1_3repE0EEENS1_30default_config_static_selectorELNS0_4arch9wavefront6targetE0EEEvT1_.kd
    .uniform_work_group_size: 1
    .uses_dynamic_stack: false
    .vgpr_count:     0
    .vgpr_spill_count: 0
    .wavefront_size: 32
  - .args:
      - .offset:         0
        .size:           120
        .value_kind:     by_value
    .group_segment_fixed_size: 0
    .kernarg_segment_align: 8
    .kernarg_segment_size: 120
    .language:       OpenCL C
    .language_version:
      - 2
      - 0
    .max_flat_workgroup_size: 256
    .name:           _ZN7rocprim17ROCPRIM_400000_NS6detail17trampoline_kernelINS0_14default_configENS1_27scan_by_key_config_selectorIiiEEZZNS1_16scan_by_key_implILNS1_25lookback_scan_determinismE0ELb0ES3_PKiN6hipcub16HIPCUB_304000_NS21ConstantInputIteratorIilEEPiiNSB_3SumENSB_8EqualityEiEE10hipError_tPvRmT2_T3_T4_T5_mT6_T7_P12ihipStream_tbENKUlT_T0_E_clISt17integral_constantIbLb0EESW_IbLb1EEEEDaSS_ST_EUlSS_E_NS1_11comp_targetILNS1_3genE8ELNS1_11target_archE1030ELNS1_3gpuE2ELNS1_3repE0EEENS1_30default_config_static_selectorELNS0_4arch9wavefront6targetE0EEEvT1_
    .private_segment_fixed_size: 0
    .sgpr_count:     0
    .sgpr_spill_count: 0
    .symbol:         _ZN7rocprim17ROCPRIM_400000_NS6detail17trampoline_kernelINS0_14default_configENS1_27scan_by_key_config_selectorIiiEEZZNS1_16scan_by_key_implILNS1_25lookback_scan_determinismE0ELb0ES3_PKiN6hipcub16HIPCUB_304000_NS21ConstantInputIteratorIilEEPiiNSB_3SumENSB_8EqualityEiEE10hipError_tPvRmT2_T3_T4_T5_mT6_T7_P12ihipStream_tbENKUlT_T0_E_clISt17integral_constantIbLb0EESW_IbLb1EEEEDaSS_ST_EUlSS_E_NS1_11comp_targetILNS1_3genE8ELNS1_11target_archE1030ELNS1_3gpuE2ELNS1_3repE0EEENS1_30default_config_static_selectorELNS0_4arch9wavefront6targetE0EEEvT1_.kd
    .uniform_work_group_size: 1
    .uses_dynamic_stack: false
    .vgpr_count:     0
    .vgpr_spill_count: 0
    .wavefront_size: 32
  - .args:
      - .address_space:  global
        .offset:         0
        .size:           8
        .value_kind:     global_buffer
      - .offset:         8
        .size:           4
        .value_kind:     by_value
      - .offset:         12
        .size:           4
        .value_kind:     by_value
      - .address_space:  global
        .offset:         16
        .size:           8
        .value_kind:     global_buffer
      - .address_space:  global
        .offset:         24
        .size:           8
        .value_kind:     global_buffer
      - .actual_access:  write_only
        .address_space:  global
        .offset:         32
        .size:           8
        .value_kind:     global_buffer
      - .offset:         40
        .size:           8
        .value_kind:     by_value
      - .offset:         48
        .size:           4
        .value_kind:     by_value
      - .offset:         52
        .size:           1
        .value_kind:     by_value
      - .offset:         56
        .size:           4
        .value_kind:     hidden_block_count_x
      - .offset:         60
        .size:           4
        .value_kind:     hidden_block_count_y
      - .offset:         64
        .size:           4
        .value_kind:     hidden_block_count_z
      - .offset:         68
        .size:           2
        .value_kind:     hidden_group_size_x
      - .offset:         70
        .size:           2
        .value_kind:     hidden_group_size_y
      - .offset:         72
        .size:           2
        .value_kind:     hidden_group_size_z
      - .offset:         74
        .size:           2
        .value_kind:     hidden_remainder_x
      - .offset:         76
        .size:           2
        .value_kind:     hidden_remainder_y
      - .offset:         78
        .size:           2
        .value_kind:     hidden_remainder_z
      - .offset:         96
        .size:           8
        .value_kind:     hidden_global_offset_x
      - .offset:         104
        .size:           8
        .value_kind:     hidden_global_offset_y
      - .offset:         112
        .size:           8
        .value_kind:     hidden_global_offset_z
      - .offset:         120
        .size:           2
        .value_kind:     hidden_grid_dims
    .group_segment_fixed_size: 0
    .kernarg_segment_align: 8
    .kernarg_segment_size: 312
    .language:       OpenCL C
    .language_version:
      - 2
      - 0
    .max_flat_workgroup_size: 256
    .name:           _ZN7rocprim17ROCPRIM_400000_NS6detail30init_device_scan_by_key_kernelINS1_19lookback_scan_stateINS0_5tupleIJibEEELb0ELb1EEEN6thrust23THRUST_200600_302600_NS16reverse_iteratorIPKiEEjNS1_16block_id_wrapperIjLb0EEEEEvT_jjPNSF_10value_typeET0_PNSt15iterator_traitsISI_E10value_typeEmT1_T2_
    .private_segment_fixed_size: 0
    .sgpr_count:     19
    .sgpr_spill_count: 0
    .symbol:         _ZN7rocprim17ROCPRIM_400000_NS6detail30init_device_scan_by_key_kernelINS1_19lookback_scan_stateINS0_5tupleIJibEEELb0ELb1EEEN6thrust23THRUST_200600_302600_NS16reverse_iteratorIPKiEEjNS1_16block_id_wrapperIjLb0EEEEEvT_jjPNSF_10value_typeET0_PNSt15iterator_traitsISI_E10value_typeEmT1_T2_.kd
    .uniform_work_group_size: 1
    .uses_dynamic_stack: false
    .vgpr_count:     10
    .vgpr_spill_count: 0
    .wavefront_size: 32
  - .args:
      - .offset:         0
        .size:           112
        .value_kind:     by_value
    .group_segment_fixed_size: 14336
    .kernarg_segment_align: 8
    .kernarg_segment_size: 112
    .language:       OpenCL C
    .language_version:
      - 2
      - 0
    .max_flat_workgroup_size: 256
    .name:           _ZN7rocprim17ROCPRIM_400000_NS6detail17trampoline_kernelINS0_14default_configENS1_27scan_by_key_config_selectorIiiEEZZNS1_16scan_by_key_implILNS1_25lookback_scan_determinismE0ELb0ES3_N6thrust23THRUST_200600_302600_NS16reverse_iteratorIPKiEESD_NSA_IPiEEiN6hipcub16HIPCUB_304000_NS3MaxENSH_8EqualityEiEE10hipError_tPvRmT2_T3_T4_T5_mT6_T7_P12ihipStream_tbENKUlT_T0_E_clISt17integral_constantIbLb0EES10_EEDaSV_SW_EUlSV_E_NS1_11comp_targetILNS1_3genE0ELNS1_11target_archE4294967295ELNS1_3gpuE0ELNS1_3repE0EEENS1_30default_config_static_selectorELNS0_4arch9wavefront6targetE0EEEvT1_
    .private_segment_fixed_size: 0
    .sgpr_count:     46
    .sgpr_spill_count: 0
    .symbol:         _ZN7rocprim17ROCPRIM_400000_NS6detail17trampoline_kernelINS0_14default_configENS1_27scan_by_key_config_selectorIiiEEZZNS1_16scan_by_key_implILNS1_25lookback_scan_determinismE0ELb0ES3_N6thrust23THRUST_200600_302600_NS16reverse_iteratorIPKiEESD_NSA_IPiEEiN6hipcub16HIPCUB_304000_NS3MaxENSH_8EqualityEiEE10hipError_tPvRmT2_T3_T4_T5_mT6_T7_P12ihipStream_tbENKUlT_T0_E_clISt17integral_constantIbLb0EES10_EEDaSV_SW_EUlSV_E_NS1_11comp_targetILNS1_3genE0ELNS1_11target_archE4294967295ELNS1_3gpuE0ELNS1_3repE0EEENS1_30default_config_static_selectorELNS0_4arch9wavefront6targetE0EEEvT1_.kd
    .uniform_work_group_size: 1
    .uses_dynamic_stack: false
    .vgpr_count:     60
    .vgpr_spill_count: 0
    .wavefront_size: 32
  - .args:
      - .offset:         0
        .size:           112
        .value_kind:     by_value
    .group_segment_fixed_size: 0
    .kernarg_segment_align: 8
    .kernarg_segment_size: 112
    .language:       OpenCL C
    .language_version:
      - 2
      - 0
    .max_flat_workgroup_size: 256
    .name:           _ZN7rocprim17ROCPRIM_400000_NS6detail17trampoline_kernelINS0_14default_configENS1_27scan_by_key_config_selectorIiiEEZZNS1_16scan_by_key_implILNS1_25lookback_scan_determinismE0ELb0ES3_N6thrust23THRUST_200600_302600_NS16reverse_iteratorIPKiEESD_NSA_IPiEEiN6hipcub16HIPCUB_304000_NS3MaxENSH_8EqualityEiEE10hipError_tPvRmT2_T3_T4_T5_mT6_T7_P12ihipStream_tbENKUlT_T0_E_clISt17integral_constantIbLb0EES10_EEDaSV_SW_EUlSV_E_NS1_11comp_targetILNS1_3genE10ELNS1_11target_archE1201ELNS1_3gpuE5ELNS1_3repE0EEENS1_30default_config_static_selectorELNS0_4arch9wavefront6targetE0EEEvT1_
    .private_segment_fixed_size: 0
    .sgpr_count:     0
    .sgpr_spill_count: 0
    .symbol:         _ZN7rocprim17ROCPRIM_400000_NS6detail17trampoline_kernelINS0_14default_configENS1_27scan_by_key_config_selectorIiiEEZZNS1_16scan_by_key_implILNS1_25lookback_scan_determinismE0ELb0ES3_N6thrust23THRUST_200600_302600_NS16reverse_iteratorIPKiEESD_NSA_IPiEEiN6hipcub16HIPCUB_304000_NS3MaxENSH_8EqualityEiEE10hipError_tPvRmT2_T3_T4_T5_mT6_T7_P12ihipStream_tbENKUlT_T0_E_clISt17integral_constantIbLb0EES10_EEDaSV_SW_EUlSV_E_NS1_11comp_targetILNS1_3genE10ELNS1_11target_archE1201ELNS1_3gpuE5ELNS1_3repE0EEENS1_30default_config_static_selectorELNS0_4arch9wavefront6targetE0EEEvT1_.kd
    .uniform_work_group_size: 1
    .uses_dynamic_stack: false
    .vgpr_count:     0
    .vgpr_spill_count: 0
    .wavefront_size: 32
  - .args:
      - .offset:         0
        .size:           112
        .value_kind:     by_value
    .group_segment_fixed_size: 0
    .kernarg_segment_align: 8
    .kernarg_segment_size: 112
    .language:       OpenCL C
    .language_version:
      - 2
      - 0
    .max_flat_workgroup_size: 256
    .name:           _ZN7rocprim17ROCPRIM_400000_NS6detail17trampoline_kernelINS0_14default_configENS1_27scan_by_key_config_selectorIiiEEZZNS1_16scan_by_key_implILNS1_25lookback_scan_determinismE0ELb0ES3_N6thrust23THRUST_200600_302600_NS16reverse_iteratorIPKiEESD_NSA_IPiEEiN6hipcub16HIPCUB_304000_NS3MaxENSH_8EqualityEiEE10hipError_tPvRmT2_T3_T4_T5_mT6_T7_P12ihipStream_tbENKUlT_T0_E_clISt17integral_constantIbLb0EES10_EEDaSV_SW_EUlSV_E_NS1_11comp_targetILNS1_3genE5ELNS1_11target_archE942ELNS1_3gpuE9ELNS1_3repE0EEENS1_30default_config_static_selectorELNS0_4arch9wavefront6targetE0EEEvT1_
    .private_segment_fixed_size: 0
    .sgpr_count:     0
    .sgpr_spill_count: 0
    .symbol:         _ZN7rocprim17ROCPRIM_400000_NS6detail17trampoline_kernelINS0_14default_configENS1_27scan_by_key_config_selectorIiiEEZZNS1_16scan_by_key_implILNS1_25lookback_scan_determinismE0ELb0ES3_N6thrust23THRUST_200600_302600_NS16reverse_iteratorIPKiEESD_NSA_IPiEEiN6hipcub16HIPCUB_304000_NS3MaxENSH_8EqualityEiEE10hipError_tPvRmT2_T3_T4_T5_mT6_T7_P12ihipStream_tbENKUlT_T0_E_clISt17integral_constantIbLb0EES10_EEDaSV_SW_EUlSV_E_NS1_11comp_targetILNS1_3genE5ELNS1_11target_archE942ELNS1_3gpuE9ELNS1_3repE0EEENS1_30default_config_static_selectorELNS0_4arch9wavefront6targetE0EEEvT1_.kd
    .uniform_work_group_size: 1
    .uses_dynamic_stack: false
    .vgpr_count:     0
    .vgpr_spill_count: 0
    .wavefront_size: 32
  - .args:
      - .offset:         0
        .size:           112
        .value_kind:     by_value
    .group_segment_fixed_size: 0
    .kernarg_segment_align: 8
    .kernarg_segment_size: 112
    .language:       OpenCL C
    .language_version:
      - 2
      - 0
    .max_flat_workgroup_size: 256
    .name:           _ZN7rocprim17ROCPRIM_400000_NS6detail17trampoline_kernelINS0_14default_configENS1_27scan_by_key_config_selectorIiiEEZZNS1_16scan_by_key_implILNS1_25lookback_scan_determinismE0ELb0ES3_N6thrust23THRUST_200600_302600_NS16reverse_iteratorIPKiEESD_NSA_IPiEEiN6hipcub16HIPCUB_304000_NS3MaxENSH_8EqualityEiEE10hipError_tPvRmT2_T3_T4_T5_mT6_T7_P12ihipStream_tbENKUlT_T0_E_clISt17integral_constantIbLb0EES10_EEDaSV_SW_EUlSV_E_NS1_11comp_targetILNS1_3genE4ELNS1_11target_archE910ELNS1_3gpuE8ELNS1_3repE0EEENS1_30default_config_static_selectorELNS0_4arch9wavefront6targetE0EEEvT1_
    .private_segment_fixed_size: 0
    .sgpr_count:     0
    .sgpr_spill_count: 0
    .symbol:         _ZN7rocprim17ROCPRIM_400000_NS6detail17trampoline_kernelINS0_14default_configENS1_27scan_by_key_config_selectorIiiEEZZNS1_16scan_by_key_implILNS1_25lookback_scan_determinismE0ELb0ES3_N6thrust23THRUST_200600_302600_NS16reverse_iteratorIPKiEESD_NSA_IPiEEiN6hipcub16HIPCUB_304000_NS3MaxENSH_8EqualityEiEE10hipError_tPvRmT2_T3_T4_T5_mT6_T7_P12ihipStream_tbENKUlT_T0_E_clISt17integral_constantIbLb0EES10_EEDaSV_SW_EUlSV_E_NS1_11comp_targetILNS1_3genE4ELNS1_11target_archE910ELNS1_3gpuE8ELNS1_3repE0EEENS1_30default_config_static_selectorELNS0_4arch9wavefront6targetE0EEEvT1_.kd
    .uniform_work_group_size: 1
    .uses_dynamic_stack: false
    .vgpr_count:     0
    .vgpr_spill_count: 0
    .wavefront_size: 32
  - .args:
      - .offset:         0
        .size:           112
        .value_kind:     by_value
    .group_segment_fixed_size: 0
    .kernarg_segment_align: 8
    .kernarg_segment_size: 112
    .language:       OpenCL C
    .language_version:
      - 2
      - 0
    .max_flat_workgroup_size: 256
    .name:           _ZN7rocprim17ROCPRIM_400000_NS6detail17trampoline_kernelINS0_14default_configENS1_27scan_by_key_config_selectorIiiEEZZNS1_16scan_by_key_implILNS1_25lookback_scan_determinismE0ELb0ES3_N6thrust23THRUST_200600_302600_NS16reverse_iteratorIPKiEESD_NSA_IPiEEiN6hipcub16HIPCUB_304000_NS3MaxENSH_8EqualityEiEE10hipError_tPvRmT2_T3_T4_T5_mT6_T7_P12ihipStream_tbENKUlT_T0_E_clISt17integral_constantIbLb0EES10_EEDaSV_SW_EUlSV_E_NS1_11comp_targetILNS1_3genE3ELNS1_11target_archE908ELNS1_3gpuE7ELNS1_3repE0EEENS1_30default_config_static_selectorELNS0_4arch9wavefront6targetE0EEEvT1_
    .private_segment_fixed_size: 0
    .sgpr_count:     0
    .sgpr_spill_count: 0
    .symbol:         _ZN7rocprim17ROCPRIM_400000_NS6detail17trampoline_kernelINS0_14default_configENS1_27scan_by_key_config_selectorIiiEEZZNS1_16scan_by_key_implILNS1_25lookback_scan_determinismE0ELb0ES3_N6thrust23THRUST_200600_302600_NS16reverse_iteratorIPKiEESD_NSA_IPiEEiN6hipcub16HIPCUB_304000_NS3MaxENSH_8EqualityEiEE10hipError_tPvRmT2_T3_T4_T5_mT6_T7_P12ihipStream_tbENKUlT_T0_E_clISt17integral_constantIbLb0EES10_EEDaSV_SW_EUlSV_E_NS1_11comp_targetILNS1_3genE3ELNS1_11target_archE908ELNS1_3gpuE7ELNS1_3repE0EEENS1_30default_config_static_selectorELNS0_4arch9wavefront6targetE0EEEvT1_.kd
    .uniform_work_group_size: 1
    .uses_dynamic_stack: false
    .vgpr_count:     0
    .vgpr_spill_count: 0
    .wavefront_size: 32
  - .args:
      - .offset:         0
        .size:           112
        .value_kind:     by_value
    .group_segment_fixed_size: 0
    .kernarg_segment_align: 8
    .kernarg_segment_size: 112
    .language:       OpenCL C
    .language_version:
      - 2
      - 0
    .max_flat_workgroup_size: 256
    .name:           _ZN7rocprim17ROCPRIM_400000_NS6detail17trampoline_kernelINS0_14default_configENS1_27scan_by_key_config_selectorIiiEEZZNS1_16scan_by_key_implILNS1_25lookback_scan_determinismE0ELb0ES3_N6thrust23THRUST_200600_302600_NS16reverse_iteratorIPKiEESD_NSA_IPiEEiN6hipcub16HIPCUB_304000_NS3MaxENSH_8EqualityEiEE10hipError_tPvRmT2_T3_T4_T5_mT6_T7_P12ihipStream_tbENKUlT_T0_E_clISt17integral_constantIbLb0EES10_EEDaSV_SW_EUlSV_E_NS1_11comp_targetILNS1_3genE2ELNS1_11target_archE906ELNS1_3gpuE6ELNS1_3repE0EEENS1_30default_config_static_selectorELNS0_4arch9wavefront6targetE0EEEvT1_
    .private_segment_fixed_size: 0
    .sgpr_count:     0
    .sgpr_spill_count: 0
    .symbol:         _ZN7rocprim17ROCPRIM_400000_NS6detail17trampoline_kernelINS0_14default_configENS1_27scan_by_key_config_selectorIiiEEZZNS1_16scan_by_key_implILNS1_25lookback_scan_determinismE0ELb0ES3_N6thrust23THRUST_200600_302600_NS16reverse_iteratorIPKiEESD_NSA_IPiEEiN6hipcub16HIPCUB_304000_NS3MaxENSH_8EqualityEiEE10hipError_tPvRmT2_T3_T4_T5_mT6_T7_P12ihipStream_tbENKUlT_T0_E_clISt17integral_constantIbLb0EES10_EEDaSV_SW_EUlSV_E_NS1_11comp_targetILNS1_3genE2ELNS1_11target_archE906ELNS1_3gpuE6ELNS1_3repE0EEENS1_30default_config_static_selectorELNS0_4arch9wavefront6targetE0EEEvT1_.kd
    .uniform_work_group_size: 1
    .uses_dynamic_stack: false
    .vgpr_count:     0
    .vgpr_spill_count: 0
    .wavefront_size: 32
  - .args:
      - .offset:         0
        .size:           112
        .value_kind:     by_value
    .group_segment_fixed_size: 0
    .kernarg_segment_align: 8
    .kernarg_segment_size: 112
    .language:       OpenCL C
    .language_version:
      - 2
      - 0
    .max_flat_workgroup_size: 256
    .name:           _ZN7rocprim17ROCPRIM_400000_NS6detail17trampoline_kernelINS0_14default_configENS1_27scan_by_key_config_selectorIiiEEZZNS1_16scan_by_key_implILNS1_25lookback_scan_determinismE0ELb0ES3_N6thrust23THRUST_200600_302600_NS16reverse_iteratorIPKiEESD_NSA_IPiEEiN6hipcub16HIPCUB_304000_NS3MaxENSH_8EqualityEiEE10hipError_tPvRmT2_T3_T4_T5_mT6_T7_P12ihipStream_tbENKUlT_T0_E_clISt17integral_constantIbLb0EES10_EEDaSV_SW_EUlSV_E_NS1_11comp_targetILNS1_3genE10ELNS1_11target_archE1200ELNS1_3gpuE4ELNS1_3repE0EEENS1_30default_config_static_selectorELNS0_4arch9wavefront6targetE0EEEvT1_
    .private_segment_fixed_size: 0
    .sgpr_count:     0
    .sgpr_spill_count: 0
    .symbol:         _ZN7rocprim17ROCPRIM_400000_NS6detail17trampoline_kernelINS0_14default_configENS1_27scan_by_key_config_selectorIiiEEZZNS1_16scan_by_key_implILNS1_25lookback_scan_determinismE0ELb0ES3_N6thrust23THRUST_200600_302600_NS16reverse_iteratorIPKiEESD_NSA_IPiEEiN6hipcub16HIPCUB_304000_NS3MaxENSH_8EqualityEiEE10hipError_tPvRmT2_T3_T4_T5_mT6_T7_P12ihipStream_tbENKUlT_T0_E_clISt17integral_constantIbLb0EES10_EEDaSV_SW_EUlSV_E_NS1_11comp_targetILNS1_3genE10ELNS1_11target_archE1200ELNS1_3gpuE4ELNS1_3repE0EEENS1_30default_config_static_selectorELNS0_4arch9wavefront6targetE0EEEvT1_.kd
    .uniform_work_group_size: 1
    .uses_dynamic_stack: false
    .vgpr_count:     0
    .vgpr_spill_count: 0
    .wavefront_size: 32
  - .args:
      - .offset:         0
        .size:           112
        .value_kind:     by_value
    .group_segment_fixed_size: 0
    .kernarg_segment_align: 8
    .kernarg_segment_size: 112
    .language:       OpenCL C
    .language_version:
      - 2
      - 0
    .max_flat_workgroup_size: 256
    .name:           _ZN7rocprim17ROCPRIM_400000_NS6detail17trampoline_kernelINS0_14default_configENS1_27scan_by_key_config_selectorIiiEEZZNS1_16scan_by_key_implILNS1_25lookback_scan_determinismE0ELb0ES3_N6thrust23THRUST_200600_302600_NS16reverse_iteratorIPKiEESD_NSA_IPiEEiN6hipcub16HIPCUB_304000_NS3MaxENSH_8EqualityEiEE10hipError_tPvRmT2_T3_T4_T5_mT6_T7_P12ihipStream_tbENKUlT_T0_E_clISt17integral_constantIbLb0EES10_EEDaSV_SW_EUlSV_E_NS1_11comp_targetILNS1_3genE9ELNS1_11target_archE1100ELNS1_3gpuE3ELNS1_3repE0EEENS1_30default_config_static_selectorELNS0_4arch9wavefront6targetE0EEEvT1_
    .private_segment_fixed_size: 0
    .sgpr_count:     0
    .sgpr_spill_count: 0
    .symbol:         _ZN7rocprim17ROCPRIM_400000_NS6detail17trampoline_kernelINS0_14default_configENS1_27scan_by_key_config_selectorIiiEEZZNS1_16scan_by_key_implILNS1_25lookback_scan_determinismE0ELb0ES3_N6thrust23THRUST_200600_302600_NS16reverse_iteratorIPKiEESD_NSA_IPiEEiN6hipcub16HIPCUB_304000_NS3MaxENSH_8EqualityEiEE10hipError_tPvRmT2_T3_T4_T5_mT6_T7_P12ihipStream_tbENKUlT_T0_E_clISt17integral_constantIbLb0EES10_EEDaSV_SW_EUlSV_E_NS1_11comp_targetILNS1_3genE9ELNS1_11target_archE1100ELNS1_3gpuE3ELNS1_3repE0EEENS1_30default_config_static_selectorELNS0_4arch9wavefront6targetE0EEEvT1_.kd
    .uniform_work_group_size: 1
    .uses_dynamic_stack: false
    .vgpr_count:     0
    .vgpr_spill_count: 0
    .wavefront_size: 32
  - .args:
      - .offset:         0
        .size:           112
        .value_kind:     by_value
    .group_segment_fixed_size: 0
    .kernarg_segment_align: 8
    .kernarg_segment_size: 112
    .language:       OpenCL C
    .language_version:
      - 2
      - 0
    .max_flat_workgroup_size: 256
    .name:           _ZN7rocprim17ROCPRIM_400000_NS6detail17trampoline_kernelINS0_14default_configENS1_27scan_by_key_config_selectorIiiEEZZNS1_16scan_by_key_implILNS1_25lookback_scan_determinismE0ELb0ES3_N6thrust23THRUST_200600_302600_NS16reverse_iteratorIPKiEESD_NSA_IPiEEiN6hipcub16HIPCUB_304000_NS3MaxENSH_8EqualityEiEE10hipError_tPvRmT2_T3_T4_T5_mT6_T7_P12ihipStream_tbENKUlT_T0_E_clISt17integral_constantIbLb0EES10_EEDaSV_SW_EUlSV_E_NS1_11comp_targetILNS1_3genE8ELNS1_11target_archE1030ELNS1_3gpuE2ELNS1_3repE0EEENS1_30default_config_static_selectorELNS0_4arch9wavefront6targetE0EEEvT1_
    .private_segment_fixed_size: 0
    .sgpr_count:     0
    .sgpr_spill_count: 0
    .symbol:         _ZN7rocprim17ROCPRIM_400000_NS6detail17trampoline_kernelINS0_14default_configENS1_27scan_by_key_config_selectorIiiEEZZNS1_16scan_by_key_implILNS1_25lookback_scan_determinismE0ELb0ES3_N6thrust23THRUST_200600_302600_NS16reverse_iteratorIPKiEESD_NSA_IPiEEiN6hipcub16HIPCUB_304000_NS3MaxENSH_8EqualityEiEE10hipError_tPvRmT2_T3_T4_T5_mT6_T7_P12ihipStream_tbENKUlT_T0_E_clISt17integral_constantIbLb0EES10_EEDaSV_SW_EUlSV_E_NS1_11comp_targetILNS1_3genE8ELNS1_11target_archE1030ELNS1_3gpuE2ELNS1_3repE0EEENS1_30default_config_static_selectorELNS0_4arch9wavefront6targetE0EEEvT1_.kd
    .uniform_work_group_size: 1
    .uses_dynamic_stack: false
    .vgpr_count:     0
    .vgpr_spill_count: 0
    .wavefront_size: 32
  - .args:
      - .address_space:  global
        .offset:         0
        .size:           8
        .value_kind:     global_buffer
      - .offset:         8
        .size:           4
        .value_kind:     by_value
      - .offset:         12
        .size:           4
        .value_kind:     by_value
      - .address_space:  global
        .offset:         16
        .size:           8
        .value_kind:     global_buffer
      - .address_space:  global
        .offset:         24
        .size:           8
        .value_kind:     global_buffer
      - .actual_access:  write_only
        .address_space:  global
        .offset:         32
        .size:           8
        .value_kind:     global_buffer
      - .offset:         40
        .size:           8
        .value_kind:     by_value
      - .offset:         48
        .size:           4
        .value_kind:     by_value
      - .address_space:  global
        .offset:         56
        .size:           8
        .value_kind:     global_buffer
      - .offset:         64
        .size:           4
        .value_kind:     hidden_block_count_x
      - .offset:         68
        .size:           4
        .value_kind:     hidden_block_count_y
      - .offset:         72
        .size:           4
        .value_kind:     hidden_block_count_z
      - .offset:         76
        .size:           2
        .value_kind:     hidden_group_size_x
      - .offset:         78
        .size:           2
        .value_kind:     hidden_group_size_y
      - .offset:         80
        .size:           2
        .value_kind:     hidden_group_size_z
      - .offset:         82
        .size:           2
        .value_kind:     hidden_remainder_x
      - .offset:         84
        .size:           2
        .value_kind:     hidden_remainder_y
      - .offset:         86
        .size:           2
        .value_kind:     hidden_remainder_z
      - .offset:         104
        .size:           8
        .value_kind:     hidden_global_offset_x
      - .offset:         112
        .size:           8
        .value_kind:     hidden_global_offset_y
      - .offset:         120
        .size:           8
        .value_kind:     hidden_global_offset_z
      - .offset:         128
        .size:           2
        .value_kind:     hidden_grid_dims
    .group_segment_fixed_size: 0
    .kernarg_segment_align: 8
    .kernarg_segment_size: 320
    .language:       OpenCL C
    .language_version:
      - 2
      - 0
    .max_flat_workgroup_size: 256
    .name:           _ZN7rocprim17ROCPRIM_400000_NS6detail30init_device_scan_by_key_kernelINS1_19lookback_scan_stateINS0_5tupleIJibEEELb1ELb1EEEN6thrust23THRUST_200600_302600_NS16reverse_iteratorIPKiEEjNS1_16block_id_wrapperIjLb1EEEEEvT_jjPNSF_10value_typeET0_PNSt15iterator_traitsISI_E10value_typeEmT1_T2_
    .private_segment_fixed_size: 0
    .sgpr_count:     19
    .sgpr_spill_count: 0
    .symbol:         _ZN7rocprim17ROCPRIM_400000_NS6detail30init_device_scan_by_key_kernelINS1_19lookback_scan_stateINS0_5tupleIJibEEELb1ELb1EEEN6thrust23THRUST_200600_302600_NS16reverse_iteratorIPKiEEjNS1_16block_id_wrapperIjLb1EEEEEvT_jjPNSF_10value_typeET0_PNSt15iterator_traitsISI_E10value_typeEmT1_T2_.kd
    .uniform_work_group_size: 1
    .uses_dynamic_stack: false
    .vgpr_count:     10
    .vgpr_spill_count: 0
    .wavefront_size: 32
  - .args:
      - .offset:         0
        .size:           112
        .value_kind:     by_value
    .group_segment_fixed_size: 0
    .kernarg_segment_align: 8
    .kernarg_segment_size: 112
    .language:       OpenCL C
    .language_version:
      - 2
      - 0
    .max_flat_workgroup_size: 256
    .name:           _ZN7rocprim17ROCPRIM_400000_NS6detail17trampoline_kernelINS0_14default_configENS1_27scan_by_key_config_selectorIiiEEZZNS1_16scan_by_key_implILNS1_25lookback_scan_determinismE0ELb0ES3_N6thrust23THRUST_200600_302600_NS16reverse_iteratorIPKiEESD_NSA_IPiEEiN6hipcub16HIPCUB_304000_NS3MaxENSH_8EqualityEiEE10hipError_tPvRmT2_T3_T4_T5_mT6_T7_P12ihipStream_tbENKUlT_T0_E_clISt17integral_constantIbLb1EES10_EEDaSV_SW_EUlSV_E_NS1_11comp_targetILNS1_3genE0ELNS1_11target_archE4294967295ELNS1_3gpuE0ELNS1_3repE0EEENS1_30default_config_static_selectorELNS0_4arch9wavefront6targetE0EEEvT1_
    .private_segment_fixed_size: 0
    .sgpr_count:     0
    .sgpr_spill_count: 0
    .symbol:         _ZN7rocprim17ROCPRIM_400000_NS6detail17trampoline_kernelINS0_14default_configENS1_27scan_by_key_config_selectorIiiEEZZNS1_16scan_by_key_implILNS1_25lookback_scan_determinismE0ELb0ES3_N6thrust23THRUST_200600_302600_NS16reverse_iteratorIPKiEESD_NSA_IPiEEiN6hipcub16HIPCUB_304000_NS3MaxENSH_8EqualityEiEE10hipError_tPvRmT2_T3_T4_T5_mT6_T7_P12ihipStream_tbENKUlT_T0_E_clISt17integral_constantIbLb1EES10_EEDaSV_SW_EUlSV_E_NS1_11comp_targetILNS1_3genE0ELNS1_11target_archE4294967295ELNS1_3gpuE0ELNS1_3repE0EEENS1_30default_config_static_selectorELNS0_4arch9wavefront6targetE0EEEvT1_.kd
    .uniform_work_group_size: 1
    .uses_dynamic_stack: false
    .vgpr_count:     0
    .vgpr_spill_count: 0
    .wavefront_size: 32
  - .args:
      - .offset:         0
        .size:           112
        .value_kind:     by_value
    .group_segment_fixed_size: 0
    .kernarg_segment_align: 8
    .kernarg_segment_size: 112
    .language:       OpenCL C
    .language_version:
      - 2
      - 0
    .max_flat_workgroup_size: 256
    .name:           _ZN7rocprim17ROCPRIM_400000_NS6detail17trampoline_kernelINS0_14default_configENS1_27scan_by_key_config_selectorIiiEEZZNS1_16scan_by_key_implILNS1_25lookback_scan_determinismE0ELb0ES3_N6thrust23THRUST_200600_302600_NS16reverse_iteratorIPKiEESD_NSA_IPiEEiN6hipcub16HIPCUB_304000_NS3MaxENSH_8EqualityEiEE10hipError_tPvRmT2_T3_T4_T5_mT6_T7_P12ihipStream_tbENKUlT_T0_E_clISt17integral_constantIbLb1EES10_EEDaSV_SW_EUlSV_E_NS1_11comp_targetILNS1_3genE10ELNS1_11target_archE1201ELNS1_3gpuE5ELNS1_3repE0EEENS1_30default_config_static_selectorELNS0_4arch9wavefront6targetE0EEEvT1_
    .private_segment_fixed_size: 0
    .sgpr_count:     0
    .sgpr_spill_count: 0
    .symbol:         _ZN7rocprim17ROCPRIM_400000_NS6detail17trampoline_kernelINS0_14default_configENS1_27scan_by_key_config_selectorIiiEEZZNS1_16scan_by_key_implILNS1_25lookback_scan_determinismE0ELb0ES3_N6thrust23THRUST_200600_302600_NS16reverse_iteratorIPKiEESD_NSA_IPiEEiN6hipcub16HIPCUB_304000_NS3MaxENSH_8EqualityEiEE10hipError_tPvRmT2_T3_T4_T5_mT6_T7_P12ihipStream_tbENKUlT_T0_E_clISt17integral_constantIbLb1EES10_EEDaSV_SW_EUlSV_E_NS1_11comp_targetILNS1_3genE10ELNS1_11target_archE1201ELNS1_3gpuE5ELNS1_3repE0EEENS1_30default_config_static_selectorELNS0_4arch9wavefront6targetE0EEEvT1_.kd
    .uniform_work_group_size: 1
    .uses_dynamic_stack: false
    .vgpr_count:     0
    .vgpr_spill_count: 0
    .wavefront_size: 32
  - .args:
      - .offset:         0
        .size:           112
        .value_kind:     by_value
    .group_segment_fixed_size: 0
    .kernarg_segment_align: 8
    .kernarg_segment_size: 112
    .language:       OpenCL C
    .language_version:
      - 2
      - 0
    .max_flat_workgroup_size: 256
    .name:           _ZN7rocprim17ROCPRIM_400000_NS6detail17trampoline_kernelINS0_14default_configENS1_27scan_by_key_config_selectorIiiEEZZNS1_16scan_by_key_implILNS1_25lookback_scan_determinismE0ELb0ES3_N6thrust23THRUST_200600_302600_NS16reverse_iteratorIPKiEESD_NSA_IPiEEiN6hipcub16HIPCUB_304000_NS3MaxENSH_8EqualityEiEE10hipError_tPvRmT2_T3_T4_T5_mT6_T7_P12ihipStream_tbENKUlT_T0_E_clISt17integral_constantIbLb1EES10_EEDaSV_SW_EUlSV_E_NS1_11comp_targetILNS1_3genE5ELNS1_11target_archE942ELNS1_3gpuE9ELNS1_3repE0EEENS1_30default_config_static_selectorELNS0_4arch9wavefront6targetE0EEEvT1_
    .private_segment_fixed_size: 0
    .sgpr_count:     0
    .sgpr_spill_count: 0
    .symbol:         _ZN7rocprim17ROCPRIM_400000_NS6detail17trampoline_kernelINS0_14default_configENS1_27scan_by_key_config_selectorIiiEEZZNS1_16scan_by_key_implILNS1_25lookback_scan_determinismE0ELb0ES3_N6thrust23THRUST_200600_302600_NS16reverse_iteratorIPKiEESD_NSA_IPiEEiN6hipcub16HIPCUB_304000_NS3MaxENSH_8EqualityEiEE10hipError_tPvRmT2_T3_T4_T5_mT6_T7_P12ihipStream_tbENKUlT_T0_E_clISt17integral_constantIbLb1EES10_EEDaSV_SW_EUlSV_E_NS1_11comp_targetILNS1_3genE5ELNS1_11target_archE942ELNS1_3gpuE9ELNS1_3repE0EEENS1_30default_config_static_selectorELNS0_4arch9wavefront6targetE0EEEvT1_.kd
    .uniform_work_group_size: 1
    .uses_dynamic_stack: false
    .vgpr_count:     0
    .vgpr_spill_count: 0
    .wavefront_size: 32
  - .args:
      - .offset:         0
        .size:           112
        .value_kind:     by_value
    .group_segment_fixed_size: 0
    .kernarg_segment_align: 8
    .kernarg_segment_size: 112
    .language:       OpenCL C
    .language_version:
      - 2
      - 0
    .max_flat_workgroup_size: 256
    .name:           _ZN7rocprim17ROCPRIM_400000_NS6detail17trampoline_kernelINS0_14default_configENS1_27scan_by_key_config_selectorIiiEEZZNS1_16scan_by_key_implILNS1_25lookback_scan_determinismE0ELb0ES3_N6thrust23THRUST_200600_302600_NS16reverse_iteratorIPKiEESD_NSA_IPiEEiN6hipcub16HIPCUB_304000_NS3MaxENSH_8EqualityEiEE10hipError_tPvRmT2_T3_T4_T5_mT6_T7_P12ihipStream_tbENKUlT_T0_E_clISt17integral_constantIbLb1EES10_EEDaSV_SW_EUlSV_E_NS1_11comp_targetILNS1_3genE4ELNS1_11target_archE910ELNS1_3gpuE8ELNS1_3repE0EEENS1_30default_config_static_selectorELNS0_4arch9wavefront6targetE0EEEvT1_
    .private_segment_fixed_size: 0
    .sgpr_count:     0
    .sgpr_spill_count: 0
    .symbol:         _ZN7rocprim17ROCPRIM_400000_NS6detail17trampoline_kernelINS0_14default_configENS1_27scan_by_key_config_selectorIiiEEZZNS1_16scan_by_key_implILNS1_25lookback_scan_determinismE0ELb0ES3_N6thrust23THRUST_200600_302600_NS16reverse_iteratorIPKiEESD_NSA_IPiEEiN6hipcub16HIPCUB_304000_NS3MaxENSH_8EqualityEiEE10hipError_tPvRmT2_T3_T4_T5_mT6_T7_P12ihipStream_tbENKUlT_T0_E_clISt17integral_constantIbLb1EES10_EEDaSV_SW_EUlSV_E_NS1_11comp_targetILNS1_3genE4ELNS1_11target_archE910ELNS1_3gpuE8ELNS1_3repE0EEENS1_30default_config_static_selectorELNS0_4arch9wavefront6targetE0EEEvT1_.kd
    .uniform_work_group_size: 1
    .uses_dynamic_stack: false
    .vgpr_count:     0
    .vgpr_spill_count: 0
    .wavefront_size: 32
  - .args:
      - .offset:         0
        .size:           112
        .value_kind:     by_value
    .group_segment_fixed_size: 0
    .kernarg_segment_align: 8
    .kernarg_segment_size: 112
    .language:       OpenCL C
    .language_version:
      - 2
      - 0
    .max_flat_workgroup_size: 256
    .name:           _ZN7rocprim17ROCPRIM_400000_NS6detail17trampoline_kernelINS0_14default_configENS1_27scan_by_key_config_selectorIiiEEZZNS1_16scan_by_key_implILNS1_25lookback_scan_determinismE0ELb0ES3_N6thrust23THRUST_200600_302600_NS16reverse_iteratorIPKiEESD_NSA_IPiEEiN6hipcub16HIPCUB_304000_NS3MaxENSH_8EqualityEiEE10hipError_tPvRmT2_T3_T4_T5_mT6_T7_P12ihipStream_tbENKUlT_T0_E_clISt17integral_constantIbLb1EES10_EEDaSV_SW_EUlSV_E_NS1_11comp_targetILNS1_3genE3ELNS1_11target_archE908ELNS1_3gpuE7ELNS1_3repE0EEENS1_30default_config_static_selectorELNS0_4arch9wavefront6targetE0EEEvT1_
    .private_segment_fixed_size: 0
    .sgpr_count:     0
    .sgpr_spill_count: 0
    .symbol:         _ZN7rocprim17ROCPRIM_400000_NS6detail17trampoline_kernelINS0_14default_configENS1_27scan_by_key_config_selectorIiiEEZZNS1_16scan_by_key_implILNS1_25lookback_scan_determinismE0ELb0ES3_N6thrust23THRUST_200600_302600_NS16reverse_iteratorIPKiEESD_NSA_IPiEEiN6hipcub16HIPCUB_304000_NS3MaxENSH_8EqualityEiEE10hipError_tPvRmT2_T3_T4_T5_mT6_T7_P12ihipStream_tbENKUlT_T0_E_clISt17integral_constantIbLb1EES10_EEDaSV_SW_EUlSV_E_NS1_11comp_targetILNS1_3genE3ELNS1_11target_archE908ELNS1_3gpuE7ELNS1_3repE0EEENS1_30default_config_static_selectorELNS0_4arch9wavefront6targetE0EEEvT1_.kd
    .uniform_work_group_size: 1
    .uses_dynamic_stack: false
    .vgpr_count:     0
    .vgpr_spill_count: 0
    .wavefront_size: 32
  - .args:
      - .offset:         0
        .size:           112
        .value_kind:     by_value
    .group_segment_fixed_size: 0
    .kernarg_segment_align: 8
    .kernarg_segment_size: 112
    .language:       OpenCL C
    .language_version:
      - 2
      - 0
    .max_flat_workgroup_size: 256
    .name:           _ZN7rocprim17ROCPRIM_400000_NS6detail17trampoline_kernelINS0_14default_configENS1_27scan_by_key_config_selectorIiiEEZZNS1_16scan_by_key_implILNS1_25lookback_scan_determinismE0ELb0ES3_N6thrust23THRUST_200600_302600_NS16reverse_iteratorIPKiEESD_NSA_IPiEEiN6hipcub16HIPCUB_304000_NS3MaxENSH_8EqualityEiEE10hipError_tPvRmT2_T3_T4_T5_mT6_T7_P12ihipStream_tbENKUlT_T0_E_clISt17integral_constantIbLb1EES10_EEDaSV_SW_EUlSV_E_NS1_11comp_targetILNS1_3genE2ELNS1_11target_archE906ELNS1_3gpuE6ELNS1_3repE0EEENS1_30default_config_static_selectorELNS0_4arch9wavefront6targetE0EEEvT1_
    .private_segment_fixed_size: 0
    .sgpr_count:     0
    .sgpr_spill_count: 0
    .symbol:         _ZN7rocprim17ROCPRIM_400000_NS6detail17trampoline_kernelINS0_14default_configENS1_27scan_by_key_config_selectorIiiEEZZNS1_16scan_by_key_implILNS1_25lookback_scan_determinismE0ELb0ES3_N6thrust23THRUST_200600_302600_NS16reverse_iteratorIPKiEESD_NSA_IPiEEiN6hipcub16HIPCUB_304000_NS3MaxENSH_8EqualityEiEE10hipError_tPvRmT2_T3_T4_T5_mT6_T7_P12ihipStream_tbENKUlT_T0_E_clISt17integral_constantIbLb1EES10_EEDaSV_SW_EUlSV_E_NS1_11comp_targetILNS1_3genE2ELNS1_11target_archE906ELNS1_3gpuE6ELNS1_3repE0EEENS1_30default_config_static_selectorELNS0_4arch9wavefront6targetE0EEEvT1_.kd
    .uniform_work_group_size: 1
    .uses_dynamic_stack: false
    .vgpr_count:     0
    .vgpr_spill_count: 0
    .wavefront_size: 32
  - .args:
      - .offset:         0
        .size:           112
        .value_kind:     by_value
    .group_segment_fixed_size: 0
    .kernarg_segment_align: 8
    .kernarg_segment_size: 112
    .language:       OpenCL C
    .language_version:
      - 2
      - 0
    .max_flat_workgroup_size: 256
    .name:           _ZN7rocprim17ROCPRIM_400000_NS6detail17trampoline_kernelINS0_14default_configENS1_27scan_by_key_config_selectorIiiEEZZNS1_16scan_by_key_implILNS1_25lookback_scan_determinismE0ELb0ES3_N6thrust23THRUST_200600_302600_NS16reverse_iteratorIPKiEESD_NSA_IPiEEiN6hipcub16HIPCUB_304000_NS3MaxENSH_8EqualityEiEE10hipError_tPvRmT2_T3_T4_T5_mT6_T7_P12ihipStream_tbENKUlT_T0_E_clISt17integral_constantIbLb1EES10_EEDaSV_SW_EUlSV_E_NS1_11comp_targetILNS1_3genE10ELNS1_11target_archE1200ELNS1_3gpuE4ELNS1_3repE0EEENS1_30default_config_static_selectorELNS0_4arch9wavefront6targetE0EEEvT1_
    .private_segment_fixed_size: 0
    .sgpr_count:     0
    .sgpr_spill_count: 0
    .symbol:         _ZN7rocprim17ROCPRIM_400000_NS6detail17trampoline_kernelINS0_14default_configENS1_27scan_by_key_config_selectorIiiEEZZNS1_16scan_by_key_implILNS1_25lookback_scan_determinismE0ELb0ES3_N6thrust23THRUST_200600_302600_NS16reverse_iteratorIPKiEESD_NSA_IPiEEiN6hipcub16HIPCUB_304000_NS3MaxENSH_8EqualityEiEE10hipError_tPvRmT2_T3_T4_T5_mT6_T7_P12ihipStream_tbENKUlT_T0_E_clISt17integral_constantIbLb1EES10_EEDaSV_SW_EUlSV_E_NS1_11comp_targetILNS1_3genE10ELNS1_11target_archE1200ELNS1_3gpuE4ELNS1_3repE0EEENS1_30default_config_static_selectorELNS0_4arch9wavefront6targetE0EEEvT1_.kd
    .uniform_work_group_size: 1
    .uses_dynamic_stack: false
    .vgpr_count:     0
    .vgpr_spill_count: 0
    .wavefront_size: 32
  - .args:
      - .offset:         0
        .size:           112
        .value_kind:     by_value
    .group_segment_fixed_size: 0
    .kernarg_segment_align: 8
    .kernarg_segment_size: 112
    .language:       OpenCL C
    .language_version:
      - 2
      - 0
    .max_flat_workgroup_size: 256
    .name:           _ZN7rocprim17ROCPRIM_400000_NS6detail17trampoline_kernelINS0_14default_configENS1_27scan_by_key_config_selectorIiiEEZZNS1_16scan_by_key_implILNS1_25lookback_scan_determinismE0ELb0ES3_N6thrust23THRUST_200600_302600_NS16reverse_iteratorIPKiEESD_NSA_IPiEEiN6hipcub16HIPCUB_304000_NS3MaxENSH_8EqualityEiEE10hipError_tPvRmT2_T3_T4_T5_mT6_T7_P12ihipStream_tbENKUlT_T0_E_clISt17integral_constantIbLb1EES10_EEDaSV_SW_EUlSV_E_NS1_11comp_targetILNS1_3genE9ELNS1_11target_archE1100ELNS1_3gpuE3ELNS1_3repE0EEENS1_30default_config_static_selectorELNS0_4arch9wavefront6targetE0EEEvT1_
    .private_segment_fixed_size: 0
    .sgpr_count:     0
    .sgpr_spill_count: 0
    .symbol:         _ZN7rocprim17ROCPRIM_400000_NS6detail17trampoline_kernelINS0_14default_configENS1_27scan_by_key_config_selectorIiiEEZZNS1_16scan_by_key_implILNS1_25lookback_scan_determinismE0ELb0ES3_N6thrust23THRUST_200600_302600_NS16reverse_iteratorIPKiEESD_NSA_IPiEEiN6hipcub16HIPCUB_304000_NS3MaxENSH_8EqualityEiEE10hipError_tPvRmT2_T3_T4_T5_mT6_T7_P12ihipStream_tbENKUlT_T0_E_clISt17integral_constantIbLb1EES10_EEDaSV_SW_EUlSV_E_NS1_11comp_targetILNS1_3genE9ELNS1_11target_archE1100ELNS1_3gpuE3ELNS1_3repE0EEENS1_30default_config_static_selectorELNS0_4arch9wavefront6targetE0EEEvT1_.kd
    .uniform_work_group_size: 1
    .uses_dynamic_stack: false
    .vgpr_count:     0
    .vgpr_spill_count: 0
    .wavefront_size: 32
  - .args:
      - .offset:         0
        .size:           112
        .value_kind:     by_value
    .group_segment_fixed_size: 0
    .kernarg_segment_align: 8
    .kernarg_segment_size: 112
    .language:       OpenCL C
    .language_version:
      - 2
      - 0
    .max_flat_workgroup_size: 256
    .name:           _ZN7rocprim17ROCPRIM_400000_NS6detail17trampoline_kernelINS0_14default_configENS1_27scan_by_key_config_selectorIiiEEZZNS1_16scan_by_key_implILNS1_25lookback_scan_determinismE0ELb0ES3_N6thrust23THRUST_200600_302600_NS16reverse_iteratorIPKiEESD_NSA_IPiEEiN6hipcub16HIPCUB_304000_NS3MaxENSH_8EqualityEiEE10hipError_tPvRmT2_T3_T4_T5_mT6_T7_P12ihipStream_tbENKUlT_T0_E_clISt17integral_constantIbLb1EES10_EEDaSV_SW_EUlSV_E_NS1_11comp_targetILNS1_3genE8ELNS1_11target_archE1030ELNS1_3gpuE2ELNS1_3repE0EEENS1_30default_config_static_selectorELNS0_4arch9wavefront6targetE0EEEvT1_
    .private_segment_fixed_size: 0
    .sgpr_count:     0
    .sgpr_spill_count: 0
    .symbol:         _ZN7rocprim17ROCPRIM_400000_NS6detail17trampoline_kernelINS0_14default_configENS1_27scan_by_key_config_selectorIiiEEZZNS1_16scan_by_key_implILNS1_25lookback_scan_determinismE0ELb0ES3_N6thrust23THRUST_200600_302600_NS16reverse_iteratorIPKiEESD_NSA_IPiEEiN6hipcub16HIPCUB_304000_NS3MaxENSH_8EqualityEiEE10hipError_tPvRmT2_T3_T4_T5_mT6_T7_P12ihipStream_tbENKUlT_T0_E_clISt17integral_constantIbLb1EES10_EEDaSV_SW_EUlSV_E_NS1_11comp_targetILNS1_3genE8ELNS1_11target_archE1030ELNS1_3gpuE2ELNS1_3repE0EEENS1_30default_config_static_selectorELNS0_4arch9wavefront6targetE0EEEvT1_.kd
    .uniform_work_group_size: 1
    .uses_dynamic_stack: false
    .vgpr_count:     0
    .vgpr_spill_count: 0
    .wavefront_size: 32
  - .args:
      - .address_space:  global
        .offset:         0
        .size:           8
        .value_kind:     global_buffer
      - .offset:         8
        .size:           4
        .value_kind:     by_value
      - .offset:         12
        .size:           4
        .value_kind:     by_value
      - .address_space:  global
        .offset:         16
        .size:           8
        .value_kind:     global_buffer
      - .address_space:  global
        .offset:         24
        .size:           8
        .value_kind:     global_buffer
      - .actual_access:  write_only
        .address_space:  global
        .offset:         32
        .size:           8
        .value_kind:     global_buffer
      - .offset:         40
        .size:           8
        .value_kind:     by_value
      - .offset:         48
        .size:           4
        .value_kind:     by_value
      - .offset:         52
        .size:           1
        .value_kind:     by_value
      - .offset:         56
        .size:           4
        .value_kind:     hidden_block_count_x
      - .offset:         60
        .size:           4
        .value_kind:     hidden_block_count_y
      - .offset:         64
        .size:           4
        .value_kind:     hidden_block_count_z
      - .offset:         68
        .size:           2
        .value_kind:     hidden_group_size_x
      - .offset:         70
        .size:           2
        .value_kind:     hidden_group_size_y
      - .offset:         72
        .size:           2
        .value_kind:     hidden_group_size_z
      - .offset:         74
        .size:           2
        .value_kind:     hidden_remainder_x
      - .offset:         76
        .size:           2
        .value_kind:     hidden_remainder_y
      - .offset:         78
        .size:           2
        .value_kind:     hidden_remainder_z
      - .offset:         96
        .size:           8
        .value_kind:     hidden_global_offset_x
      - .offset:         104
        .size:           8
        .value_kind:     hidden_global_offset_y
      - .offset:         112
        .size:           8
        .value_kind:     hidden_global_offset_z
      - .offset:         120
        .size:           2
        .value_kind:     hidden_grid_dims
    .group_segment_fixed_size: 0
    .kernarg_segment_align: 8
    .kernarg_segment_size: 312
    .language:       OpenCL C
    .language_version:
      - 2
      - 0
    .max_flat_workgroup_size: 256
    .name:           _ZN7rocprim17ROCPRIM_400000_NS6detail30init_device_scan_by_key_kernelINS1_19lookback_scan_stateINS0_5tupleIJibEEELb1ELb1EEEN6thrust23THRUST_200600_302600_NS16reverse_iteratorIPKiEEjNS1_16block_id_wrapperIjLb0EEEEEvT_jjPNSF_10value_typeET0_PNSt15iterator_traitsISI_E10value_typeEmT1_T2_
    .private_segment_fixed_size: 0
    .sgpr_count:     19
    .sgpr_spill_count: 0
    .symbol:         _ZN7rocprim17ROCPRIM_400000_NS6detail30init_device_scan_by_key_kernelINS1_19lookback_scan_stateINS0_5tupleIJibEEELb1ELb1EEEN6thrust23THRUST_200600_302600_NS16reverse_iteratorIPKiEEjNS1_16block_id_wrapperIjLb0EEEEEvT_jjPNSF_10value_typeET0_PNSt15iterator_traitsISI_E10value_typeEmT1_T2_.kd
    .uniform_work_group_size: 1
    .uses_dynamic_stack: false
    .vgpr_count:     10
    .vgpr_spill_count: 0
    .wavefront_size: 32
  - .args:
      - .offset:         0
        .size:           112
        .value_kind:     by_value
    .group_segment_fixed_size: 0
    .kernarg_segment_align: 8
    .kernarg_segment_size: 112
    .language:       OpenCL C
    .language_version:
      - 2
      - 0
    .max_flat_workgroup_size: 256
    .name:           _ZN7rocprim17ROCPRIM_400000_NS6detail17trampoline_kernelINS0_14default_configENS1_27scan_by_key_config_selectorIiiEEZZNS1_16scan_by_key_implILNS1_25lookback_scan_determinismE0ELb0ES3_N6thrust23THRUST_200600_302600_NS16reverse_iteratorIPKiEESD_NSA_IPiEEiN6hipcub16HIPCUB_304000_NS3MaxENSH_8EqualityEiEE10hipError_tPvRmT2_T3_T4_T5_mT6_T7_P12ihipStream_tbENKUlT_T0_E_clISt17integral_constantIbLb1EESZ_IbLb0EEEEDaSV_SW_EUlSV_E_NS1_11comp_targetILNS1_3genE0ELNS1_11target_archE4294967295ELNS1_3gpuE0ELNS1_3repE0EEENS1_30default_config_static_selectorELNS0_4arch9wavefront6targetE0EEEvT1_
    .private_segment_fixed_size: 0
    .sgpr_count:     0
    .sgpr_spill_count: 0
    .symbol:         _ZN7rocprim17ROCPRIM_400000_NS6detail17trampoline_kernelINS0_14default_configENS1_27scan_by_key_config_selectorIiiEEZZNS1_16scan_by_key_implILNS1_25lookback_scan_determinismE0ELb0ES3_N6thrust23THRUST_200600_302600_NS16reverse_iteratorIPKiEESD_NSA_IPiEEiN6hipcub16HIPCUB_304000_NS3MaxENSH_8EqualityEiEE10hipError_tPvRmT2_T3_T4_T5_mT6_T7_P12ihipStream_tbENKUlT_T0_E_clISt17integral_constantIbLb1EESZ_IbLb0EEEEDaSV_SW_EUlSV_E_NS1_11comp_targetILNS1_3genE0ELNS1_11target_archE4294967295ELNS1_3gpuE0ELNS1_3repE0EEENS1_30default_config_static_selectorELNS0_4arch9wavefront6targetE0EEEvT1_.kd
    .uniform_work_group_size: 1
    .uses_dynamic_stack: false
    .vgpr_count:     0
    .vgpr_spill_count: 0
    .wavefront_size: 32
  - .args:
      - .offset:         0
        .size:           112
        .value_kind:     by_value
    .group_segment_fixed_size: 0
    .kernarg_segment_align: 8
    .kernarg_segment_size: 112
    .language:       OpenCL C
    .language_version:
      - 2
      - 0
    .max_flat_workgroup_size: 256
    .name:           _ZN7rocprim17ROCPRIM_400000_NS6detail17trampoline_kernelINS0_14default_configENS1_27scan_by_key_config_selectorIiiEEZZNS1_16scan_by_key_implILNS1_25lookback_scan_determinismE0ELb0ES3_N6thrust23THRUST_200600_302600_NS16reverse_iteratorIPKiEESD_NSA_IPiEEiN6hipcub16HIPCUB_304000_NS3MaxENSH_8EqualityEiEE10hipError_tPvRmT2_T3_T4_T5_mT6_T7_P12ihipStream_tbENKUlT_T0_E_clISt17integral_constantIbLb1EESZ_IbLb0EEEEDaSV_SW_EUlSV_E_NS1_11comp_targetILNS1_3genE10ELNS1_11target_archE1201ELNS1_3gpuE5ELNS1_3repE0EEENS1_30default_config_static_selectorELNS0_4arch9wavefront6targetE0EEEvT1_
    .private_segment_fixed_size: 0
    .sgpr_count:     0
    .sgpr_spill_count: 0
    .symbol:         _ZN7rocprim17ROCPRIM_400000_NS6detail17trampoline_kernelINS0_14default_configENS1_27scan_by_key_config_selectorIiiEEZZNS1_16scan_by_key_implILNS1_25lookback_scan_determinismE0ELb0ES3_N6thrust23THRUST_200600_302600_NS16reverse_iteratorIPKiEESD_NSA_IPiEEiN6hipcub16HIPCUB_304000_NS3MaxENSH_8EqualityEiEE10hipError_tPvRmT2_T3_T4_T5_mT6_T7_P12ihipStream_tbENKUlT_T0_E_clISt17integral_constantIbLb1EESZ_IbLb0EEEEDaSV_SW_EUlSV_E_NS1_11comp_targetILNS1_3genE10ELNS1_11target_archE1201ELNS1_3gpuE5ELNS1_3repE0EEENS1_30default_config_static_selectorELNS0_4arch9wavefront6targetE0EEEvT1_.kd
    .uniform_work_group_size: 1
    .uses_dynamic_stack: false
    .vgpr_count:     0
    .vgpr_spill_count: 0
    .wavefront_size: 32
  - .args:
      - .offset:         0
        .size:           112
        .value_kind:     by_value
    .group_segment_fixed_size: 0
    .kernarg_segment_align: 8
    .kernarg_segment_size: 112
    .language:       OpenCL C
    .language_version:
      - 2
      - 0
    .max_flat_workgroup_size: 256
    .name:           _ZN7rocprim17ROCPRIM_400000_NS6detail17trampoline_kernelINS0_14default_configENS1_27scan_by_key_config_selectorIiiEEZZNS1_16scan_by_key_implILNS1_25lookback_scan_determinismE0ELb0ES3_N6thrust23THRUST_200600_302600_NS16reverse_iteratorIPKiEESD_NSA_IPiEEiN6hipcub16HIPCUB_304000_NS3MaxENSH_8EqualityEiEE10hipError_tPvRmT2_T3_T4_T5_mT6_T7_P12ihipStream_tbENKUlT_T0_E_clISt17integral_constantIbLb1EESZ_IbLb0EEEEDaSV_SW_EUlSV_E_NS1_11comp_targetILNS1_3genE5ELNS1_11target_archE942ELNS1_3gpuE9ELNS1_3repE0EEENS1_30default_config_static_selectorELNS0_4arch9wavefront6targetE0EEEvT1_
    .private_segment_fixed_size: 0
    .sgpr_count:     0
    .sgpr_spill_count: 0
    .symbol:         _ZN7rocprim17ROCPRIM_400000_NS6detail17trampoline_kernelINS0_14default_configENS1_27scan_by_key_config_selectorIiiEEZZNS1_16scan_by_key_implILNS1_25lookback_scan_determinismE0ELb0ES3_N6thrust23THRUST_200600_302600_NS16reverse_iteratorIPKiEESD_NSA_IPiEEiN6hipcub16HIPCUB_304000_NS3MaxENSH_8EqualityEiEE10hipError_tPvRmT2_T3_T4_T5_mT6_T7_P12ihipStream_tbENKUlT_T0_E_clISt17integral_constantIbLb1EESZ_IbLb0EEEEDaSV_SW_EUlSV_E_NS1_11comp_targetILNS1_3genE5ELNS1_11target_archE942ELNS1_3gpuE9ELNS1_3repE0EEENS1_30default_config_static_selectorELNS0_4arch9wavefront6targetE0EEEvT1_.kd
    .uniform_work_group_size: 1
    .uses_dynamic_stack: false
    .vgpr_count:     0
    .vgpr_spill_count: 0
    .wavefront_size: 32
  - .args:
      - .offset:         0
        .size:           112
        .value_kind:     by_value
    .group_segment_fixed_size: 0
    .kernarg_segment_align: 8
    .kernarg_segment_size: 112
    .language:       OpenCL C
    .language_version:
      - 2
      - 0
    .max_flat_workgroup_size: 256
    .name:           _ZN7rocprim17ROCPRIM_400000_NS6detail17trampoline_kernelINS0_14default_configENS1_27scan_by_key_config_selectorIiiEEZZNS1_16scan_by_key_implILNS1_25lookback_scan_determinismE0ELb0ES3_N6thrust23THRUST_200600_302600_NS16reverse_iteratorIPKiEESD_NSA_IPiEEiN6hipcub16HIPCUB_304000_NS3MaxENSH_8EqualityEiEE10hipError_tPvRmT2_T3_T4_T5_mT6_T7_P12ihipStream_tbENKUlT_T0_E_clISt17integral_constantIbLb1EESZ_IbLb0EEEEDaSV_SW_EUlSV_E_NS1_11comp_targetILNS1_3genE4ELNS1_11target_archE910ELNS1_3gpuE8ELNS1_3repE0EEENS1_30default_config_static_selectorELNS0_4arch9wavefront6targetE0EEEvT1_
    .private_segment_fixed_size: 0
    .sgpr_count:     0
    .sgpr_spill_count: 0
    .symbol:         _ZN7rocprim17ROCPRIM_400000_NS6detail17trampoline_kernelINS0_14default_configENS1_27scan_by_key_config_selectorIiiEEZZNS1_16scan_by_key_implILNS1_25lookback_scan_determinismE0ELb0ES3_N6thrust23THRUST_200600_302600_NS16reverse_iteratorIPKiEESD_NSA_IPiEEiN6hipcub16HIPCUB_304000_NS3MaxENSH_8EqualityEiEE10hipError_tPvRmT2_T3_T4_T5_mT6_T7_P12ihipStream_tbENKUlT_T0_E_clISt17integral_constantIbLb1EESZ_IbLb0EEEEDaSV_SW_EUlSV_E_NS1_11comp_targetILNS1_3genE4ELNS1_11target_archE910ELNS1_3gpuE8ELNS1_3repE0EEENS1_30default_config_static_selectorELNS0_4arch9wavefront6targetE0EEEvT1_.kd
    .uniform_work_group_size: 1
    .uses_dynamic_stack: false
    .vgpr_count:     0
    .vgpr_spill_count: 0
    .wavefront_size: 32
  - .args:
      - .offset:         0
        .size:           112
        .value_kind:     by_value
    .group_segment_fixed_size: 0
    .kernarg_segment_align: 8
    .kernarg_segment_size: 112
    .language:       OpenCL C
    .language_version:
      - 2
      - 0
    .max_flat_workgroup_size: 256
    .name:           _ZN7rocprim17ROCPRIM_400000_NS6detail17trampoline_kernelINS0_14default_configENS1_27scan_by_key_config_selectorIiiEEZZNS1_16scan_by_key_implILNS1_25lookback_scan_determinismE0ELb0ES3_N6thrust23THRUST_200600_302600_NS16reverse_iteratorIPKiEESD_NSA_IPiEEiN6hipcub16HIPCUB_304000_NS3MaxENSH_8EqualityEiEE10hipError_tPvRmT2_T3_T4_T5_mT6_T7_P12ihipStream_tbENKUlT_T0_E_clISt17integral_constantIbLb1EESZ_IbLb0EEEEDaSV_SW_EUlSV_E_NS1_11comp_targetILNS1_3genE3ELNS1_11target_archE908ELNS1_3gpuE7ELNS1_3repE0EEENS1_30default_config_static_selectorELNS0_4arch9wavefront6targetE0EEEvT1_
    .private_segment_fixed_size: 0
    .sgpr_count:     0
    .sgpr_spill_count: 0
    .symbol:         _ZN7rocprim17ROCPRIM_400000_NS6detail17trampoline_kernelINS0_14default_configENS1_27scan_by_key_config_selectorIiiEEZZNS1_16scan_by_key_implILNS1_25lookback_scan_determinismE0ELb0ES3_N6thrust23THRUST_200600_302600_NS16reverse_iteratorIPKiEESD_NSA_IPiEEiN6hipcub16HIPCUB_304000_NS3MaxENSH_8EqualityEiEE10hipError_tPvRmT2_T3_T4_T5_mT6_T7_P12ihipStream_tbENKUlT_T0_E_clISt17integral_constantIbLb1EESZ_IbLb0EEEEDaSV_SW_EUlSV_E_NS1_11comp_targetILNS1_3genE3ELNS1_11target_archE908ELNS1_3gpuE7ELNS1_3repE0EEENS1_30default_config_static_selectorELNS0_4arch9wavefront6targetE0EEEvT1_.kd
    .uniform_work_group_size: 1
    .uses_dynamic_stack: false
    .vgpr_count:     0
    .vgpr_spill_count: 0
    .wavefront_size: 32
  - .args:
      - .offset:         0
        .size:           112
        .value_kind:     by_value
    .group_segment_fixed_size: 0
    .kernarg_segment_align: 8
    .kernarg_segment_size: 112
    .language:       OpenCL C
    .language_version:
      - 2
      - 0
    .max_flat_workgroup_size: 256
    .name:           _ZN7rocprim17ROCPRIM_400000_NS6detail17trampoline_kernelINS0_14default_configENS1_27scan_by_key_config_selectorIiiEEZZNS1_16scan_by_key_implILNS1_25lookback_scan_determinismE0ELb0ES3_N6thrust23THRUST_200600_302600_NS16reverse_iteratorIPKiEESD_NSA_IPiEEiN6hipcub16HIPCUB_304000_NS3MaxENSH_8EqualityEiEE10hipError_tPvRmT2_T3_T4_T5_mT6_T7_P12ihipStream_tbENKUlT_T0_E_clISt17integral_constantIbLb1EESZ_IbLb0EEEEDaSV_SW_EUlSV_E_NS1_11comp_targetILNS1_3genE2ELNS1_11target_archE906ELNS1_3gpuE6ELNS1_3repE0EEENS1_30default_config_static_selectorELNS0_4arch9wavefront6targetE0EEEvT1_
    .private_segment_fixed_size: 0
    .sgpr_count:     0
    .sgpr_spill_count: 0
    .symbol:         _ZN7rocprim17ROCPRIM_400000_NS6detail17trampoline_kernelINS0_14default_configENS1_27scan_by_key_config_selectorIiiEEZZNS1_16scan_by_key_implILNS1_25lookback_scan_determinismE0ELb0ES3_N6thrust23THRUST_200600_302600_NS16reverse_iteratorIPKiEESD_NSA_IPiEEiN6hipcub16HIPCUB_304000_NS3MaxENSH_8EqualityEiEE10hipError_tPvRmT2_T3_T4_T5_mT6_T7_P12ihipStream_tbENKUlT_T0_E_clISt17integral_constantIbLb1EESZ_IbLb0EEEEDaSV_SW_EUlSV_E_NS1_11comp_targetILNS1_3genE2ELNS1_11target_archE906ELNS1_3gpuE6ELNS1_3repE0EEENS1_30default_config_static_selectorELNS0_4arch9wavefront6targetE0EEEvT1_.kd
    .uniform_work_group_size: 1
    .uses_dynamic_stack: false
    .vgpr_count:     0
    .vgpr_spill_count: 0
    .wavefront_size: 32
  - .args:
      - .offset:         0
        .size:           112
        .value_kind:     by_value
    .group_segment_fixed_size: 0
    .kernarg_segment_align: 8
    .kernarg_segment_size: 112
    .language:       OpenCL C
    .language_version:
      - 2
      - 0
    .max_flat_workgroup_size: 256
    .name:           _ZN7rocprim17ROCPRIM_400000_NS6detail17trampoline_kernelINS0_14default_configENS1_27scan_by_key_config_selectorIiiEEZZNS1_16scan_by_key_implILNS1_25lookback_scan_determinismE0ELb0ES3_N6thrust23THRUST_200600_302600_NS16reverse_iteratorIPKiEESD_NSA_IPiEEiN6hipcub16HIPCUB_304000_NS3MaxENSH_8EqualityEiEE10hipError_tPvRmT2_T3_T4_T5_mT6_T7_P12ihipStream_tbENKUlT_T0_E_clISt17integral_constantIbLb1EESZ_IbLb0EEEEDaSV_SW_EUlSV_E_NS1_11comp_targetILNS1_3genE10ELNS1_11target_archE1200ELNS1_3gpuE4ELNS1_3repE0EEENS1_30default_config_static_selectorELNS0_4arch9wavefront6targetE0EEEvT1_
    .private_segment_fixed_size: 0
    .sgpr_count:     0
    .sgpr_spill_count: 0
    .symbol:         _ZN7rocprim17ROCPRIM_400000_NS6detail17trampoline_kernelINS0_14default_configENS1_27scan_by_key_config_selectorIiiEEZZNS1_16scan_by_key_implILNS1_25lookback_scan_determinismE0ELb0ES3_N6thrust23THRUST_200600_302600_NS16reverse_iteratorIPKiEESD_NSA_IPiEEiN6hipcub16HIPCUB_304000_NS3MaxENSH_8EqualityEiEE10hipError_tPvRmT2_T3_T4_T5_mT6_T7_P12ihipStream_tbENKUlT_T0_E_clISt17integral_constantIbLb1EESZ_IbLb0EEEEDaSV_SW_EUlSV_E_NS1_11comp_targetILNS1_3genE10ELNS1_11target_archE1200ELNS1_3gpuE4ELNS1_3repE0EEENS1_30default_config_static_selectorELNS0_4arch9wavefront6targetE0EEEvT1_.kd
    .uniform_work_group_size: 1
    .uses_dynamic_stack: false
    .vgpr_count:     0
    .vgpr_spill_count: 0
    .wavefront_size: 32
  - .args:
      - .offset:         0
        .size:           112
        .value_kind:     by_value
    .group_segment_fixed_size: 0
    .kernarg_segment_align: 8
    .kernarg_segment_size: 112
    .language:       OpenCL C
    .language_version:
      - 2
      - 0
    .max_flat_workgroup_size: 256
    .name:           _ZN7rocprim17ROCPRIM_400000_NS6detail17trampoline_kernelINS0_14default_configENS1_27scan_by_key_config_selectorIiiEEZZNS1_16scan_by_key_implILNS1_25lookback_scan_determinismE0ELb0ES3_N6thrust23THRUST_200600_302600_NS16reverse_iteratorIPKiEESD_NSA_IPiEEiN6hipcub16HIPCUB_304000_NS3MaxENSH_8EqualityEiEE10hipError_tPvRmT2_T3_T4_T5_mT6_T7_P12ihipStream_tbENKUlT_T0_E_clISt17integral_constantIbLb1EESZ_IbLb0EEEEDaSV_SW_EUlSV_E_NS1_11comp_targetILNS1_3genE9ELNS1_11target_archE1100ELNS1_3gpuE3ELNS1_3repE0EEENS1_30default_config_static_selectorELNS0_4arch9wavefront6targetE0EEEvT1_
    .private_segment_fixed_size: 0
    .sgpr_count:     0
    .sgpr_spill_count: 0
    .symbol:         _ZN7rocprim17ROCPRIM_400000_NS6detail17trampoline_kernelINS0_14default_configENS1_27scan_by_key_config_selectorIiiEEZZNS1_16scan_by_key_implILNS1_25lookback_scan_determinismE0ELb0ES3_N6thrust23THRUST_200600_302600_NS16reverse_iteratorIPKiEESD_NSA_IPiEEiN6hipcub16HIPCUB_304000_NS3MaxENSH_8EqualityEiEE10hipError_tPvRmT2_T3_T4_T5_mT6_T7_P12ihipStream_tbENKUlT_T0_E_clISt17integral_constantIbLb1EESZ_IbLb0EEEEDaSV_SW_EUlSV_E_NS1_11comp_targetILNS1_3genE9ELNS1_11target_archE1100ELNS1_3gpuE3ELNS1_3repE0EEENS1_30default_config_static_selectorELNS0_4arch9wavefront6targetE0EEEvT1_.kd
    .uniform_work_group_size: 1
    .uses_dynamic_stack: false
    .vgpr_count:     0
    .vgpr_spill_count: 0
    .wavefront_size: 32
  - .args:
      - .offset:         0
        .size:           112
        .value_kind:     by_value
    .group_segment_fixed_size: 0
    .kernarg_segment_align: 8
    .kernarg_segment_size: 112
    .language:       OpenCL C
    .language_version:
      - 2
      - 0
    .max_flat_workgroup_size: 256
    .name:           _ZN7rocprim17ROCPRIM_400000_NS6detail17trampoline_kernelINS0_14default_configENS1_27scan_by_key_config_selectorIiiEEZZNS1_16scan_by_key_implILNS1_25lookback_scan_determinismE0ELb0ES3_N6thrust23THRUST_200600_302600_NS16reverse_iteratorIPKiEESD_NSA_IPiEEiN6hipcub16HIPCUB_304000_NS3MaxENSH_8EqualityEiEE10hipError_tPvRmT2_T3_T4_T5_mT6_T7_P12ihipStream_tbENKUlT_T0_E_clISt17integral_constantIbLb1EESZ_IbLb0EEEEDaSV_SW_EUlSV_E_NS1_11comp_targetILNS1_3genE8ELNS1_11target_archE1030ELNS1_3gpuE2ELNS1_3repE0EEENS1_30default_config_static_selectorELNS0_4arch9wavefront6targetE0EEEvT1_
    .private_segment_fixed_size: 0
    .sgpr_count:     0
    .sgpr_spill_count: 0
    .symbol:         _ZN7rocprim17ROCPRIM_400000_NS6detail17trampoline_kernelINS0_14default_configENS1_27scan_by_key_config_selectorIiiEEZZNS1_16scan_by_key_implILNS1_25lookback_scan_determinismE0ELb0ES3_N6thrust23THRUST_200600_302600_NS16reverse_iteratorIPKiEESD_NSA_IPiEEiN6hipcub16HIPCUB_304000_NS3MaxENSH_8EqualityEiEE10hipError_tPvRmT2_T3_T4_T5_mT6_T7_P12ihipStream_tbENKUlT_T0_E_clISt17integral_constantIbLb1EESZ_IbLb0EEEEDaSV_SW_EUlSV_E_NS1_11comp_targetILNS1_3genE8ELNS1_11target_archE1030ELNS1_3gpuE2ELNS1_3repE0EEENS1_30default_config_static_selectorELNS0_4arch9wavefront6targetE0EEEvT1_.kd
    .uniform_work_group_size: 1
    .uses_dynamic_stack: false
    .vgpr_count:     0
    .vgpr_spill_count: 0
    .wavefront_size: 32
  - .args:
      - .address_space:  global
        .offset:         0
        .size:           8
        .value_kind:     global_buffer
      - .offset:         8
        .size:           4
        .value_kind:     by_value
      - .offset:         12
        .size:           4
        .value_kind:     by_value
      - .address_space:  global
        .offset:         16
        .size:           8
        .value_kind:     global_buffer
      - .address_space:  global
        .offset:         24
        .size:           8
        .value_kind:     global_buffer
      - .actual_access:  write_only
        .address_space:  global
        .offset:         32
        .size:           8
        .value_kind:     global_buffer
      - .offset:         40
        .size:           8
        .value_kind:     by_value
      - .offset:         48
        .size:           4
        .value_kind:     by_value
      - .address_space:  global
        .offset:         56
        .size:           8
        .value_kind:     global_buffer
      - .offset:         64
        .size:           4
        .value_kind:     hidden_block_count_x
      - .offset:         68
        .size:           4
        .value_kind:     hidden_block_count_y
      - .offset:         72
        .size:           4
        .value_kind:     hidden_block_count_z
      - .offset:         76
        .size:           2
        .value_kind:     hidden_group_size_x
      - .offset:         78
        .size:           2
        .value_kind:     hidden_group_size_y
      - .offset:         80
        .size:           2
        .value_kind:     hidden_group_size_z
      - .offset:         82
        .size:           2
        .value_kind:     hidden_remainder_x
      - .offset:         84
        .size:           2
        .value_kind:     hidden_remainder_y
      - .offset:         86
        .size:           2
        .value_kind:     hidden_remainder_z
      - .offset:         104
        .size:           8
        .value_kind:     hidden_global_offset_x
      - .offset:         112
        .size:           8
        .value_kind:     hidden_global_offset_y
      - .offset:         120
        .size:           8
        .value_kind:     hidden_global_offset_z
      - .offset:         128
        .size:           2
        .value_kind:     hidden_grid_dims
    .group_segment_fixed_size: 0
    .kernarg_segment_align: 8
    .kernarg_segment_size: 320
    .language:       OpenCL C
    .language_version:
      - 2
      - 0
    .max_flat_workgroup_size: 256
    .name:           _ZN7rocprim17ROCPRIM_400000_NS6detail30init_device_scan_by_key_kernelINS1_19lookback_scan_stateINS0_5tupleIJibEEELb0ELb1EEEN6thrust23THRUST_200600_302600_NS16reverse_iteratorIPKiEEjNS1_16block_id_wrapperIjLb1EEEEEvT_jjPNSF_10value_typeET0_PNSt15iterator_traitsISI_E10value_typeEmT1_T2_
    .private_segment_fixed_size: 0
    .sgpr_count:     19
    .sgpr_spill_count: 0
    .symbol:         _ZN7rocprim17ROCPRIM_400000_NS6detail30init_device_scan_by_key_kernelINS1_19lookback_scan_stateINS0_5tupleIJibEEELb0ELb1EEEN6thrust23THRUST_200600_302600_NS16reverse_iteratorIPKiEEjNS1_16block_id_wrapperIjLb1EEEEEvT_jjPNSF_10value_typeET0_PNSt15iterator_traitsISI_E10value_typeEmT1_T2_.kd
    .uniform_work_group_size: 1
    .uses_dynamic_stack: false
    .vgpr_count:     10
    .vgpr_spill_count: 0
    .wavefront_size: 32
  - .args:
      - .offset:         0
        .size:           112
        .value_kind:     by_value
    .group_segment_fixed_size: 14336
    .kernarg_segment_align: 8
    .kernarg_segment_size: 112
    .language:       OpenCL C
    .language_version:
      - 2
      - 0
    .max_flat_workgroup_size: 256
    .name:           _ZN7rocprim17ROCPRIM_400000_NS6detail17trampoline_kernelINS0_14default_configENS1_27scan_by_key_config_selectorIiiEEZZNS1_16scan_by_key_implILNS1_25lookback_scan_determinismE0ELb0ES3_N6thrust23THRUST_200600_302600_NS16reverse_iteratorIPKiEESD_NSA_IPiEEiN6hipcub16HIPCUB_304000_NS3MaxENSH_8EqualityEiEE10hipError_tPvRmT2_T3_T4_T5_mT6_T7_P12ihipStream_tbENKUlT_T0_E_clISt17integral_constantIbLb0EESZ_IbLb1EEEEDaSV_SW_EUlSV_E_NS1_11comp_targetILNS1_3genE0ELNS1_11target_archE4294967295ELNS1_3gpuE0ELNS1_3repE0EEENS1_30default_config_static_selectorELNS0_4arch9wavefront6targetE0EEEvT1_
    .private_segment_fixed_size: 0
    .sgpr_count:     48
    .sgpr_spill_count: 0
    .symbol:         _ZN7rocprim17ROCPRIM_400000_NS6detail17trampoline_kernelINS0_14default_configENS1_27scan_by_key_config_selectorIiiEEZZNS1_16scan_by_key_implILNS1_25lookback_scan_determinismE0ELb0ES3_N6thrust23THRUST_200600_302600_NS16reverse_iteratorIPKiEESD_NSA_IPiEEiN6hipcub16HIPCUB_304000_NS3MaxENSH_8EqualityEiEE10hipError_tPvRmT2_T3_T4_T5_mT6_T7_P12ihipStream_tbENKUlT_T0_E_clISt17integral_constantIbLb0EESZ_IbLb1EEEEDaSV_SW_EUlSV_E_NS1_11comp_targetILNS1_3genE0ELNS1_11target_archE4294967295ELNS1_3gpuE0ELNS1_3repE0EEENS1_30default_config_static_selectorELNS0_4arch9wavefront6targetE0EEEvT1_.kd
    .uniform_work_group_size: 1
    .uses_dynamic_stack: false
    .vgpr_count:     60
    .vgpr_spill_count: 0
    .wavefront_size: 32
  - .args:
      - .offset:         0
        .size:           112
        .value_kind:     by_value
    .group_segment_fixed_size: 0
    .kernarg_segment_align: 8
    .kernarg_segment_size: 112
    .language:       OpenCL C
    .language_version:
      - 2
      - 0
    .max_flat_workgroup_size: 256
    .name:           _ZN7rocprim17ROCPRIM_400000_NS6detail17trampoline_kernelINS0_14default_configENS1_27scan_by_key_config_selectorIiiEEZZNS1_16scan_by_key_implILNS1_25lookback_scan_determinismE0ELb0ES3_N6thrust23THRUST_200600_302600_NS16reverse_iteratorIPKiEESD_NSA_IPiEEiN6hipcub16HIPCUB_304000_NS3MaxENSH_8EqualityEiEE10hipError_tPvRmT2_T3_T4_T5_mT6_T7_P12ihipStream_tbENKUlT_T0_E_clISt17integral_constantIbLb0EESZ_IbLb1EEEEDaSV_SW_EUlSV_E_NS1_11comp_targetILNS1_3genE10ELNS1_11target_archE1201ELNS1_3gpuE5ELNS1_3repE0EEENS1_30default_config_static_selectorELNS0_4arch9wavefront6targetE0EEEvT1_
    .private_segment_fixed_size: 0
    .sgpr_count:     0
    .sgpr_spill_count: 0
    .symbol:         _ZN7rocprim17ROCPRIM_400000_NS6detail17trampoline_kernelINS0_14default_configENS1_27scan_by_key_config_selectorIiiEEZZNS1_16scan_by_key_implILNS1_25lookback_scan_determinismE0ELb0ES3_N6thrust23THRUST_200600_302600_NS16reverse_iteratorIPKiEESD_NSA_IPiEEiN6hipcub16HIPCUB_304000_NS3MaxENSH_8EqualityEiEE10hipError_tPvRmT2_T3_T4_T5_mT6_T7_P12ihipStream_tbENKUlT_T0_E_clISt17integral_constantIbLb0EESZ_IbLb1EEEEDaSV_SW_EUlSV_E_NS1_11comp_targetILNS1_3genE10ELNS1_11target_archE1201ELNS1_3gpuE5ELNS1_3repE0EEENS1_30default_config_static_selectorELNS0_4arch9wavefront6targetE0EEEvT1_.kd
    .uniform_work_group_size: 1
    .uses_dynamic_stack: false
    .vgpr_count:     0
    .vgpr_spill_count: 0
    .wavefront_size: 32
  - .args:
      - .offset:         0
        .size:           112
        .value_kind:     by_value
    .group_segment_fixed_size: 0
    .kernarg_segment_align: 8
    .kernarg_segment_size: 112
    .language:       OpenCL C
    .language_version:
      - 2
      - 0
    .max_flat_workgroup_size: 256
    .name:           _ZN7rocprim17ROCPRIM_400000_NS6detail17trampoline_kernelINS0_14default_configENS1_27scan_by_key_config_selectorIiiEEZZNS1_16scan_by_key_implILNS1_25lookback_scan_determinismE0ELb0ES3_N6thrust23THRUST_200600_302600_NS16reverse_iteratorIPKiEESD_NSA_IPiEEiN6hipcub16HIPCUB_304000_NS3MaxENSH_8EqualityEiEE10hipError_tPvRmT2_T3_T4_T5_mT6_T7_P12ihipStream_tbENKUlT_T0_E_clISt17integral_constantIbLb0EESZ_IbLb1EEEEDaSV_SW_EUlSV_E_NS1_11comp_targetILNS1_3genE5ELNS1_11target_archE942ELNS1_3gpuE9ELNS1_3repE0EEENS1_30default_config_static_selectorELNS0_4arch9wavefront6targetE0EEEvT1_
    .private_segment_fixed_size: 0
    .sgpr_count:     0
    .sgpr_spill_count: 0
    .symbol:         _ZN7rocprim17ROCPRIM_400000_NS6detail17trampoline_kernelINS0_14default_configENS1_27scan_by_key_config_selectorIiiEEZZNS1_16scan_by_key_implILNS1_25lookback_scan_determinismE0ELb0ES3_N6thrust23THRUST_200600_302600_NS16reverse_iteratorIPKiEESD_NSA_IPiEEiN6hipcub16HIPCUB_304000_NS3MaxENSH_8EqualityEiEE10hipError_tPvRmT2_T3_T4_T5_mT6_T7_P12ihipStream_tbENKUlT_T0_E_clISt17integral_constantIbLb0EESZ_IbLb1EEEEDaSV_SW_EUlSV_E_NS1_11comp_targetILNS1_3genE5ELNS1_11target_archE942ELNS1_3gpuE9ELNS1_3repE0EEENS1_30default_config_static_selectorELNS0_4arch9wavefront6targetE0EEEvT1_.kd
    .uniform_work_group_size: 1
    .uses_dynamic_stack: false
    .vgpr_count:     0
    .vgpr_spill_count: 0
    .wavefront_size: 32
  - .args:
      - .offset:         0
        .size:           112
        .value_kind:     by_value
    .group_segment_fixed_size: 0
    .kernarg_segment_align: 8
    .kernarg_segment_size: 112
    .language:       OpenCL C
    .language_version:
      - 2
      - 0
    .max_flat_workgroup_size: 256
    .name:           _ZN7rocprim17ROCPRIM_400000_NS6detail17trampoline_kernelINS0_14default_configENS1_27scan_by_key_config_selectorIiiEEZZNS1_16scan_by_key_implILNS1_25lookback_scan_determinismE0ELb0ES3_N6thrust23THRUST_200600_302600_NS16reverse_iteratorIPKiEESD_NSA_IPiEEiN6hipcub16HIPCUB_304000_NS3MaxENSH_8EqualityEiEE10hipError_tPvRmT2_T3_T4_T5_mT6_T7_P12ihipStream_tbENKUlT_T0_E_clISt17integral_constantIbLb0EESZ_IbLb1EEEEDaSV_SW_EUlSV_E_NS1_11comp_targetILNS1_3genE4ELNS1_11target_archE910ELNS1_3gpuE8ELNS1_3repE0EEENS1_30default_config_static_selectorELNS0_4arch9wavefront6targetE0EEEvT1_
    .private_segment_fixed_size: 0
    .sgpr_count:     0
    .sgpr_spill_count: 0
    .symbol:         _ZN7rocprim17ROCPRIM_400000_NS6detail17trampoline_kernelINS0_14default_configENS1_27scan_by_key_config_selectorIiiEEZZNS1_16scan_by_key_implILNS1_25lookback_scan_determinismE0ELb0ES3_N6thrust23THRUST_200600_302600_NS16reverse_iteratorIPKiEESD_NSA_IPiEEiN6hipcub16HIPCUB_304000_NS3MaxENSH_8EqualityEiEE10hipError_tPvRmT2_T3_T4_T5_mT6_T7_P12ihipStream_tbENKUlT_T0_E_clISt17integral_constantIbLb0EESZ_IbLb1EEEEDaSV_SW_EUlSV_E_NS1_11comp_targetILNS1_3genE4ELNS1_11target_archE910ELNS1_3gpuE8ELNS1_3repE0EEENS1_30default_config_static_selectorELNS0_4arch9wavefront6targetE0EEEvT1_.kd
    .uniform_work_group_size: 1
    .uses_dynamic_stack: false
    .vgpr_count:     0
    .vgpr_spill_count: 0
    .wavefront_size: 32
  - .args:
      - .offset:         0
        .size:           112
        .value_kind:     by_value
    .group_segment_fixed_size: 0
    .kernarg_segment_align: 8
    .kernarg_segment_size: 112
    .language:       OpenCL C
    .language_version:
      - 2
      - 0
    .max_flat_workgroup_size: 256
    .name:           _ZN7rocprim17ROCPRIM_400000_NS6detail17trampoline_kernelINS0_14default_configENS1_27scan_by_key_config_selectorIiiEEZZNS1_16scan_by_key_implILNS1_25lookback_scan_determinismE0ELb0ES3_N6thrust23THRUST_200600_302600_NS16reverse_iteratorIPKiEESD_NSA_IPiEEiN6hipcub16HIPCUB_304000_NS3MaxENSH_8EqualityEiEE10hipError_tPvRmT2_T3_T4_T5_mT6_T7_P12ihipStream_tbENKUlT_T0_E_clISt17integral_constantIbLb0EESZ_IbLb1EEEEDaSV_SW_EUlSV_E_NS1_11comp_targetILNS1_3genE3ELNS1_11target_archE908ELNS1_3gpuE7ELNS1_3repE0EEENS1_30default_config_static_selectorELNS0_4arch9wavefront6targetE0EEEvT1_
    .private_segment_fixed_size: 0
    .sgpr_count:     0
    .sgpr_spill_count: 0
    .symbol:         _ZN7rocprim17ROCPRIM_400000_NS6detail17trampoline_kernelINS0_14default_configENS1_27scan_by_key_config_selectorIiiEEZZNS1_16scan_by_key_implILNS1_25lookback_scan_determinismE0ELb0ES3_N6thrust23THRUST_200600_302600_NS16reverse_iteratorIPKiEESD_NSA_IPiEEiN6hipcub16HIPCUB_304000_NS3MaxENSH_8EqualityEiEE10hipError_tPvRmT2_T3_T4_T5_mT6_T7_P12ihipStream_tbENKUlT_T0_E_clISt17integral_constantIbLb0EESZ_IbLb1EEEEDaSV_SW_EUlSV_E_NS1_11comp_targetILNS1_3genE3ELNS1_11target_archE908ELNS1_3gpuE7ELNS1_3repE0EEENS1_30default_config_static_selectorELNS0_4arch9wavefront6targetE0EEEvT1_.kd
    .uniform_work_group_size: 1
    .uses_dynamic_stack: false
    .vgpr_count:     0
    .vgpr_spill_count: 0
    .wavefront_size: 32
  - .args:
      - .offset:         0
        .size:           112
        .value_kind:     by_value
    .group_segment_fixed_size: 0
    .kernarg_segment_align: 8
    .kernarg_segment_size: 112
    .language:       OpenCL C
    .language_version:
      - 2
      - 0
    .max_flat_workgroup_size: 256
    .name:           _ZN7rocprim17ROCPRIM_400000_NS6detail17trampoline_kernelINS0_14default_configENS1_27scan_by_key_config_selectorIiiEEZZNS1_16scan_by_key_implILNS1_25lookback_scan_determinismE0ELb0ES3_N6thrust23THRUST_200600_302600_NS16reverse_iteratorIPKiEESD_NSA_IPiEEiN6hipcub16HIPCUB_304000_NS3MaxENSH_8EqualityEiEE10hipError_tPvRmT2_T3_T4_T5_mT6_T7_P12ihipStream_tbENKUlT_T0_E_clISt17integral_constantIbLb0EESZ_IbLb1EEEEDaSV_SW_EUlSV_E_NS1_11comp_targetILNS1_3genE2ELNS1_11target_archE906ELNS1_3gpuE6ELNS1_3repE0EEENS1_30default_config_static_selectorELNS0_4arch9wavefront6targetE0EEEvT1_
    .private_segment_fixed_size: 0
    .sgpr_count:     0
    .sgpr_spill_count: 0
    .symbol:         _ZN7rocprim17ROCPRIM_400000_NS6detail17trampoline_kernelINS0_14default_configENS1_27scan_by_key_config_selectorIiiEEZZNS1_16scan_by_key_implILNS1_25lookback_scan_determinismE0ELb0ES3_N6thrust23THRUST_200600_302600_NS16reverse_iteratorIPKiEESD_NSA_IPiEEiN6hipcub16HIPCUB_304000_NS3MaxENSH_8EqualityEiEE10hipError_tPvRmT2_T3_T4_T5_mT6_T7_P12ihipStream_tbENKUlT_T0_E_clISt17integral_constantIbLb0EESZ_IbLb1EEEEDaSV_SW_EUlSV_E_NS1_11comp_targetILNS1_3genE2ELNS1_11target_archE906ELNS1_3gpuE6ELNS1_3repE0EEENS1_30default_config_static_selectorELNS0_4arch9wavefront6targetE0EEEvT1_.kd
    .uniform_work_group_size: 1
    .uses_dynamic_stack: false
    .vgpr_count:     0
    .vgpr_spill_count: 0
    .wavefront_size: 32
  - .args:
      - .offset:         0
        .size:           112
        .value_kind:     by_value
    .group_segment_fixed_size: 0
    .kernarg_segment_align: 8
    .kernarg_segment_size: 112
    .language:       OpenCL C
    .language_version:
      - 2
      - 0
    .max_flat_workgroup_size: 256
    .name:           _ZN7rocprim17ROCPRIM_400000_NS6detail17trampoline_kernelINS0_14default_configENS1_27scan_by_key_config_selectorIiiEEZZNS1_16scan_by_key_implILNS1_25lookback_scan_determinismE0ELb0ES3_N6thrust23THRUST_200600_302600_NS16reverse_iteratorIPKiEESD_NSA_IPiEEiN6hipcub16HIPCUB_304000_NS3MaxENSH_8EqualityEiEE10hipError_tPvRmT2_T3_T4_T5_mT6_T7_P12ihipStream_tbENKUlT_T0_E_clISt17integral_constantIbLb0EESZ_IbLb1EEEEDaSV_SW_EUlSV_E_NS1_11comp_targetILNS1_3genE10ELNS1_11target_archE1200ELNS1_3gpuE4ELNS1_3repE0EEENS1_30default_config_static_selectorELNS0_4arch9wavefront6targetE0EEEvT1_
    .private_segment_fixed_size: 0
    .sgpr_count:     0
    .sgpr_spill_count: 0
    .symbol:         _ZN7rocprim17ROCPRIM_400000_NS6detail17trampoline_kernelINS0_14default_configENS1_27scan_by_key_config_selectorIiiEEZZNS1_16scan_by_key_implILNS1_25lookback_scan_determinismE0ELb0ES3_N6thrust23THRUST_200600_302600_NS16reverse_iteratorIPKiEESD_NSA_IPiEEiN6hipcub16HIPCUB_304000_NS3MaxENSH_8EqualityEiEE10hipError_tPvRmT2_T3_T4_T5_mT6_T7_P12ihipStream_tbENKUlT_T0_E_clISt17integral_constantIbLb0EESZ_IbLb1EEEEDaSV_SW_EUlSV_E_NS1_11comp_targetILNS1_3genE10ELNS1_11target_archE1200ELNS1_3gpuE4ELNS1_3repE0EEENS1_30default_config_static_selectorELNS0_4arch9wavefront6targetE0EEEvT1_.kd
    .uniform_work_group_size: 1
    .uses_dynamic_stack: false
    .vgpr_count:     0
    .vgpr_spill_count: 0
    .wavefront_size: 32
  - .args:
      - .offset:         0
        .size:           112
        .value_kind:     by_value
    .group_segment_fixed_size: 0
    .kernarg_segment_align: 8
    .kernarg_segment_size: 112
    .language:       OpenCL C
    .language_version:
      - 2
      - 0
    .max_flat_workgroup_size: 256
    .name:           _ZN7rocprim17ROCPRIM_400000_NS6detail17trampoline_kernelINS0_14default_configENS1_27scan_by_key_config_selectorIiiEEZZNS1_16scan_by_key_implILNS1_25lookback_scan_determinismE0ELb0ES3_N6thrust23THRUST_200600_302600_NS16reverse_iteratorIPKiEESD_NSA_IPiEEiN6hipcub16HIPCUB_304000_NS3MaxENSH_8EqualityEiEE10hipError_tPvRmT2_T3_T4_T5_mT6_T7_P12ihipStream_tbENKUlT_T0_E_clISt17integral_constantIbLb0EESZ_IbLb1EEEEDaSV_SW_EUlSV_E_NS1_11comp_targetILNS1_3genE9ELNS1_11target_archE1100ELNS1_3gpuE3ELNS1_3repE0EEENS1_30default_config_static_selectorELNS0_4arch9wavefront6targetE0EEEvT1_
    .private_segment_fixed_size: 0
    .sgpr_count:     0
    .sgpr_spill_count: 0
    .symbol:         _ZN7rocprim17ROCPRIM_400000_NS6detail17trampoline_kernelINS0_14default_configENS1_27scan_by_key_config_selectorIiiEEZZNS1_16scan_by_key_implILNS1_25lookback_scan_determinismE0ELb0ES3_N6thrust23THRUST_200600_302600_NS16reverse_iteratorIPKiEESD_NSA_IPiEEiN6hipcub16HIPCUB_304000_NS3MaxENSH_8EqualityEiEE10hipError_tPvRmT2_T3_T4_T5_mT6_T7_P12ihipStream_tbENKUlT_T0_E_clISt17integral_constantIbLb0EESZ_IbLb1EEEEDaSV_SW_EUlSV_E_NS1_11comp_targetILNS1_3genE9ELNS1_11target_archE1100ELNS1_3gpuE3ELNS1_3repE0EEENS1_30default_config_static_selectorELNS0_4arch9wavefront6targetE0EEEvT1_.kd
    .uniform_work_group_size: 1
    .uses_dynamic_stack: false
    .vgpr_count:     0
    .vgpr_spill_count: 0
    .wavefront_size: 32
  - .args:
      - .offset:         0
        .size:           112
        .value_kind:     by_value
    .group_segment_fixed_size: 0
    .kernarg_segment_align: 8
    .kernarg_segment_size: 112
    .language:       OpenCL C
    .language_version:
      - 2
      - 0
    .max_flat_workgroup_size: 256
    .name:           _ZN7rocprim17ROCPRIM_400000_NS6detail17trampoline_kernelINS0_14default_configENS1_27scan_by_key_config_selectorIiiEEZZNS1_16scan_by_key_implILNS1_25lookback_scan_determinismE0ELb0ES3_N6thrust23THRUST_200600_302600_NS16reverse_iteratorIPKiEESD_NSA_IPiEEiN6hipcub16HIPCUB_304000_NS3MaxENSH_8EqualityEiEE10hipError_tPvRmT2_T3_T4_T5_mT6_T7_P12ihipStream_tbENKUlT_T0_E_clISt17integral_constantIbLb0EESZ_IbLb1EEEEDaSV_SW_EUlSV_E_NS1_11comp_targetILNS1_3genE8ELNS1_11target_archE1030ELNS1_3gpuE2ELNS1_3repE0EEENS1_30default_config_static_selectorELNS0_4arch9wavefront6targetE0EEEvT1_
    .private_segment_fixed_size: 0
    .sgpr_count:     0
    .sgpr_spill_count: 0
    .symbol:         _ZN7rocprim17ROCPRIM_400000_NS6detail17trampoline_kernelINS0_14default_configENS1_27scan_by_key_config_selectorIiiEEZZNS1_16scan_by_key_implILNS1_25lookback_scan_determinismE0ELb0ES3_N6thrust23THRUST_200600_302600_NS16reverse_iteratorIPKiEESD_NSA_IPiEEiN6hipcub16HIPCUB_304000_NS3MaxENSH_8EqualityEiEE10hipError_tPvRmT2_T3_T4_T5_mT6_T7_P12ihipStream_tbENKUlT_T0_E_clISt17integral_constantIbLb0EESZ_IbLb1EEEEDaSV_SW_EUlSV_E_NS1_11comp_targetILNS1_3genE8ELNS1_11target_archE1030ELNS1_3gpuE2ELNS1_3repE0EEENS1_30default_config_static_selectorELNS0_4arch9wavefront6targetE0EEEvT1_.kd
    .uniform_work_group_size: 1
    .uses_dynamic_stack: false
    .vgpr_count:     0
    .vgpr_spill_count: 0
    .wavefront_size: 32
  - .args:
      - .offset:         0
        .size:           24
        .value_kind:     by_value
      - .offset:         24
        .size:           4
        .value_kind:     by_value
      - .offset:         28
        .size:           4
        .value_kind:     by_value
      - .address_space:  global
        .offset:         32
        .size:           8
        .value_kind:     global_buffer
      - .address_space:  global
        .offset:         40
        .size:           8
        .value_kind:     global_buffer
      - .actual_access:  write_only
        .address_space:  global
        .offset:         48
        .size:           8
        .value_kind:     global_buffer
      - .offset:         56
        .size:           8
        .value_kind:     by_value
      - .offset:         64
        .size:           4
        .value_kind:     by_value
      - .offset:         68
        .size:           1
        .value_kind:     by_value
      - .offset:         72
        .size:           4
        .value_kind:     hidden_block_count_x
      - .offset:         76
        .size:           4
        .value_kind:     hidden_block_count_y
      - .offset:         80
        .size:           4
        .value_kind:     hidden_block_count_z
      - .offset:         84
        .size:           2
        .value_kind:     hidden_group_size_x
      - .offset:         86
        .size:           2
        .value_kind:     hidden_group_size_y
      - .offset:         88
        .size:           2
        .value_kind:     hidden_group_size_z
      - .offset:         90
        .size:           2
        .value_kind:     hidden_remainder_x
      - .offset:         92
        .size:           2
        .value_kind:     hidden_remainder_y
      - .offset:         94
        .size:           2
        .value_kind:     hidden_remainder_z
      - .offset:         112
        .size:           8
        .value_kind:     hidden_global_offset_x
      - .offset:         120
        .size:           8
        .value_kind:     hidden_global_offset_y
      - .offset:         128
        .size:           8
        .value_kind:     hidden_global_offset_z
      - .offset:         136
        .size:           2
        .value_kind:     hidden_grid_dims
    .group_segment_fixed_size: 0
    .kernarg_segment_align: 8
    .kernarg_segment_size: 328
    .language:       OpenCL C
    .language_version:
      - 2
      - 0
    .max_flat_workgroup_size: 256
    .name:           _ZN7rocprim17ROCPRIM_400000_NS6detail30init_device_scan_by_key_kernelINS1_19lookback_scan_stateINS0_5tupleIJlbEEELb0ELb0EEEPKljNS1_16block_id_wrapperIjLb0EEEEEvT_jjPNSB_10value_typeET0_PNSt15iterator_traitsISE_E10value_typeEmT1_T2_
    .private_segment_fixed_size: 0
    .sgpr_count:     23
    .sgpr_spill_count: 0
    .symbol:         _ZN7rocprim17ROCPRIM_400000_NS6detail30init_device_scan_by_key_kernelINS1_19lookback_scan_stateINS0_5tupleIJlbEEELb0ELb0EEEPKljNS1_16block_id_wrapperIjLb0EEEEEvT_jjPNSB_10value_typeET0_PNSt15iterator_traitsISE_E10value_typeEmT1_T2_.kd
    .uniform_work_group_size: 1
    .uses_dynamic_stack: false
    .vgpr_count:     8
    .vgpr_spill_count: 0
    .wavefront_size: 32
  - .args:
      - .offset:         0
        .size:           24
        .value_kind:     by_value
      - .offset:         24
        .size:           4
        .value_kind:     by_value
      - .offset:         28
        .size:           4
        .value_kind:     by_value
      - .address_space:  global
        .offset:         32
        .size:           8
        .value_kind:     global_buffer
      - .offset:         40
        .size:           1
        .value_kind:     by_value
      - .offset:         48
        .size:           4
        .value_kind:     hidden_block_count_x
      - .offset:         52
        .size:           4
        .value_kind:     hidden_block_count_y
      - .offset:         56
        .size:           4
        .value_kind:     hidden_block_count_z
      - .offset:         60
        .size:           2
        .value_kind:     hidden_group_size_x
      - .offset:         62
        .size:           2
        .value_kind:     hidden_group_size_y
      - .offset:         64
        .size:           2
        .value_kind:     hidden_group_size_z
      - .offset:         66
        .size:           2
        .value_kind:     hidden_remainder_x
      - .offset:         68
        .size:           2
        .value_kind:     hidden_remainder_y
      - .offset:         70
        .size:           2
        .value_kind:     hidden_remainder_z
      - .offset:         88
        .size:           8
        .value_kind:     hidden_global_offset_x
      - .offset:         96
        .size:           8
        .value_kind:     hidden_global_offset_y
      - .offset:         104
        .size:           8
        .value_kind:     hidden_global_offset_z
      - .offset:         112
        .size:           2
        .value_kind:     hidden_grid_dims
    .group_segment_fixed_size: 0
    .kernarg_segment_align: 8
    .kernarg_segment_size: 304
    .language:       OpenCL C
    .language_version:
      - 2
      - 0
    .max_flat_workgroup_size: 256
    .name:           _ZN7rocprim17ROCPRIM_400000_NS6detail30init_device_scan_by_key_kernelINS1_19lookback_scan_stateINS0_5tupleIJlbEEELb0ELb0EEENS1_16block_id_wrapperIjLb0EEEEEvT_jjPNS9_10value_typeET0_
    .private_segment_fixed_size: 0
    .sgpr_count:     17
    .sgpr_spill_count: 0
    .symbol:         _ZN7rocprim17ROCPRIM_400000_NS6detail30init_device_scan_by_key_kernelINS1_19lookback_scan_stateINS0_5tupleIJlbEEELb0ELb0EEENS1_16block_id_wrapperIjLb0EEEEEvT_jjPNS9_10value_typeET0_.kd
    .uniform_work_group_size: 1
    .uses_dynamic_stack: false
    .vgpr_count:     5
    .vgpr_spill_count: 0
    .wavefront_size: 32
  - .args:
      - .offset:         0
        .size:           144
        .value_kind:     by_value
    .group_segment_fixed_size: 32768
    .kernarg_segment_align: 8
    .kernarg_segment_size: 144
    .language:       OpenCL C
    .language_version:
      - 2
      - 0
    .max_flat_workgroup_size: 256
    .name:           _ZN7rocprim17ROCPRIM_400000_NS6detail17trampoline_kernelINS0_14default_configENS1_27scan_by_key_config_selectorIllEEZZNS1_16scan_by_key_implILNS1_25lookback_scan_determinismE0ELb0ES3_PKlN6hipcub16HIPCUB_304000_NS21ConstantInputIteratorIllEEPllNSB_3SumENSB_8EqualityElEE10hipError_tPvRmT2_T3_T4_T5_mT6_T7_P12ihipStream_tbENKUlT_T0_E_clISt17integral_constantIbLb0EESX_EEDaSS_ST_EUlSS_E_NS1_11comp_targetILNS1_3genE0ELNS1_11target_archE4294967295ELNS1_3gpuE0ELNS1_3repE0EEENS1_30default_config_static_selectorELNS0_4arch9wavefront6targetE0EEEvT1_
    .private_segment_fixed_size: 0
    .sgpr_count:     49
    .sgpr_spill_count: 0
    .symbol:         _ZN7rocprim17ROCPRIM_400000_NS6detail17trampoline_kernelINS0_14default_configENS1_27scan_by_key_config_selectorIllEEZZNS1_16scan_by_key_implILNS1_25lookback_scan_determinismE0ELb0ES3_PKlN6hipcub16HIPCUB_304000_NS21ConstantInputIteratorIllEEPllNSB_3SumENSB_8EqualityElEE10hipError_tPvRmT2_T3_T4_T5_mT6_T7_P12ihipStream_tbENKUlT_T0_E_clISt17integral_constantIbLb0EESX_EEDaSS_ST_EUlSS_E_NS1_11comp_targetILNS1_3genE0ELNS1_11target_archE4294967295ELNS1_3gpuE0ELNS1_3repE0EEENS1_30default_config_static_selectorELNS0_4arch9wavefront6targetE0EEEvT1_.kd
    .uniform_work_group_size: 1
    .uses_dynamic_stack: false
    .vgpr_count:     110
    .vgpr_spill_count: 0
    .wavefront_size: 32
  - .args:
      - .offset:         0
        .size:           144
        .value_kind:     by_value
    .group_segment_fixed_size: 0
    .kernarg_segment_align: 8
    .kernarg_segment_size: 144
    .language:       OpenCL C
    .language_version:
      - 2
      - 0
    .max_flat_workgroup_size: 256
    .name:           _ZN7rocprim17ROCPRIM_400000_NS6detail17trampoline_kernelINS0_14default_configENS1_27scan_by_key_config_selectorIllEEZZNS1_16scan_by_key_implILNS1_25lookback_scan_determinismE0ELb0ES3_PKlN6hipcub16HIPCUB_304000_NS21ConstantInputIteratorIllEEPllNSB_3SumENSB_8EqualityElEE10hipError_tPvRmT2_T3_T4_T5_mT6_T7_P12ihipStream_tbENKUlT_T0_E_clISt17integral_constantIbLb0EESX_EEDaSS_ST_EUlSS_E_NS1_11comp_targetILNS1_3genE10ELNS1_11target_archE1201ELNS1_3gpuE5ELNS1_3repE0EEENS1_30default_config_static_selectorELNS0_4arch9wavefront6targetE0EEEvT1_
    .private_segment_fixed_size: 0
    .sgpr_count:     0
    .sgpr_spill_count: 0
    .symbol:         _ZN7rocprim17ROCPRIM_400000_NS6detail17trampoline_kernelINS0_14default_configENS1_27scan_by_key_config_selectorIllEEZZNS1_16scan_by_key_implILNS1_25lookback_scan_determinismE0ELb0ES3_PKlN6hipcub16HIPCUB_304000_NS21ConstantInputIteratorIllEEPllNSB_3SumENSB_8EqualityElEE10hipError_tPvRmT2_T3_T4_T5_mT6_T7_P12ihipStream_tbENKUlT_T0_E_clISt17integral_constantIbLb0EESX_EEDaSS_ST_EUlSS_E_NS1_11comp_targetILNS1_3genE10ELNS1_11target_archE1201ELNS1_3gpuE5ELNS1_3repE0EEENS1_30default_config_static_selectorELNS0_4arch9wavefront6targetE0EEEvT1_.kd
    .uniform_work_group_size: 1
    .uses_dynamic_stack: false
    .vgpr_count:     0
    .vgpr_spill_count: 0
    .wavefront_size: 32
  - .args:
      - .offset:         0
        .size:           144
        .value_kind:     by_value
    .group_segment_fixed_size: 0
    .kernarg_segment_align: 8
    .kernarg_segment_size: 144
    .language:       OpenCL C
    .language_version:
      - 2
      - 0
    .max_flat_workgroup_size: 256
    .name:           _ZN7rocprim17ROCPRIM_400000_NS6detail17trampoline_kernelINS0_14default_configENS1_27scan_by_key_config_selectorIllEEZZNS1_16scan_by_key_implILNS1_25lookback_scan_determinismE0ELb0ES3_PKlN6hipcub16HIPCUB_304000_NS21ConstantInputIteratorIllEEPllNSB_3SumENSB_8EqualityElEE10hipError_tPvRmT2_T3_T4_T5_mT6_T7_P12ihipStream_tbENKUlT_T0_E_clISt17integral_constantIbLb0EESX_EEDaSS_ST_EUlSS_E_NS1_11comp_targetILNS1_3genE5ELNS1_11target_archE942ELNS1_3gpuE9ELNS1_3repE0EEENS1_30default_config_static_selectorELNS0_4arch9wavefront6targetE0EEEvT1_
    .private_segment_fixed_size: 0
    .sgpr_count:     0
    .sgpr_spill_count: 0
    .symbol:         _ZN7rocprim17ROCPRIM_400000_NS6detail17trampoline_kernelINS0_14default_configENS1_27scan_by_key_config_selectorIllEEZZNS1_16scan_by_key_implILNS1_25lookback_scan_determinismE0ELb0ES3_PKlN6hipcub16HIPCUB_304000_NS21ConstantInputIteratorIllEEPllNSB_3SumENSB_8EqualityElEE10hipError_tPvRmT2_T3_T4_T5_mT6_T7_P12ihipStream_tbENKUlT_T0_E_clISt17integral_constantIbLb0EESX_EEDaSS_ST_EUlSS_E_NS1_11comp_targetILNS1_3genE5ELNS1_11target_archE942ELNS1_3gpuE9ELNS1_3repE0EEENS1_30default_config_static_selectorELNS0_4arch9wavefront6targetE0EEEvT1_.kd
    .uniform_work_group_size: 1
    .uses_dynamic_stack: false
    .vgpr_count:     0
    .vgpr_spill_count: 0
    .wavefront_size: 32
  - .args:
      - .offset:         0
        .size:           144
        .value_kind:     by_value
    .group_segment_fixed_size: 0
    .kernarg_segment_align: 8
    .kernarg_segment_size: 144
    .language:       OpenCL C
    .language_version:
      - 2
      - 0
    .max_flat_workgroup_size: 64
    .name:           _ZN7rocprim17ROCPRIM_400000_NS6detail17trampoline_kernelINS0_14default_configENS1_27scan_by_key_config_selectorIllEEZZNS1_16scan_by_key_implILNS1_25lookback_scan_determinismE0ELb0ES3_PKlN6hipcub16HIPCUB_304000_NS21ConstantInputIteratorIllEEPllNSB_3SumENSB_8EqualityElEE10hipError_tPvRmT2_T3_T4_T5_mT6_T7_P12ihipStream_tbENKUlT_T0_E_clISt17integral_constantIbLb0EESX_EEDaSS_ST_EUlSS_E_NS1_11comp_targetILNS1_3genE4ELNS1_11target_archE910ELNS1_3gpuE8ELNS1_3repE0EEENS1_30default_config_static_selectorELNS0_4arch9wavefront6targetE0EEEvT1_
    .private_segment_fixed_size: 0
    .sgpr_count:     0
    .sgpr_spill_count: 0
    .symbol:         _ZN7rocprim17ROCPRIM_400000_NS6detail17trampoline_kernelINS0_14default_configENS1_27scan_by_key_config_selectorIllEEZZNS1_16scan_by_key_implILNS1_25lookback_scan_determinismE0ELb0ES3_PKlN6hipcub16HIPCUB_304000_NS21ConstantInputIteratorIllEEPllNSB_3SumENSB_8EqualityElEE10hipError_tPvRmT2_T3_T4_T5_mT6_T7_P12ihipStream_tbENKUlT_T0_E_clISt17integral_constantIbLb0EESX_EEDaSS_ST_EUlSS_E_NS1_11comp_targetILNS1_3genE4ELNS1_11target_archE910ELNS1_3gpuE8ELNS1_3repE0EEENS1_30default_config_static_selectorELNS0_4arch9wavefront6targetE0EEEvT1_.kd
    .uniform_work_group_size: 1
    .uses_dynamic_stack: false
    .vgpr_count:     0
    .vgpr_spill_count: 0
    .wavefront_size: 32
  - .args:
      - .offset:         0
        .size:           144
        .value_kind:     by_value
    .group_segment_fixed_size: 0
    .kernarg_segment_align: 8
    .kernarg_segment_size: 144
    .language:       OpenCL C
    .language_version:
      - 2
      - 0
    .max_flat_workgroup_size: 256
    .name:           _ZN7rocprim17ROCPRIM_400000_NS6detail17trampoline_kernelINS0_14default_configENS1_27scan_by_key_config_selectorIllEEZZNS1_16scan_by_key_implILNS1_25lookback_scan_determinismE0ELb0ES3_PKlN6hipcub16HIPCUB_304000_NS21ConstantInputIteratorIllEEPllNSB_3SumENSB_8EqualityElEE10hipError_tPvRmT2_T3_T4_T5_mT6_T7_P12ihipStream_tbENKUlT_T0_E_clISt17integral_constantIbLb0EESX_EEDaSS_ST_EUlSS_E_NS1_11comp_targetILNS1_3genE3ELNS1_11target_archE908ELNS1_3gpuE7ELNS1_3repE0EEENS1_30default_config_static_selectorELNS0_4arch9wavefront6targetE0EEEvT1_
    .private_segment_fixed_size: 0
    .sgpr_count:     0
    .sgpr_spill_count: 0
    .symbol:         _ZN7rocprim17ROCPRIM_400000_NS6detail17trampoline_kernelINS0_14default_configENS1_27scan_by_key_config_selectorIllEEZZNS1_16scan_by_key_implILNS1_25lookback_scan_determinismE0ELb0ES3_PKlN6hipcub16HIPCUB_304000_NS21ConstantInputIteratorIllEEPllNSB_3SumENSB_8EqualityElEE10hipError_tPvRmT2_T3_T4_T5_mT6_T7_P12ihipStream_tbENKUlT_T0_E_clISt17integral_constantIbLb0EESX_EEDaSS_ST_EUlSS_E_NS1_11comp_targetILNS1_3genE3ELNS1_11target_archE908ELNS1_3gpuE7ELNS1_3repE0EEENS1_30default_config_static_selectorELNS0_4arch9wavefront6targetE0EEEvT1_.kd
    .uniform_work_group_size: 1
    .uses_dynamic_stack: false
    .vgpr_count:     0
    .vgpr_spill_count: 0
    .wavefront_size: 32
  - .args:
      - .offset:         0
        .size:           144
        .value_kind:     by_value
    .group_segment_fixed_size: 0
    .kernarg_segment_align: 8
    .kernarg_segment_size: 144
    .language:       OpenCL C
    .language_version:
      - 2
      - 0
    .max_flat_workgroup_size: 256
    .name:           _ZN7rocprim17ROCPRIM_400000_NS6detail17trampoline_kernelINS0_14default_configENS1_27scan_by_key_config_selectorIllEEZZNS1_16scan_by_key_implILNS1_25lookback_scan_determinismE0ELb0ES3_PKlN6hipcub16HIPCUB_304000_NS21ConstantInputIteratorIllEEPllNSB_3SumENSB_8EqualityElEE10hipError_tPvRmT2_T3_T4_T5_mT6_T7_P12ihipStream_tbENKUlT_T0_E_clISt17integral_constantIbLb0EESX_EEDaSS_ST_EUlSS_E_NS1_11comp_targetILNS1_3genE2ELNS1_11target_archE906ELNS1_3gpuE6ELNS1_3repE0EEENS1_30default_config_static_selectorELNS0_4arch9wavefront6targetE0EEEvT1_
    .private_segment_fixed_size: 0
    .sgpr_count:     0
    .sgpr_spill_count: 0
    .symbol:         _ZN7rocprim17ROCPRIM_400000_NS6detail17trampoline_kernelINS0_14default_configENS1_27scan_by_key_config_selectorIllEEZZNS1_16scan_by_key_implILNS1_25lookback_scan_determinismE0ELb0ES3_PKlN6hipcub16HIPCUB_304000_NS21ConstantInputIteratorIllEEPllNSB_3SumENSB_8EqualityElEE10hipError_tPvRmT2_T3_T4_T5_mT6_T7_P12ihipStream_tbENKUlT_T0_E_clISt17integral_constantIbLb0EESX_EEDaSS_ST_EUlSS_E_NS1_11comp_targetILNS1_3genE2ELNS1_11target_archE906ELNS1_3gpuE6ELNS1_3repE0EEENS1_30default_config_static_selectorELNS0_4arch9wavefront6targetE0EEEvT1_.kd
    .uniform_work_group_size: 1
    .uses_dynamic_stack: false
    .vgpr_count:     0
    .vgpr_spill_count: 0
    .wavefront_size: 32
  - .args:
      - .offset:         0
        .size:           144
        .value_kind:     by_value
    .group_segment_fixed_size: 0
    .kernarg_segment_align: 8
    .kernarg_segment_size: 144
    .language:       OpenCL C
    .language_version:
      - 2
      - 0
    .max_flat_workgroup_size: 256
    .name:           _ZN7rocprim17ROCPRIM_400000_NS6detail17trampoline_kernelINS0_14default_configENS1_27scan_by_key_config_selectorIllEEZZNS1_16scan_by_key_implILNS1_25lookback_scan_determinismE0ELb0ES3_PKlN6hipcub16HIPCUB_304000_NS21ConstantInputIteratorIllEEPllNSB_3SumENSB_8EqualityElEE10hipError_tPvRmT2_T3_T4_T5_mT6_T7_P12ihipStream_tbENKUlT_T0_E_clISt17integral_constantIbLb0EESX_EEDaSS_ST_EUlSS_E_NS1_11comp_targetILNS1_3genE10ELNS1_11target_archE1200ELNS1_3gpuE4ELNS1_3repE0EEENS1_30default_config_static_selectorELNS0_4arch9wavefront6targetE0EEEvT1_
    .private_segment_fixed_size: 0
    .sgpr_count:     0
    .sgpr_spill_count: 0
    .symbol:         _ZN7rocprim17ROCPRIM_400000_NS6detail17trampoline_kernelINS0_14default_configENS1_27scan_by_key_config_selectorIllEEZZNS1_16scan_by_key_implILNS1_25lookback_scan_determinismE0ELb0ES3_PKlN6hipcub16HIPCUB_304000_NS21ConstantInputIteratorIllEEPllNSB_3SumENSB_8EqualityElEE10hipError_tPvRmT2_T3_T4_T5_mT6_T7_P12ihipStream_tbENKUlT_T0_E_clISt17integral_constantIbLb0EESX_EEDaSS_ST_EUlSS_E_NS1_11comp_targetILNS1_3genE10ELNS1_11target_archE1200ELNS1_3gpuE4ELNS1_3repE0EEENS1_30default_config_static_selectorELNS0_4arch9wavefront6targetE0EEEvT1_.kd
    .uniform_work_group_size: 1
    .uses_dynamic_stack: false
    .vgpr_count:     0
    .vgpr_spill_count: 0
    .wavefront_size: 32
  - .args:
      - .offset:         0
        .size:           144
        .value_kind:     by_value
    .group_segment_fixed_size: 0
    .kernarg_segment_align: 8
    .kernarg_segment_size: 144
    .language:       OpenCL C
    .language_version:
      - 2
      - 0
    .max_flat_workgroup_size: 256
    .name:           _ZN7rocprim17ROCPRIM_400000_NS6detail17trampoline_kernelINS0_14default_configENS1_27scan_by_key_config_selectorIllEEZZNS1_16scan_by_key_implILNS1_25lookback_scan_determinismE0ELb0ES3_PKlN6hipcub16HIPCUB_304000_NS21ConstantInputIteratorIllEEPllNSB_3SumENSB_8EqualityElEE10hipError_tPvRmT2_T3_T4_T5_mT6_T7_P12ihipStream_tbENKUlT_T0_E_clISt17integral_constantIbLb0EESX_EEDaSS_ST_EUlSS_E_NS1_11comp_targetILNS1_3genE9ELNS1_11target_archE1100ELNS1_3gpuE3ELNS1_3repE0EEENS1_30default_config_static_selectorELNS0_4arch9wavefront6targetE0EEEvT1_
    .private_segment_fixed_size: 0
    .sgpr_count:     0
    .sgpr_spill_count: 0
    .symbol:         _ZN7rocprim17ROCPRIM_400000_NS6detail17trampoline_kernelINS0_14default_configENS1_27scan_by_key_config_selectorIllEEZZNS1_16scan_by_key_implILNS1_25lookback_scan_determinismE0ELb0ES3_PKlN6hipcub16HIPCUB_304000_NS21ConstantInputIteratorIllEEPllNSB_3SumENSB_8EqualityElEE10hipError_tPvRmT2_T3_T4_T5_mT6_T7_P12ihipStream_tbENKUlT_T0_E_clISt17integral_constantIbLb0EESX_EEDaSS_ST_EUlSS_E_NS1_11comp_targetILNS1_3genE9ELNS1_11target_archE1100ELNS1_3gpuE3ELNS1_3repE0EEENS1_30default_config_static_selectorELNS0_4arch9wavefront6targetE0EEEvT1_.kd
    .uniform_work_group_size: 1
    .uses_dynamic_stack: false
    .vgpr_count:     0
    .vgpr_spill_count: 0
    .wavefront_size: 32
  - .args:
      - .offset:         0
        .size:           144
        .value_kind:     by_value
    .group_segment_fixed_size: 0
    .kernarg_segment_align: 8
    .kernarg_segment_size: 144
    .language:       OpenCL C
    .language_version:
      - 2
      - 0
    .max_flat_workgroup_size: 256
    .name:           _ZN7rocprim17ROCPRIM_400000_NS6detail17trampoline_kernelINS0_14default_configENS1_27scan_by_key_config_selectorIllEEZZNS1_16scan_by_key_implILNS1_25lookback_scan_determinismE0ELb0ES3_PKlN6hipcub16HIPCUB_304000_NS21ConstantInputIteratorIllEEPllNSB_3SumENSB_8EqualityElEE10hipError_tPvRmT2_T3_T4_T5_mT6_T7_P12ihipStream_tbENKUlT_T0_E_clISt17integral_constantIbLb0EESX_EEDaSS_ST_EUlSS_E_NS1_11comp_targetILNS1_3genE8ELNS1_11target_archE1030ELNS1_3gpuE2ELNS1_3repE0EEENS1_30default_config_static_selectorELNS0_4arch9wavefront6targetE0EEEvT1_
    .private_segment_fixed_size: 0
    .sgpr_count:     0
    .sgpr_spill_count: 0
    .symbol:         _ZN7rocprim17ROCPRIM_400000_NS6detail17trampoline_kernelINS0_14default_configENS1_27scan_by_key_config_selectorIllEEZZNS1_16scan_by_key_implILNS1_25lookback_scan_determinismE0ELb0ES3_PKlN6hipcub16HIPCUB_304000_NS21ConstantInputIteratorIllEEPllNSB_3SumENSB_8EqualityElEE10hipError_tPvRmT2_T3_T4_T5_mT6_T7_P12ihipStream_tbENKUlT_T0_E_clISt17integral_constantIbLb0EESX_EEDaSS_ST_EUlSS_E_NS1_11comp_targetILNS1_3genE8ELNS1_11target_archE1030ELNS1_3gpuE2ELNS1_3repE0EEENS1_30default_config_static_selectorELNS0_4arch9wavefront6targetE0EEEvT1_.kd
    .uniform_work_group_size: 1
    .uses_dynamic_stack: false
    .vgpr_count:     0
    .vgpr_spill_count: 0
    .wavefront_size: 32
  - .args:
      - .offset:         0
        .size:           24
        .value_kind:     by_value
      - .offset:         24
        .size:           4
        .value_kind:     by_value
      - .offset:         28
        .size:           4
        .value_kind:     by_value
      - .address_space:  global
        .offset:         32
        .size:           8
        .value_kind:     global_buffer
      - .address_space:  global
        .offset:         40
        .size:           8
        .value_kind:     global_buffer
      - .actual_access:  write_only
        .address_space:  global
        .offset:         48
        .size:           8
        .value_kind:     global_buffer
      - .offset:         56
        .size:           8
        .value_kind:     by_value
      - .offset:         64
        .size:           4
        .value_kind:     by_value
      - .address_space:  global
        .offset:         72
        .size:           8
        .value_kind:     global_buffer
      - .offset:         80
        .size:           4
        .value_kind:     hidden_block_count_x
      - .offset:         84
        .size:           4
        .value_kind:     hidden_block_count_y
      - .offset:         88
        .size:           4
        .value_kind:     hidden_block_count_z
      - .offset:         92
        .size:           2
        .value_kind:     hidden_group_size_x
      - .offset:         94
        .size:           2
        .value_kind:     hidden_group_size_y
      - .offset:         96
        .size:           2
        .value_kind:     hidden_group_size_z
      - .offset:         98
        .size:           2
        .value_kind:     hidden_remainder_x
      - .offset:         100
        .size:           2
        .value_kind:     hidden_remainder_y
      - .offset:         102
        .size:           2
        .value_kind:     hidden_remainder_z
      - .offset:         120
        .size:           8
        .value_kind:     hidden_global_offset_x
      - .offset:         128
        .size:           8
        .value_kind:     hidden_global_offset_y
      - .offset:         136
        .size:           8
        .value_kind:     hidden_global_offset_z
      - .offset:         144
        .size:           2
        .value_kind:     hidden_grid_dims
    .group_segment_fixed_size: 0
    .kernarg_segment_align: 8
    .kernarg_segment_size: 336
    .language:       OpenCL C
    .language_version:
      - 2
      - 0
    .max_flat_workgroup_size: 256
    .name:           _ZN7rocprim17ROCPRIM_400000_NS6detail30init_device_scan_by_key_kernelINS1_19lookback_scan_stateINS0_5tupleIJlbEEELb1ELb0EEEPKljNS1_16block_id_wrapperIjLb1EEEEEvT_jjPNSB_10value_typeET0_PNSt15iterator_traitsISE_E10value_typeEmT1_T2_
    .private_segment_fixed_size: 0
    .sgpr_count:     24
    .sgpr_spill_count: 0
    .symbol:         _ZN7rocprim17ROCPRIM_400000_NS6detail30init_device_scan_by_key_kernelINS1_19lookback_scan_stateINS0_5tupleIJlbEEELb1ELb0EEEPKljNS1_16block_id_wrapperIjLb1EEEEEvT_jjPNSB_10value_typeET0_PNSt15iterator_traitsISE_E10value_typeEmT1_T2_.kd
    .uniform_work_group_size: 1
    .uses_dynamic_stack: false
    .vgpr_count:     8
    .vgpr_spill_count: 0
    .wavefront_size: 32
  - .args:
      - .offset:         0
        .size:           24
        .value_kind:     by_value
      - .offset:         24
        .size:           4
        .value_kind:     by_value
      - .offset:         28
        .size:           4
        .value_kind:     by_value
      - .address_space:  global
        .offset:         32
        .size:           8
        .value_kind:     global_buffer
      - .address_space:  global
        .offset:         40
        .size:           8
        .value_kind:     global_buffer
      - .offset:         48
        .size:           4
        .value_kind:     hidden_block_count_x
      - .offset:         52
        .size:           4
        .value_kind:     hidden_block_count_y
      - .offset:         56
        .size:           4
        .value_kind:     hidden_block_count_z
      - .offset:         60
        .size:           2
        .value_kind:     hidden_group_size_x
      - .offset:         62
        .size:           2
        .value_kind:     hidden_group_size_y
      - .offset:         64
        .size:           2
        .value_kind:     hidden_group_size_z
      - .offset:         66
        .size:           2
        .value_kind:     hidden_remainder_x
      - .offset:         68
        .size:           2
        .value_kind:     hidden_remainder_y
      - .offset:         70
        .size:           2
        .value_kind:     hidden_remainder_z
      - .offset:         88
        .size:           8
        .value_kind:     hidden_global_offset_x
      - .offset:         96
        .size:           8
        .value_kind:     hidden_global_offset_y
      - .offset:         104
        .size:           8
        .value_kind:     hidden_global_offset_z
      - .offset:         112
        .size:           2
        .value_kind:     hidden_grid_dims
    .group_segment_fixed_size: 0
    .kernarg_segment_align: 8
    .kernarg_segment_size: 304
    .language:       OpenCL C
    .language_version:
      - 2
      - 0
    .max_flat_workgroup_size: 256
    .name:           _ZN7rocprim17ROCPRIM_400000_NS6detail30init_device_scan_by_key_kernelINS1_19lookback_scan_stateINS0_5tupleIJlbEEELb1ELb0EEENS1_16block_id_wrapperIjLb1EEEEEvT_jjPNS9_10value_typeET0_
    .private_segment_fixed_size: 0
    .sgpr_count:     20
    .sgpr_spill_count: 0
    .symbol:         _ZN7rocprim17ROCPRIM_400000_NS6detail30init_device_scan_by_key_kernelINS1_19lookback_scan_stateINS0_5tupleIJlbEEELb1ELb0EEENS1_16block_id_wrapperIjLb1EEEEEvT_jjPNS9_10value_typeET0_.kd
    .uniform_work_group_size: 1
    .uses_dynamic_stack: false
    .vgpr_count:     5
    .vgpr_spill_count: 0
    .wavefront_size: 32
  - .args:
      - .offset:         0
        .size:           144
        .value_kind:     by_value
    .group_segment_fixed_size: 0
    .kernarg_segment_align: 8
    .kernarg_segment_size: 144
    .language:       OpenCL C
    .language_version:
      - 2
      - 0
    .max_flat_workgroup_size: 256
    .name:           _ZN7rocprim17ROCPRIM_400000_NS6detail17trampoline_kernelINS0_14default_configENS1_27scan_by_key_config_selectorIllEEZZNS1_16scan_by_key_implILNS1_25lookback_scan_determinismE0ELb0ES3_PKlN6hipcub16HIPCUB_304000_NS21ConstantInputIteratorIllEEPllNSB_3SumENSB_8EqualityElEE10hipError_tPvRmT2_T3_T4_T5_mT6_T7_P12ihipStream_tbENKUlT_T0_E_clISt17integral_constantIbLb1EESX_EEDaSS_ST_EUlSS_E_NS1_11comp_targetILNS1_3genE0ELNS1_11target_archE4294967295ELNS1_3gpuE0ELNS1_3repE0EEENS1_30default_config_static_selectorELNS0_4arch9wavefront6targetE0EEEvT1_
    .private_segment_fixed_size: 0
    .sgpr_count:     0
    .sgpr_spill_count: 0
    .symbol:         _ZN7rocprim17ROCPRIM_400000_NS6detail17trampoline_kernelINS0_14default_configENS1_27scan_by_key_config_selectorIllEEZZNS1_16scan_by_key_implILNS1_25lookback_scan_determinismE0ELb0ES3_PKlN6hipcub16HIPCUB_304000_NS21ConstantInputIteratorIllEEPllNSB_3SumENSB_8EqualityElEE10hipError_tPvRmT2_T3_T4_T5_mT6_T7_P12ihipStream_tbENKUlT_T0_E_clISt17integral_constantIbLb1EESX_EEDaSS_ST_EUlSS_E_NS1_11comp_targetILNS1_3genE0ELNS1_11target_archE4294967295ELNS1_3gpuE0ELNS1_3repE0EEENS1_30default_config_static_selectorELNS0_4arch9wavefront6targetE0EEEvT1_.kd
    .uniform_work_group_size: 1
    .uses_dynamic_stack: false
    .vgpr_count:     0
    .vgpr_spill_count: 0
    .wavefront_size: 32
  - .args:
      - .offset:         0
        .size:           144
        .value_kind:     by_value
    .group_segment_fixed_size: 0
    .kernarg_segment_align: 8
    .kernarg_segment_size: 144
    .language:       OpenCL C
    .language_version:
      - 2
      - 0
    .max_flat_workgroup_size: 256
    .name:           _ZN7rocprim17ROCPRIM_400000_NS6detail17trampoline_kernelINS0_14default_configENS1_27scan_by_key_config_selectorIllEEZZNS1_16scan_by_key_implILNS1_25lookback_scan_determinismE0ELb0ES3_PKlN6hipcub16HIPCUB_304000_NS21ConstantInputIteratorIllEEPllNSB_3SumENSB_8EqualityElEE10hipError_tPvRmT2_T3_T4_T5_mT6_T7_P12ihipStream_tbENKUlT_T0_E_clISt17integral_constantIbLb1EESX_EEDaSS_ST_EUlSS_E_NS1_11comp_targetILNS1_3genE10ELNS1_11target_archE1201ELNS1_3gpuE5ELNS1_3repE0EEENS1_30default_config_static_selectorELNS0_4arch9wavefront6targetE0EEEvT1_
    .private_segment_fixed_size: 0
    .sgpr_count:     0
    .sgpr_spill_count: 0
    .symbol:         _ZN7rocprim17ROCPRIM_400000_NS6detail17trampoline_kernelINS0_14default_configENS1_27scan_by_key_config_selectorIllEEZZNS1_16scan_by_key_implILNS1_25lookback_scan_determinismE0ELb0ES3_PKlN6hipcub16HIPCUB_304000_NS21ConstantInputIteratorIllEEPllNSB_3SumENSB_8EqualityElEE10hipError_tPvRmT2_T3_T4_T5_mT6_T7_P12ihipStream_tbENKUlT_T0_E_clISt17integral_constantIbLb1EESX_EEDaSS_ST_EUlSS_E_NS1_11comp_targetILNS1_3genE10ELNS1_11target_archE1201ELNS1_3gpuE5ELNS1_3repE0EEENS1_30default_config_static_selectorELNS0_4arch9wavefront6targetE0EEEvT1_.kd
    .uniform_work_group_size: 1
    .uses_dynamic_stack: false
    .vgpr_count:     0
    .vgpr_spill_count: 0
    .wavefront_size: 32
  - .args:
      - .offset:         0
        .size:           144
        .value_kind:     by_value
    .group_segment_fixed_size: 0
    .kernarg_segment_align: 8
    .kernarg_segment_size: 144
    .language:       OpenCL C
    .language_version:
      - 2
      - 0
    .max_flat_workgroup_size: 256
    .name:           _ZN7rocprim17ROCPRIM_400000_NS6detail17trampoline_kernelINS0_14default_configENS1_27scan_by_key_config_selectorIllEEZZNS1_16scan_by_key_implILNS1_25lookback_scan_determinismE0ELb0ES3_PKlN6hipcub16HIPCUB_304000_NS21ConstantInputIteratorIllEEPllNSB_3SumENSB_8EqualityElEE10hipError_tPvRmT2_T3_T4_T5_mT6_T7_P12ihipStream_tbENKUlT_T0_E_clISt17integral_constantIbLb1EESX_EEDaSS_ST_EUlSS_E_NS1_11comp_targetILNS1_3genE5ELNS1_11target_archE942ELNS1_3gpuE9ELNS1_3repE0EEENS1_30default_config_static_selectorELNS0_4arch9wavefront6targetE0EEEvT1_
    .private_segment_fixed_size: 0
    .sgpr_count:     0
    .sgpr_spill_count: 0
    .symbol:         _ZN7rocprim17ROCPRIM_400000_NS6detail17trampoline_kernelINS0_14default_configENS1_27scan_by_key_config_selectorIllEEZZNS1_16scan_by_key_implILNS1_25lookback_scan_determinismE0ELb0ES3_PKlN6hipcub16HIPCUB_304000_NS21ConstantInputIteratorIllEEPllNSB_3SumENSB_8EqualityElEE10hipError_tPvRmT2_T3_T4_T5_mT6_T7_P12ihipStream_tbENKUlT_T0_E_clISt17integral_constantIbLb1EESX_EEDaSS_ST_EUlSS_E_NS1_11comp_targetILNS1_3genE5ELNS1_11target_archE942ELNS1_3gpuE9ELNS1_3repE0EEENS1_30default_config_static_selectorELNS0_4arch9wavefront6targetE0EEEvT1_.kd
    .uniform_work_group_size: 1
    .uses_dynamic_stack: false
    .vgpr_count:     0
    .vgpr_spill_count: 0
    .wavefront_size: 32
  - .args:
      - .offset:         0
        .size:           144
        .value_kind:     by_value
    .group_segment_fixed_size: 0
    .kernarg_segment_align: 8
    .kernarg_segment_size: 144
    .language:       OpenCL C
    .language_version:
      - 2
      - 0
    .max_flat_workgroup_size: 64
    .name:           _ZN7rocprim17ROCPRIM_400000_NS6detail17trampoline_kernelINS0_14default_configENS1_27scan_by_key_config_selectorIllEEZZNS1_16scan_by_key_implILNS1_25lookback_scan_determinismE0ELb0ES3_PKlN6hipcub16HIPCUB_304000_NS21ConstantInputIteratorIllEEPllNSB_3SumENSB_8EqualityElEE10hipError_tPvRmT2_T3_T4_T5_mT6_T7_P12ihipStream_tbENKUlT_T0_E_clISt17integral_constantIbLb1EESX_EEDaSS_ST_EUlSS_E_NS1_11comp_targetILNS1_3genE4ELNS1_11target_archE910ELNS1_3gpuE8ELNS1_3repE0EEENS1_30default_config_static_selectorELNS0_4arch9wavefront6targetE0EEEvT1_
    .private_segment_fixed_size: 0
    .sgpr_count:     0
    .sgpr_spill_count: 0
    .symbol:         _ZN7rocprim17ROCPRIM_400000_NS6detail17trampoline_kernelINS0_14default_configENS1_27scan_by_key_config_selectorIllEEZZNS1_16scan_by_key_implILNS1_25lookback_scan_determinismE0ELb0ES3_PKlN6hipcub16HIPCUB_304000_NS21ConstantInputIteratorIllEEPllNSB_3SumENSB_8EqualityElEE10hipError_tPvRmT2_T3_T4_T5_mT6_T7_P12ihipStream_tbENKUlT_T0_E_clISt17integral_constantIbLb1EESX_EEDaSS_ST_EUlSS_E_NS1_11comp_targetILNS1_3genE4ELNS1_11target_archE910ELNS1_3gpuE8ELNS1_3repE0EEENS1_30default_config_static_selectorELNS0_4arch9wavefront6targetE0EEEvT1_.kd
    .uniform_work_group_size: 1
    .uses_dynamic_stack: false
    .vgpr_count:     0
    .vgpr_spill_count: 0
    .wavefront_size: 32
  - .args:
      - .offset:         0
        .size:           144
        .value_kind:     by_value
    .group_segment_fixed_size: 0
    .kernarg_segment_align: 8
    .kernarg_segment_size: 144
    .language:       OpenCL C
    .language_version:
      - 2
      - 0
    .max_flat_workgroup_size: 256
    .name:           _ZN7rocprim17ROCPRIM_400000_NS6detail17trampoline_kernelINS0_14default_configENS1_27scan_by_key_config_selectorIllEEZZNS1_16scan_by_key_implILNS1_25lookback_scan_determinismE0ELb0ES3_PKlN6hipcub16HIPCUB_304000_NS21ConstantInputIteratorIllEEPllNSB_3SumENSB_8EqualityElEE10hipError_tPvRmT2_T3_T4_T5_mT6_T7_P12ihipStream_tbENKUlT_T0_E_clISt17integral_constantIbLb1EESX_EEDaSS_ST_EUlSS_E_NS1_11comp_targetILNS1_3genE3ELNS1_11target_archE908ELNS1_3gpuE7ELNS1_3repE0EEENS1_30default_config_static_selectorELNS0_4arch9wavefront6targetE0EEEvT1_
    .private_segment_fixed_size: 0
    .sgpr_count:     0
    .sgpr_spill_count: 0
    .symbol:         _ZN7rocprim17ROCPRIM_400000_NS6detail17trampoline_kernelINS0_14default_configENS1_27scan_by_key_config_selectorIllEEZZNS1_16scan_by_key_implILNS1_25lookback_scan_determinismE0ELb0ES3_PKlN6hipcub16HIPCUB_304000_NS21ConstantInputIteratorIllEEPllNSB_3SumENSB_8EqualityElEE10hipError_tPvRmT2_T3_T4_T5_mT6_T7_P12ihipStream_tbENKUlT_T0_E_clISt17integral_constantIbLb1EESX_EEDaSS_ST_EUlSS_E_NS1_11comp_targetILNS1_3genE3ELNS1_11target_archE908ELNS1_3gpuE7ELNS1_3repE0EEENS1_30default_config_static_selectorELNS0_4arch9wavefront6targetE0EEEvT1_.kd
    .uniform_work_group_size: 1
    .uses_dynamic_stack: false
    .vgpr_count:     0
    .vgpr_spill_count: 0
    .wavefront_size: 32
  - .args:
      - .offset:         0
        .size:           144
        .value_kind:     by_value
    .group_segment_fixed_size: 0
    .kernarg_segment_align: 8
    .kernarg_segment_size: 144
    .language:       OpenCL C
    .language_version:
      - 2
      - 0
    .max_flat_workgroup_size: 256
    .name:           _ZN7rocprim17ROCPRIM_400000_NS6detail17trampoline_kernelINS0_14default_configENS1_27scan_by_key_config_selectorIllEEZZNS1_16scan_by_key_implILNS1_25lookback_scan_determinismE0ELb0ES3_PKlN6hipcub16HIPCUB_304000_NS21ConstantInputIteratorIllEEPllNSB_3SumENSB_8EqualityElEE10hipError_tPvRmT2_T3_T4_T5_mT6_T7_P12ihipStream_tbENKUlT_T0_E_clISt17integral_constantIbLb1EESX_EEDaSS_ST_EUlSS_E_NS1_11comp_targetILNS1_3genE2ELNS1_11target_archE906ELNS1_3gpuE6ELNS1_3repE0EEENS1_30default_config_static_selectorELNS0_4arch9wavefront6targetE0EEEvT1_
    .private_segment_fixed_size: 0
    .sgpr_count:     0
    .sgpr_spill_count: 0
    .symbol:         _ZN7rocprim17ROCPRIM_400000_NS6detail17trampoline_kernelINS0_14default_configENS1_27scan_by_key_config_selectorIllEEZZNS1_16scan_by_key_implILNS1_25lookback_scan_determinismE0ELb0ES3_PKlN6hipcub16HIPCUB_304000_NS21ConstantInputIteratorIllEEPllNSB_3SumENSB_8EqualityElEE10hipError_tPvRmT2_T3_T4_T5_mT6_T7_P12ihipStream_tbENKUlT_T0_E_clISt17integral_constantIbLb1EESX_EEDaSS_ST_EUlSS_E_NS1_11comp_targetILNS1_3genE2ELNS1_11target_archE906ELNS1_3gpuE6ELNS1_3repE0EEENS1_30default_config_static_selectorELNS0_4arch9wavefront6targetE0EEEvT1_.kd
    .uniform_work_group_size: 1
    .uses_dynamic_stack: false
    .vgpr_count:     0
    .vgpr_spill_count: 0
    .wavefront_size: 32
  - .args:
      - .offset:         0
        .size:           144
        .value_kind:     by_value
    .group_segment_fixed_size: 0
    .kernarg_segment_align: 8
    .kernarg_segment_size: 144
    .language:       OpenCL C
    .language_version:
      - 2
      - 0
    .max_flat_workgroup_size: 256
    .name:           _ZN7rocprim17ROCPRIM_400000_NS6detail17trampoline_kernelINS0_14default_configENS1_27scan_by_key_config_selectorIllEEZZNS1_16scan_by_key_implILNS1_25lookback_scan_determinismE0ELb0ES3_PKlN6hipcub16HIPCUB_304000_NS21ConstantInputIteratorIllEEPllNSB_3SumENSB_8EqualityElEE10hipError_tPvRmT2_T3_T4_T5_mT6_T7_P12ihipStream_tbENKUlT_T0_E_clISt17integral_constantIbLb1EESX_EEDaSS_ST_EUlSS_E_NS1_11comp_targetILNS1_3genE10ELNS1_11target_archE1200ELNS1_3gpuE4ELNS1_3repE0EEENS1_30default_config_static_selectorELNS0_4arch9wavefront6targetE0EEEvT1_
    .private_segment_fixed_size: 0
    .sgpr_count:     0
    .sgpr_spill_count: 0
    .symbol:         _ZN7rocprim17ROCPRIM_400000_NS6detail17trampoline_kernelINS0_14default_configENS1_27scan_by_key_config_selectorIllEEZZNS1_16scan_by_key_implILNS1_25lookback_scan_determinismE0ELb0ES3_PKlN6hipcub16HIPCUB_304000_NS21ConstantInputIteratorIllEEPllNSB_3SumENSB_8EqualityElEE10hipError_tPvRmT2_T3_T4_T5_mT6_T7_P12ihipStream_tbENKUlT_T0_E_clISt17integral_constantIbLb1EESX_EEDaSS_ST_EUlSS_E_NS1_11comp_targetILNS1_3genE10ELNS1_11target_archE1200ELNS1_3gpuE4ELNS1_3repE0EEENS1_30default_config_static_selectorELNS0_4arch9wavefront6targetE0EEEvT1_.kd
    .uniform_work_group_size: 1
    .uses_dynamic_stack: false
    .vgpr_count:     0
    .vgpr_spill_count: 0
    .wavefront_size: 32
  - .args:
      - .offset:         0
        .size:           144
        .value_kind:     by_value
    .group_segment_fixed_size: 0
    .kernarg_segment_align: 8
    .kernarg_segment_size: 144
    .language:       OpenCL C
    .language_version:
      - 2
      - 0
    .max_flat_workgroup_size: 256
    .name:           _ZN7rocprim17ROCPRIM_400000_NS6detail17trampoline_kernelINS0_14default_configENS1_27scan_by_key_config_selectorIllEEZZNS1_16scan_by_key_implILNS1_25lookback_scan_determinismE0ELb0ES3_PKlN6hipcub16HIPCUB_304000_NS21ConstantInputIteratorIllEEPllNSB_3SumENSB_8EqualityElEE10hipError_tPvRmT2_T3_T4_T5_mT6_T7_P12ihipStream_tbENKUlT_T0_E_clISt17integral_constantIbLb1EESX_EEDaSS_ST_EUlSS_E_NS1_11comp_targetILNS1_3genE9ELNS1_11target_archE1100ELNS1_3gpuE3ELNS1_3repE0EEENS1_30default_config_static_selectorELNS0_4arch9wavefront6targetE0EEEvT1_
    .private_segment_fixed_size: 0
    .sgpr_count:     0
    .sgpr_spill_count: 0
    .symbol:         _ZN7rocprim17ROCPRIM_400000_NS6detail17trampoline_kernelINS0_14default_configENS1_27scan_by_key_config_selectorIllEEZZNS1_16scan_by_key_implILNS1_25lookback_scan_determinismE0ELb0ES3_PKlN6hipcub16HIPCUB_304000_NS21ConstantInputIteratorIllEEPllNSB_3SumENSB_8EqualityElEE10hipError_tPvRmT2_T3_T4_T5_mT6_T7_P12ihipStream_tbENKUlT_T0_E_clISt17integral_constantIbLb1EESX_EEDaSS_ST_EUlSS_E_NS1_11comp_targetILNS1_3genE9ELNS1_11target_archE1100ELNS1_3gpuE3ELNS1_3repE0EEENS1_30default_config_static_selectorELNS0_4arch9wavefront6targetE0EEEvT1_.kd
    .uniform_work_group_size: 1
    .uses_dynamic_stack: false
    .vgpr_count:     0
    .vgpr_spill_count: 0
    .wavefront_size: 32
  - .args:
      - .offset:         0
        .size:           144
        .value_kind:     by_value
    .group_segment_fixed_size: 0
    .kernarg_segment_align: 8
    .kernarg_segment_size: 144
    .language:       OpenCL C
    .language_version:
      - 2
      - 0
    .max_flat_workgroup_size: 256
    .name:           _ZN7rocprim17ROCPRIM_400000_NS6detail17trampoline_kernelINS0_14default_configENS1_27scan_by_key_config_selectorIllEEZZNS1_16scan_by_key_implILNS1_25lookback_scan_determinismE0ELb0ES3_PKlN6hipcub16HIPCUB_304000_NS21ConstantInputIteratorIllEEPllNSB_3SumENSB_8EqualityElEE10hipError_tPvRmT2_T3_T4_T5_mT6_T7_P12ihipStream_tbENKUlT_T0_E_clISt17integral_constantIbLb1EESX_EEDaSS_ST_EUlSS_E_NS1_11comp_targetILNS1_3genE8ELNS1_11target_archE1030ELNS1_3gpuE2ELNS1_3repE0EEENS1_30default_config_static_selectorELNS0_4arch9wavefront6targetE0EEEvT1_
    .private_segment_fixed_size: 0
    .sgpr_count:     0
    .sgpr_spill_count: 0
    .symbol:         _ZN7rocprim17ROCPRIM_400000_NS6detail17trampoline_kernelINS0_14default_configENS1_27scan_by_key_config_selectorIllEEZZNS1_16scan_by_key_implILNS1_25lookback_scan_determinismE0ELb0ES3_PKlN6hipcub16HIPCUB_304000_NS21ConstantInputIteratorIllEEPllNSB_3SumENSB_8EqualityElEE10hipError_tPvRmT2_T3_T4_T5_mT6_T7_P12ihipStream_tbENKUlT_T0_E_clISt17integral_constantIbLb1EESX_EEDaSS_ST_EUlSS_E_NS1_11comp_targetILNS1_3genE8ELNS1_11target_archE1030ELNS1_3gpuE2ELNS1_3repE0EEENS1_30default_config_static_selectorELNS0_4arch9wavefront6targetE0EEEvT1_.kd
    .uniform_work_group_size: 1
    .uses_dynamic_stack: false
    .vgpr_count:     0
    .vgpr_spill_count: 0
    .wavefront_size: 32
  - .args:
      - .offset:         0
        .size:           24
        .value_kind:     by_value
      - .offset:         24
        .size:           4
        .value_kind:     by_value
      - .offset:         28
        .size:           4
        .value_kind:     by_value
      - .address_space:  global
        .offset:         32
        .size:           8
        .value_kind:     global_buffer
      - .address_space:  global
        .offset:         40
        .size:           8
        .value_kind:     global_buffer
      - .actual_access:  write_only
        .address_space:  global
        .offset:         48
        .size:           8
        .value_kind:     global_buffer
      - .offset:         56
        .size:           8
        .value_kind:     by_value
      - .offset:         64
        .size:           4
        .value_kind:     by_value
      - .offset:         68
        .size:           1
        .value_kind:     by_value
      - .offset:         72
        .size:           4
        .value_kind:     hidden_block_count_x
      - .offset:         76
        .size:           4
        .value_kind:     hidden_block_count_y
      - .offset:         80
        .size:           4
        .value_kind:     hidden_block_count_z
      - .offset:         84
        .size:           2
        .value_kind:     hidden_group_size_x
      - .offset:         86
        .size:           2
        .value_kind:     hidden_group_size_y
      - .offset:         88
        .size:           2
        .value_kind:     hidden_group_size_z
      - .offset:         90
        .size:           2
        .value_kind:     hidden_remainder_x
      - .offset:         92
        .size:           2
        .value_kind:     hidden_remainder_y
      - .offset:         94
        .size:           2
        .value_kind:     hidden_remainder_z
      - .offset:         112
        .size:           8
        .value_kind:     hidden_global_offset_x
      - .offset:         120
        .size:           8
        .value_kind:     hidden_global_offset_y
      - .offset:         128
        .size:           8
        .value_kind:     hidden_global_offset_z
      - .offset:         136
        .size:           2
        .value_kind:     hidden_grid_dims
    .group_segment_fixed_size: 0
    .kernarg_segment_align: 8
    .kernarg_segment_size: 328
    .language:       OpenCL C
    .language_version:
      - 2
      - 0
    .max_flat_workgroup_size: 256
    .name:           _ZN7rocprim17ROCPRIM_400000_NS6detail30init_device_scan_by_key_kernelINS1_19lookback_scan_stateINS0_5tupleIJlbEEELb1ELb0EEEPKljNS1_16block_id_wrapperIjLb0EEEEEvT_jjPNSB_10value_typeET0_PNSt15iterator_traitsISE_E10value_typeEmT1_T2_
    .private_segment_fixed_size: 0
    .sgpr_count:     24
    .sgpr_spill_count: 0
    .symbol:         _ZN7rocprim17ROCPRIM_400000_NS6detail30init_device_scan_by_key_kernelINS1_19lookback_scan_stateINS0_5tupleIJlbEEELb1ELb0EEEPKljNS1_16block_id_wrapperIjLb0EEEEEvT_jjPNSB_10value_typeET0_PNSt15iterator_traitsISE_E10value_typeEmT1_T2_.kd
    .uniform_work_group_size: 1
    .uses_dynamic_stack: false
    .vgpr_count:     8
    .vgpr_spill_count: 0
    .wavefront_size: 32
  - .args:
      - .offset:         0
        .size:           24
        .value_kind:     by_value
      - .offset:         24
        .size:           4
        .value_kind:     by_value
      - .offset:         28
        .size:           4
        .value_kind:     by_value
      - .address_space:  global
        .offset:         32
        .size:           8
        .value_kind:     global_buffer
      - .offset:         40
        .size:           1
        .value_kind:     by_value
      - .offset:         48
        .size:           4
        .value_kind:     hidden_block_count_x
      - .offset:         52
        .size:           4
        .value_kind:     hidden_block_count_y
      - .offset:         56
        .size:           4
        .value_kind:     hidden_block_count_z
      - .offset:         60
        .size:           2
        .value_kind:     hidden_group_size_x
      - .offset:         62
        .size:           2
        .value_kind:     hidden_group_size_y
      - .offset:         64
        .size:           2
        .value_kind:     hidden_group_size_z
      - .offset:         66
        .size:           2
        .value_kind:     hidden_remainder_x
      - .offset:         68
        .size:           2
        .value_kind:     hidden_remainder_y
      - .offset:         70
        .size:           2
        .value_kind:     hidden_remainder_z
      - .offset:         88
        .size:           8
        .value_kind:     hidden_global_offset_x
      - .offset:         96
        .size:           8
        .value_kind:     hidden_global_offset_y
      - .offset:         104
        .size:           8
        .value_kind:     hidden_global_offset_z
      - .offset:         112
        .size:           2
        .value_kind:     hidden_grid_dims
    .group_segment_fixed_size: 0
    .kernarg_segment_align: 8
    .kernarg_segment_size: 304
    .language:       OpenCL C
    .language_version:
      - 2
      - 0
    .max_flat_workgroup_size: 256
    .name:           _ZN7rocprim17ROCPRIM_400000_NS6detail30init_device_scan_by_key_kernelINS1_19lookback_scan_stateINS0_5tupleIJlbEEELb1ELb0EEENS1_16block_id_wrapperIjLb0EEEEEvT_jjPNS9_10value_typeET0_
    .private_segment_fixed_size: 0
    .sgpr_count:     18
    .sgpr_spill_count: 0
    .symbol:         _ZN7rocprim17ROCPRIM_400000_NS6detail30init_device_scan_by_key_kernelINS1_19lookback_scan_stateINS0_5tupleIJlbEEELb1ELb0EEENS1_16block_id_wrapperIjLb0EEEEEvT_jjPNS9_10value_typeET0_.kd
    .uniform_work_group_size: 1
    .uses_dynamic_stack: false
    .vgpr_count:     5
    .vgpr_spill_count: 0
    .wavefront_size: 32
  - .args:
      - .offset:         0
        .size:           144
        .value_kind:     by_value
    .group_segment_fixed_size: 0
    .kernarg_segment_align: 8
    .kernarg_segment_size: 144
    .language:       OpenCL C
    .language_version:
      - 2
      - 0
    .max_flat_workgroup_size: 256
    .name:           _ZN7rocprim17ROCPRIM_400000_NS6detail17trampoline_kernelINS0_14default_configENS1_27scan_by_key_config_selectorIllEEZZNS1_16scan_by_key_implILNS1_25lookback_scan_determinismE0ELb0ES3_PKlN6hipcub16HIPCUB_304000_NS21ConstantInputIteratorIllEEPllNSB_3SumENSB_8EqualityElEE10hipError_tPvRmT2_T3_T4_T5_mT6_T7_P12ihipStream_tbENKUlT_T0_E_clISt17integral_constantIbLb1EESW_IbLb0EEEEDaSS_ST_EUlSS_E_NS1_11comp_targetILNS1_3genE0ELNS1_11target_archE4294967295ELNS1_3gpuE0ELNS1_3repE0EEENS1_30default_config_static_selectorELNS0_4arch9wavefront6targetE0EEEvT1_
    .private_segment_fixed_size: 0
    .sgpr_count:     0
    .sgpr_spill_count: 0
    .symbol:         _ZN7rocprim17ROCPRIM_400000_NS6detail17trampoline_kernelINS0_14default_configENS1_27scan_by_key_config_selectorIllEEZZNS1_16scan_by_key_implILNS1_25lookback_scan_determinismE0ELb0ES3_PKlN6hipcub16HIPCUB_304000_NS21ConstantInputIteratorIllEEPllNSB_3SumENSB_8EqualityElEE10hipError_tPvRmT2_T3_T4_T5_mT6_T7_P12ihipStream_tbENKUlT_T0_E_clISt17integral_constantIbLb1EESW_IbLb0EEEEDaSS_ST_EUlSS_E_NS1_11comp_targetILNS1_3genE0ELNS1_11target_archE4294967295ELNS1_3gpuE0ELNS1_3repE0EEENS1_30default_config_static_selectorELNS0_4arch9wavefront6targetE0EEEvT1_.kd
    .uniform_work_group_size: 1
    .uses_dynamic_stack: false
    .vgpr_count:     0
    .vgpr_spill_count: 0
    .wavefront_size: 32
  - .args:
      - .offset:         0
        .size:           144
        .value_kind:     by_value
    .group_segment_fixed_size: 0
    .kernarg_segment_align: 8
    .kernarg_segment_size: 144
    .language:       OpenCL C
    .language_version:
      - 2
      - 0
    .max_flat_workgroup_size: 256
    .name:           _ZN7rocprim17ROCPRIM_400000_NS6detail17trampoline_kernelINS0_14default_configENS1_27scan_by_key_config_selectorIllEEZZNS1_16scan_by_key_implILNS1_25lookback_scan_determinismE0ELb0ES3_PKlN6hipcub16HIPCUB_304000_NS21ConstantInputIteratorIllEEPllNSB_3SumENSB_8EqualityElEE10hipError_tPvRmT2_T3_T4_T5_mT6_T7_P12ihipStream_tbENKUlT_T0_E_clISt17integral_constantIbLb1EESW_IbLb0EEEEDaSS_ST_EUlSS_E_NS1_11comp_targetILNS1_3genE10ELNS1_11target_archE1201ELNS1_3gpuE5ELNS1_3repE0EEENS1_30default_config_static_selectorELNS0_4arch9wavefront6targetE0EEEvT1_
    .private_segment_fixed_size: 0
    .sgpr_count:     0
    .sgpr_spill_count: 0
    .symbol:         _ZN7rocprim17ROCPRIM_400000_NS6detail17trampoline_kernelINS0_14default_configENS1_27scan_by_key_config_selectorIllEEZZNS1_16scan_by_key_implILNS1_25lookback_scan_determinismE0ELb0ES3_PKlN6hipcub16HIPCUB_304000_NS21ConstantInputIteratorIllEEPllNSB_3SumENSB_8EqualityElEE10hipError_tPvRmT2_T3_T4_T5_mT6_T7_P12ihipStream_tbENKUlT_T0_E_clISt17integral_constantIbLb1EESW_IbLb0EEEEDaSS_ST_EUlSS_E_NS1_11comp_targetILNS1_3genE10ELNS1_11target_archE1201ELNS1_3gpuE5ELNS1_3repE0EEENS1_30default_config_static_selectorELNS0_4arch9wavefront6targetE0EEEvT1_.kd
    .uniform_work_group_size: 1
    .uses_dynamic_stack: false
    .vgpr_count:     0
    .vgpr_spill_count: 0
    .wavefront_size: 32
  - .args:
      - .offset:         0
        .size:           144
        .value_kind:     by_value
    .group_segment_fixed_size: 0
    .kernarg_segment_align: 8
    .kernarg_segment_size: 144
    .language:       OpenCL C
    .language_version:
      - 2
      - 0
    .max_flat_workgroup_size: 256
    .name:           _ZN7rocprim17ROCPRIM_400000_NS6detail17trampoline_kernelINS0_14default_configENS1_27scan_by_key_config_selectorIllEEZZNS1_16scan_by_key_implILNS1_25lookback_scan_determinismE0ELb0ES3_PKlN6hipcub16HIPCUB_304000_NS21ConstantInputIteratorIllEEPllNSB_3SumENSB_8EqualityElEE10hipError_tPvRmT2_T3_T4_T5_mT6_T7_P12ihipStream_tbENKUlT_T0_E_clISt17integral_constantIbLb1EESW_IbLb0EEEEDaSS_ST_EUlSS_E_NS1_11comp_targetILNS1_3genE5ELNS1_11target_archE942ELNS1_3gpuE9ELNS1_3repE0EEENS1_30default_config_static_selectorELNS0_4arch9wavefront6targetE0EEEvT1_
    .private_segment_fixed_size: 0
    .sgpr_count:     0
    .sgpr_spill_count: 0
    .symbol:         _ZN7rocprim17ROCPRIM_400000_NS6detail17trampoline_kernelINS0_14default_configENS1_27scan_by_key_config_selectorIllEEZZNS1_16scan_by_key_implILNS1_25lookback_scan_determinismE0ELb0ES3_PKlN6hipcub16HIPCUB_304000_NS21ConstantInputIteratorIllEEPllNSB_3SumENSB_8EqualityElEE10hipError_tPvRmT2_T3_T4_T5_mT6_T7_P12ihipStream_tbENKUlT_T0_E_clISt17integral_constantIbLb1EESW_IbLb0EEEEDaSS_ST_EUlSS_E_NS1_11comp_targetILNS1_3genE5ELNS1_11target_archE942ELNS1_3gpuE9ELNS1_3repE0EEENS1_30default_config_static_selectorELNS0_4arch9wavefront6targetE0EEEvT1_.kd
    .uniform_work_group_size: 1
    .uses_dynamic_stack: false
    .vgpr_count:     0
    .vgpr_spill_count: 0
    .wavefront_size: 32
  - .args:
      - .offset:         0
        .size:           144
        .value_kind:     by_value
    .group_segment_fixed_size: 0
    .kernarg_segment_align: 8
    .kernarg_segment_size: 144
    .language:       OpenCL C
    .language_version:
      - 2
      - 0
    .max_flat_workgroup_size: 64
    .name:           _ZN7rocprim17ROCPRIM_400000_NS6detail17trampoline_kernelINS0_14default_configENS1_27scan_by_key_config_selectorIllEEZZNS1_16scan_by_key_implILNS1_25lookback_scan_determinismE0ELb0ES3_PKlN6hipcub16HIPCUB_304000_NS21ConstantInputIteratorIllEEPllNSB_3SumENSB_8EqualityElEE10hipError_tPvRmT2_T3_T4_T5_mT6_T7_P12ihipStream_tbENKUlT_T0_E_clISt17integral_constantIbLb1EESW_IbLb0EEEEDaSS_ST_EUlSS_E_NS1_11comp_targetILNS1_3genE4ELNS1_11target_archE910ELNS1_3gpuE8ELNS1_3repE0EEENS1_30default_config_static_selectorELNS0_4arch9wavefront6targetE0EEEvT1_
    .private_segment_fixed_size: 0
    .sgpr_count:     0
    .sgpr_spill_count: 0
    .symbol:         _ZN7rocprim17ROCPRIM_400000_NS6detail17trampoline_kernelINS0_14default_configENS1_27scan_by_key_config_selectorIllEEZZNS1_16scan_by_key_implILNS1_25lookback_scan_determinismE0ELb0ES3_PKlN6hipcub16HIPCUB_304000_NS21ConstantInputIteratorIllEEPllNSB_3SumENSB_8EqualityElEE10hipError_tPvRmT2_T3_T4_T5_mT6_T7_P12ihipStream_tbENKUlT_T0_E_clISt17integral_constantIbLb1EESW_IbLb0EEEEDaSS_ST_EUlSS_E_NS1_11comp_targetILNS1_3genE4ELNS1_11target_archE910ELNS1_3gpuE8ELNS1_3repE0EEENS1_30default_config_static_selectorELNS0_4arch9wavefront6targetE0EEEvT1_.kd
    .uniform_work_group_size: 1
    .uses_dynamic_stack: false
    .vgpr_count:     0
    .vgpr_spill_count: 0
    .wavefront_size: 32
  - .args:
      - .offset:         0
        .size:           144
        .value_kind:     by_value
    .group_segment_fixed_size: 0
    .kernarg_segment_align: 8
    .kernarg_segment_size: 144
    .language:       OpenCL C
    .language_version:
      - 2
      - 0
    .max_flat_workgroup_size: 256
    .name:           _ZN7rocprim17ROCPRIM_400000_NS6detail17trampoline_kernelINS0_14default_configENS1_27scan_by_key_config_selectorIllEEZZNS1_16scan_by_key_implILNS1_25lookback_scan_determinismE0ELb0ES3_PKlN6hipcub16HIPCUB_304000_NS21ConstantInputIteratorIllEEPllNSB_3SumENSB_8EqualityElEE10hipError_tPvRmT2_T3_T4_T5_mT6_T7_P12ihipStream_tbENKUlT_T0_E_clISt17integral_constantIbLb1EESW_IbLb0EEEEDaSS_ST_EUlSS_E_NS1_11comp_targetILNS1_3genE3ELNS1_11target_archE908ELNS1_3gpuE7ELNS1_3repE0EEENS1_30default_config_static_selectorELNS0_4arch9wavefront6targetE0EEEvT1_
    .private_segment_fixed_size: 0
    .sgpr_count:     0
    .sgpr_spill_count: 0
    .symbol:         _ZN7rocprim17ROCPRIM_400000_NS6detail17trampoline_kernelINS0_14default_configENS1_27scan_by_key_config_selectorIllEEZZNS1_16scan_by_key_implILNS1_25lookback_scan_determinismE0ELb0ES3_PKlN6hipcub16HIPCUB_304000_NS21ConstantInputIteratorIllEEPllNSB_3SumENSB_8EqualityElEE10hipError_tPvRmT2_T3_T4_T5_mT6_T7_P12ihipStream_tbENKUlT_T0_E_clISt17integral_constantIbLb1EESW_IbLb0EEEEDaSS_ST_EUlSS_E_NS1_11comp_targetILNS1_3genE3ELNS1_11target_archE908ELNS1_3gpuE7ELNS1_3repE0EEENS1_30default_config_static_selectorELNS0_4arch9wavefront6targetE0EEEvT1_.kd
    .uniform_work_group_size: 1
    .uses_dynamic_stack: false
    .vgpr_count:     0
    .vgpr_spill_count: 0
    .wavefront_size: 32
  - .args:
      - .offset:         0
        .size:           144
        .value_kind:     by_value
    .group_segment_fixed_size: 0
    .kernarg_segment_align: 8
    .kernarg_segment_size: 144
    .language:       OpenCL C
    .language_version:
      - 2
      - 0
    .max_flat_workgroup_size: 256
    .name:           _ZN7rocprim17ROCPRIM_400000_NS6detail17trampoline_kernelINS0_14default_configENS1_27scan_by_key_config_selectorIllEEZZNS1_16scan_by_key_implILNS1_25lookback_scan_determinismE0ELb0ES3_PKlN6hipcub16HIPCUB_304000_NS21ConstantInputIteratorIllEEPllNSB_3SumENSB_8EqualityElEE10hipError_tPvRmT2_T3_T4_T5_mT6_T7_P12ihipStream_tbENKUlT_T0_E_clISt17integral_constantIbLb1EESW_IbLb0EEEEDaSS_ST_EUlSS_E_NS1_11comp_targetILNS1_3genE2ELNS1_11target_archE906ELNS1_3gpuE6ELNS1_3repE0EEENS1_30default_config_static_selectorELNS0_4arch9wavefront6targetE0EEEvT1_
    .private_segment_fixed_size: 0
    .sgpr_count:     0
    .sgpr_spill_count: 0
    .symbol:         _ZN7rocprim17ROCPRIM_400000_NS6detail17trampoline_kernelINS0_14default_configENS1_27scan_by_key_config_selectorIllEEZZNS1_16scan_by_key_implILNS1_25lookback_scan_determinismE0ELb0ES3_PKlN6hipcub16HIPCUB_304000_NS21ConstantInputIteratorIllEEPllNSB_3SumENSB_8EqualityElEE10hipError_tPvRmT2_T3_T4_T5_mT6_T7_P12ihipStream_tbENKUlT_T0_E_clISt17integral_constantIbLb1EESW_IbLb0EEEEDaSS_ST_EUlSS_E_NS1_11comp_targetILNS1_3genE2ELNS1_11target_archE906ELNS1_3gpuE6ELNS1_3repE0EEENS1_30default_config_static_selectorELNS0_4arch9wavefront6targetE0EEEvT1_.kd
    .uniform_work_group_size: 1
    .uses_dynamic_stack: false
    .vgpr_count:     0
    .vgpr_spill_count: 0
    .wavefront_size: 32
  - .args:
      - .offset:         0
        .size:           144
        .value_kind:     by_value
    .group_segment_fixed_size: 0
    .kernarg_segment_align: 8
    .kernarg_segment_size: 144
    .language:       OpenCL C
    .language_version:
      - 2
      - 0
    .max_flat_workgroup_size: 256
    .name:           _ZN7rocprim17ROCPRIM_400000_NS6detail17trampoline_kernelINS0_14default_configENS1_27scan_by_key_config_selectorIllEEZZNS1_16scan_by_key_implILNS1_25lookback_scan_determinismE0ELb0ES3_PKlN6hipcub16HIPCUB_304000_NS21ConstantInputIteratorIllEEPllNSB_3SumENSB_8EqualityElEE10hipError_tPvRmT2_T3_T4_T5_mT6_T7_P12ihipStream_tbENKUlT_T0_E_clISt17integral_constantIbLb1EESW_IbLb0EEEEDaSS_ST_EUlSS_E_NS1_11comp_targetILNS1_3genE10ELNS1_11target_archE1200ELNS1_3gpuE4ELNS1_3repE0EEENS1_30default_config_static_selectorELNS0_4arch9wavefront6targetE0EEEvT1_
    .private_segment_fixed_size: 0
    .sgpr_count:     0
    .sgpr_spill_count: 0
    .symbol:         _ZN7rocprim17ROCPRIM_400000_NS6detail17trampoline_kernelINS0_14default_configENS1_27scan_by_key_config_selectorIllEEZZNS1_16scan_by_key_implILNS1_25lookback_scan_determinismE0ELb0ES3_PKlN6hipcub16HIPCUB_304000_NS21ConstantInputIteratorIllEEPllNSB_3SumENSB_8EqualityElEE10hipError_tPvRmT2_T3_T4_T5_mT6_T7_P12ihipStream_tbENKUlT_T0_E_clISt17integral_constantIbLb1EESW_IbLb0EEEEDaSS_ST_EUlSS_E_NS1_11comp_targetILNS1_3genE10ELNS1_11target_archE1200ELNS1_3gpuE4ELNS1_3repE0EEENS1_30default_config_static_selectorELNS0_4arch9wavefront6targetE0EEEvT1_.kd
    .uniform_work_group_size: 1
    .uses_dynamic_stack: false
    .vgpr_count:     0
    .vgpr_spill_count: 0
    .wavefront_size: 32
  - .args:
      - .offset:         0
        .size:           144
        .value_kind:     by_value
    .group_segment_fixed_size: 0
    .kernarg_segment_align: 8
    .kernarg_segment_size: 144
    .language:       OpenCL C
    .language_version:
      - 2
      - 0
    .max_flat_workgroup_size: 256
    .name:           _ZN7rocprim17ROCPRIM_400000_NS6detail17trampoline_kernelINS0_14default_configENS1_27scan_by_key_config_selectorIllEEZZNS1_16scan_by_key_implILNS1_25lookback_scan_determinismE0ELb0ES3_PKlN6hipcub16HIPCUB_304000_NS21ConstantInputIteratorIllEEPllNSB_3SumENSB_8EqualityElEE10hipError_tPvRmT2_T3_T4_T5_mT6_T7_P12ihipStream_tbENKUlT_T0_E_clISt17integral_constantIbLb1EESW_IbLb0EEEEDaSS_ST_EUlSS_E_NS1_11comp_targetILNS1_3genE9ELNS1_11target_archE1100ELNS1_3gpuE3ELNS1_3repE0EEENS1_30default_config_static_selectorELNS0_4arch9wavefront6targetE0EEEvT1_
    .private_segment_fixed_size: 0
    .sgpr_count:     0
    .sgpr_spill_count: 0
    .symbol:         _ZN7rocprim17ROCPRIM_400000_NS6detail17trampoline_kernelINS0_14default_configENS1_27scan_by_key_config_selectorIllEEZZNS1_16scan_by_key_implILNS1_25lookback_scan_determinismE0ELb0ES3_PKlN6hipcub16HIPCUB_304000_NS21ConstantInputIteratorIllEEPllNSB_3SumENSB_8EqualityElEE10hipError_tPvRmT2_T3_T4_T5_mT6_T7_P12ihipStream_tbENKUlT_T0_E_clISt17integral_constantIbLb1EESW_IbLb0EEEEDaSS_ST_EUlSS_E_NS1_11comp_targetILNS1_3genE9ELNS1_11target_archE1100ELNS1_3gpuE3ELNS1_3repE0EEENS1_30default_config_static_selectorELNS0_4arch9wavefront6targetE0EEEvT1_.kd
    .uniform_work_group_size: 1
    .uses_dynamic_stack: false
    .vgpr_count:     0
    .vgpr_spill_count: 0
    .wavefront_size: 32
  - .args:
      - .offset:         0
        .size:           144
        .value_kind:     by_value
    .group_segment_fixed_size: 0
    .kernarg_segment_align: 8
    .kernarg_segment_size: 144
    .language:       OpenCL C
    .language_version:
      - 2
      - 0
    .max_flat_workgroup_size: 256
    .name:           _ZN7rocprim17ROCPRIM_400000_NS6detail17trampoline_kernelINS0_14default_configENS1_27scan_by_key_config_selectorIllEEZZNS1_16scan_by_key_implILNS1_25lookback_scan_determinismE0ELb0ES3_PKlN6hipcub16HIPCUB_304000_NS21ConstantInputIteratorIllEEPllNSB_3SumENSB_8EqualityElEE10hipError_tPvRmT2_T3_T4_T5_mT6_T7_P12ihipStream_tbENKUlT_T0_E_clISt17integral_constantIbLb1EESW_IbLb0EEEEDaSS_ST_EUlSS_E_NS1_11comp_targetILNS1_3genE8ELNS1_11target_archE1030ELNS1_3gpuE2ELNS1_3repE0EEENS1_30default_config_static_selectorELNS0_4arch9wavefront6targetE0EEEvT1_
    .private_segment_fixed_size: 0
    .sgpr_count:     0
    .sgpr_spill_count: 0
    .symbol:         _ZN7rocprim17ROCPRIM_400000_NS6detail17trampoline_kernelINS0_14default_configENS1_27scan_by_key_config_selectorIllEEZZNS1_16scan_by_key_implILNS1_25lookback_scan_determinismE0ELb0ES3_PKlN6hipcub16HIPCUB_304000_NS21ConstantInputIteratorIllEEPllNSB_3SumENSB_8EqualityElEE10hipError_tPvRmT2_T3_T4_T5_mT6_T7_P12ihipStream_tbENKUlT_T0_E_clISt17integral_constantIbLb1EESW_IbLb0EEEEDaSS_ST_EUlSS_E_NS1_11comp_targetILNS1_3genE8ELNS1_11target_archE1030ELNS1_3gpuE2ELNS1_3repE0EEENS1_30default_config_static_selectorELNS0_4arch9wavefront6targetE0EEEvT1_.kd
    .uniform_work_group_size: 1
    .uses_dynamic_stack: false
    .vgpr_count:     0
    .vgpr_spill_count: 0
    .wavefront_size: 32
  - .args:
      - .offset:         0
        .size:           24
        .value_kind:     by_value
      - .offset:         24
        .size:           4
        .value_kind:     by_value
      - .offset:         28
        .size:           4
        .value_kind:     by_value
      - .address_space:  global
        .offset:         32
        .size:           8
        .value_kind:     global_buffer
      - .address_space:  global
        .offset:         40
        .size:           8
        .value_kind:     global_buffer
      - .actual_access:  write_only
        .address_space:  global
        .offset:         48
        .size:           8
        .value_kind:     global_buffer
      - .offset:         56
        .size:           8
        .value_kind:     by_value
      - .offset:         64
        .size:           4
        .value_kind:     by_value
      - .address_space:  global
        .offset:         72
        .size:           8
        .value_kind:     global_buffer
      - .offset:         80
        .size:           4
        .value_kind:     hidden_block_count_x
      - .offset:         84
        .size:           4
        .value_kind:     hidden_block_count_y
      - .offset:         88
        .size:           4
        .value_kind:     hidden_block_count_z
      - .offset:         92
        .size:           2
        .value_kind:     hidden_group_size_x
      - .offset:         94
        .size:           2
        .value_kind:     hidden_group_size_y
      - .offset:         96
        .size:           2
        .value_kind:     hidden_group_size_z
      - .offset:         98
        .size:           2
        .value_kind:     hidden_remainder_x
      - .offset:         100
        .size:           2
        .value_kind:     hidden_remainder_y
      - .offset:         102
        .size:           2
        .value_kind:     hidden_remainder_z
      - .offset:         120
        .size:           8
        .value_kind:     hidden_global_offset_x
      - .offset:         128
        .size:           8
        .value_kind:     hidden_global_offset_y
      - .offset:         136
        .size:           8
        .value_kind:     hidden_global_offset_z
      - .offset:         144
        .size:           2
        .value_kind:     hidden_grid_dims
    .group_segment_fixed_size: 0
    .kernarg_segment_align: 8
    .kernarg_segment_size: 336
    .language:       OpenCL C
    .language_version:
      - 2
      - 0
    .max_flat_workgroup_size: 256
    .name:           _ZN7rocprim17ROCPRIM_400000_NS6detail30init_device_scan_by_key_kernelINS1_19lookback_scan_stateINS0_5tupleIJlbEEELb0ELb0EEEPKljNS1_16block_id_wrapperIjLb1EEEEEvT_jjPNSB_10value_typeET0_PNSt15iterator_traitsISE_E10value_typeEmT1_T2_
    .private_segment_fixed_size: 0
    .sgpr_count:     23
    .sgpr_spill_count: 0
    .symbol:         _ZN7rocprim17ROCPRIM_400000_NS6detail30init_device_scan_by_key_kernelINS1_19lookback_scan_stateINS0_5tupleIJlbEEELb0ELb0EEEPKljNS1_16block_id_wrapperIjLb1EEEEEvT_jjPNSB_10value_typeET0_PNSt15iterator_traitsISE_E10value_typeEmT1_T2_.kd
    .uniform_work_group_size: 1
    .uses_dynamic_stack: false
    .vgpr_count:     8
    .vgpr_spill_count: 0
    .wavefront_size: 32
  - .args:
      - .offset:         0
        .size:           24
        .value_kind:     by_value
      - .offset:         24
        .size:           4
        .value_kind:     by_value
      - .offset:         28
        .size:           4
        .value_kind:     by_value
      - .address_space:  global
        .offset:         32
        .size:           8
        .value_kind:     global_buffer
      - .address_space:  global
        .offset:         40
        .size:           8
        .value_kind:     global_buffer
      - .offset:         48
        .size:           4
        .value_kind:     hidden_block_count_x
      - .offset:         52
        .size:           4
        .value_kind:     hidden_block_count_y
      - .offset:         56
        .size:           4
        .value_kind:     hidden_block_count_z
      - .offset:         60
        .size:           2
        .value_kind:     hidden_group_size_x
      - .offset:         62
        .size:           2
        .value_kind:     hidden_group_size_y
      - .offset:         64
        .size:           2
        .value_kind:     hidden_group_size_z
      - .offset:         66
        .size:           2
        .value_kind:     hidden_remainder_x
      - .offset:         68
        .size:           2
        .value_kind:     hidden_remainder_y
      - .offset:         70
        .size:           2
        .value_kind:     hidden_remainder_z
      - .offset:         88
        .size:           8
        .value_kind:     hidden_global_offset_x
      - .offset:         96
        .size:           8
        .value_kind:     hidden_global_offset_y
      - .offset:         104
        .size:           8
        .value_kind:     hidden_global_offset_z
      - .offset:         112
        .size:           2
        .value_kind:     hidden_grid_dims
    .group_segment_fixed_size: 0
    .kernarg_segment_align: 8
    .kernarg_segment_size: 304
    .language:       OpenCL C
    .language_version:
      - 2
      - 0
    .max_flat_workgroup_size: 256
    .name:           _ZN7rocprim17ROCPRIM_400000_NS6detail30init_device_scan_by_key_kernelINS1_19lookback_scan_stateINS0_5tupleIJlbEEELb0ELb0EEENS1_16block_id_wrapperIjLb1EEEEEvT_jjPNS9_10value_typeET0_
    .private_segment_fixed_size: 0
    .sgpr_count:     19
    .sgpr_spill_count: 0
    .symbol:         _ZN7rocprim17ROCPRIM_400000_NS6detail30init_device_scan_by_key_kernelINS1_19lookback_scan_stateINS0_5tupleIJlbEEELb0ELb0EEENS1_16block_id_wrapperIjLb1EEEEEvT_jjPNS9_10value_typeET0_.kd
    .uniform_work_group_size: 1
    .uses_dynamic_stack: false
    .vgpr_count:     5
    .vgpr_spill_count: 0
    .wavefront_size: 32
  - .args:
      - .offset:         0
        .size:           144
        .value_kind:     by_value
    .group_segment_fixed_size: 32768
    .kernarg_segment_align: 8
    .kernarg_segment_size: 144
    .language:       OpenCL C
    .language_version:
      - 2
      - 0
    .max_flat_workgroup_size: 256
    .name:           _ZN7rocprim17ROCPRIM_400000_NS6detail17trampoline_kernelINS0_14default_configENS1_27scan_by_key_config_selectorIllEEZZNS1_16scan_by_key_implILNS1_25lookback_scan_determinismE0ELb0ES3_PKlN6hipcub16HIPCUB_304000_NS21ConstantInputIteratorIllEEPllNSB_3SumENSB_8EqualityElEE10hipError_tPvRmT2_T3_T4_T5_mT6_T7_P12ihipStream_tbENKUlT_T0_E_clISt17integral_constantIbLb0EESW_IbLb1EEEEDaSS_ST_EUlSS_E_NS1_11comp_targetILNS1_3genE0ELNS1_11target_archE4294967295ELNS1_3gpuE0ELNS1_3repE0EEENS1_30default_config_static_selectorELNS0_4arch9wavefront6targetE0EEEvT1_
    .private_segment_fixed_size: 0
    .sgpr_count:     52
    .sgpr_spill_count: 0
    .symbol:         _ZN7rocprim17ROCPRIM_400000_NS6detail17trampoline_kernelINS0_14default_configENS1_27scan_by_key_config_selectorIllEEZZNS1_16scan_by_key_implILNS1_25lookback_scan_determinismE0ELb0ES3_PKlN6hipcub16HIPCUB_304000_NS21ConstantInputIteratorIllEEPllNSB_3SumENSB_8EqualityElEE10hipError_tPvRmT2_T3_T4_T5_mT6_T7_P12ihipStream_tbENKUlT_T0_E_clISt17integral_constantIbLb0EESW_IbLb1EEEEDaSS_ST_EUlSS_E_NS1_11comp_targetILNS1_3genE0ELNS1_11target_archE4294967295ELNS1_3gpuE0ELNS1_3repE0EEENS1_30default_config_static_selectorELNS0_4arch9wavefront6targetE0EEEvT1_.kd
    .uniform_work_group_size: 1
    .uses_dynamic_stack: false
    .vgpr_count:     109
    .vgpr_spill_count: 0
    .wavefront_size: 32
  - .args:
      - .offset:         0
        .size:           144
        .value_kind:     by_value
    .group_segment_fixed_size: 0
    .kernarg_segment_align: 8
    .kernarg_segment_size: 144
    .language:       OpenCL C
    .language_version:
      - 2
      - 0
    .max_flat_workgroup_size: 256
    .name:           _ZN7rocprim17ROCPRIM_400000_NS6detail17trampoline_kernelINS0_14default_configENS1_27scan_by_key_config_selectorIllEEZZNS1_16scan_by_key_implILNS1_25lookback_scan_determinismE0ELb0ES3_PKlN6hipcub16HIPCUB_304000_NS21ConstantInputIteratorIllEEPllNSB_3SumENSB_8EqualityElEE10hipError_tPvRmT2_T3_T4_T5_mT6_T7_P12ihipStream_tbENKUlT_T0_E_clISt17integral_constantIbLb0EESW_IbLb1EEEEDaSS_ST_EUlSS_E_NS1_11comp_targetILNS1_3genE10ELNS1_11target_archE1201ELNS1_3gpuE5ELNS1_3repE0EEENS1_30default_config_static_selectorELNS0_4arch9wavefront6targetE0EEEvT1_
    .private_segment_fixed_size: 0
    .sgpr_count:     0
    .sgpr_spill_count: 0
    .symbol:         _ZN7rocprim17ROCPRIM_400000_NS6detail17trampoline_kernelINS0_14default_configENS1_27scan_by_key_config_selectorIllEEZZNS1_16scan_by_key_implILNS1_25lookback_scan_determinismE0ELb0ES3_PKlN6hipcub16HIPCUB_304000_NS21ConstantInputIteratorIllEEPllNSB_3SumENSB_8EqualityElEE10hipError_tPvRmT2_T3_T4_T5_mT6_T7_P12ihipStream_tbENKUlT_T0_E_clISt17integral_constantIbLb0EESW_IbLb1EEEEDaSS_ST_EUlSS_E_NS1_11comp_targetILNS1_3genE10ELNS1_11target_archE1201ELNS1_3gpuE5ELNS1_3repE0EEENS1_30default_config_static_selectorELNS0_4arch9wavefront6targetE0EEEvT1_.kd
    .uniform_work_group_size: 1
    .uses_dynamic_stack: false
    .vgpr_count:     0
    .vgpr_spill_count: 0
    .wavefront_size: 32
  - .args:
      - .offset:         0
        .size:           144
        .value_kind:     by_value
    .group_segment_fixed_size: 0
    .kernarg_segment_align: 8
    .kernarg_segment_size: 144
    .language:       OpenCL C
    .language_version:
      - 2
      - 0
    .max_flat_workgroup_size: 256
    .name:           _ZN7rocprim17ROCPRIM_400000_NS6detail17trampoline_kernelINS0_14default_configENS1_27scan_by_key_config_selectorIllEEZZNS1_16scan_by_key_implILNS1_25lookback_scan_determinismE0ELb0ES3_PKlN6hipcub16HIPCUB_304000_NS21ConstantInputIteratorIllEEPllNSB_3SumENSB_8EqualityElEE10hipError_tPvRmT2_T3_T4_T5_mT6_T7_P12ihipStream_tbENKUlT_T0_E_clISt17integral_constantIbLb0EESW_IbLb1EEEEDaSS_ST_EUlSS_E_NS1_11comp_targetILNS1_3genE5ELNS1_11target_archE942ELNS1_3gpuE9ELNS1_3repE0EEENS1_30default_config_static_selectorELNS0_4arch9wavefront6targetE0EEEvT1_
    .private_segment_fixed_size: 0
    .sgpr_count:     0
    .sgpr_spill_count: 0
    .symbol:         _ZN7rocprim17ROCPRIM_400000_NS6detail17trampoline_kernelINS0_14default_configENS1_27scan_by_key_config_selectorIllEEZZNS1_16scan_by_key_implILNS1_25lookback_scan_determinismE0ELb0ES3_PKlN6hipcub16HIPCUB_304000_NS21ConstantInputIteratorIllEEPllNSB_3SumENSB_8EqualityElEE10hipError_tPvRmT2_T3_T4_T5_mT6_T7_P12ihipStream_tbENKUlT_T0_E_clISt17integral_constantIbLb0EESW_IbLb1EEEEDaSS_ST_EUlSS_E_NS1_11comp_targetILNS1_3genE5ELNS1_11target_archE942ELNS1_3gpuE9ELNS1_3repE0EEENS1_30default_config_static_selectorELNS0_4arch9wavefront6targetE0EEEvT1_.kd
    .uniform_work_group_size: 1
    .uses_dynamic_stack: false
    .vgpr_count:     0
    .vgpr_spill_count: 0
    .wavefront_size: 32
  - .args:
      - .offset:         0
        .size:           144
        .value_kind:     by_value
    .group_segment_fixed_size: 0
    .kernarg_segment_align: 8
    .kernarg_segment_size: 144
    .language:       OpenCL C
    .language_version:
      - 2
      - 0
    .max_flat_workgroup_size: 64
    .name:           _ZN7rocprim17ROCPRIM_400000_NS6detail17trampoline_kernelINS0_14default_configENS1_27scan_by_key_config_selectorIllEEZZNS1_16scan_by_key_implILNS1_25lookback_scan_determinismE0ELb0ES3_PKlN6hipcub16HIPCUB_304000_NS21ConstantInputIteratorIllEEPllNSB_3SumENSB_8EqualityElEE10hipError_tPvRmT2_T3_T4_T5_mT6_T7_P12ihipStream_tbENKUlT_T0_E_clISt17integral_constantIbLb0EESW_IbLb1EEEEDaSS_ST_EUlSS_E_NS1_11comp_targetILNS1_3genE4ELNS1_11target_archE910ELNS1_3gpuE8ELNS1_3repE0EEENS1_30default_config_static_selectorELNS0_4arch9wavefront6targetE0EEEvT1_
    .private_segment_fixed_size: 0
    .sgpr_count:     0
    .sgpr_spill_count: 0
    .symbol:         _ZN7rocprim17ROCPRIM_400000_NS6detail17trampoline_kernelINS0_14default_configENS1_27scan_by_key_config_selectorIllEEZZNS1_16scan_by_key_implILNS1_25lookback_scan_determinismE0ELb0ES3_PKlN6hipcub16HIPCUB_304000_NS21ConstantInputIteratorIllEEPllNSB_3SumENSB_8EqualityElEE10hipError_tPvRmT2_T3_T4_T5_mT6_T7_P12ihipStream_tbENKUlT_T0_E_clISt17integral_constantIbLb0EESW_IbLb1EEEEDaSS_ST_EUlSS_E_NS1_11comp_targetILNS1_3genE4ELNS1_11target_archE910ELNS1_3gpuE8ELNS1_3repE0EEENS1_30default_config_static_selectorELNS0_4arch9wavefront6targetE0EEEvT1_.kd
    .uniform_work_group_size: 1
    .uses_dynamic_stack: false
    .vgpr_count:     0
    .vgpr_spill_count: 0
    .wavefront_size: 32
  - .args:
      - .offset:         0
        .size:           144
        .value_kind:     by_value
    .group_segment_fixed_size: 0
    .kernarg_segment_align: 8
    .kernarg_segment_size: 144
    .language:       OpenCL C
    .language_version:
      - 2
      - 0
    .max_flat_workgroup_size: 256
    .name:           _ZN7rocprim17ROCPRIM_400000_NS6detail17trampoline_kernelINS0_14default_configENS1_27scan_by_key_config_selectorIllEEZZNS1_16scan_by_key_implILNS1_25lookback_scan_determinismE0ELb0ES3_PKlN6hipcub16HIPCUB_304000_NS21ConstantInputIteratorIllEEPllNSB_3SumENSB_8EqualityElEE10hipError_tPvRmT2_T3_T4_T5_mT6_T7_P12ihipStream_tbENKUlT_T0_E_clISt17integral_constantIbLb0EESW_IbLb1EEEEDaSS_ST_EUlSS_E_NS1_11comp_targetILNS1_3genE3ELNS1_11target_archE908ELNS1_3gpuE7ELNS1_3repE0EEENS1_30default_config_static_selectorELNS0_4arch9wavefront6targetE0EEEvT1_
    .private_segment_fixed_size: 0
    .sgpr_count:     0
    .sgpr_spill_count: 0
    .symbol:         _ZN7rocprim17ROCPRIM_400000_NS6detail17trampoline_kernelINS0_14default_configENS1_27scan_by_key_config_selectorIllEEZZNS1_16scan_by_key_implILNS1_25lookback_scan_determinismE0ELb0ES3_PKlN6hipcub16HIPCUB_304000_NS21ConstantInputIteratorIllEEPllNSB_3SumENSB_8EqualityElEE10hipError_tPvRmT2_T3_T4_T5_mT6_T7_P12ihipStream_tbENKUlT_T0_E_clISt17integral_constantIbLb0EESW_IbLb1EEEEDaSS_ST_EUlSS_E_NS1_11comp_targetILNS1_3genE3ELNS1_11target_archE908ELNS1_3gpuE7ELNS1_3repE0EEENS1_30default_config_static_selectorELNS0_4arch9wavefront6targetE0EEEvT1_.kd
    .uniform_work_group_size: 1
    .uses_dynamic_stack: false
    .vgpr_count:     0
    .vgpr_spill_count: 0
    .wavefront_size: 32
  - .args:
      - .offset:         0
        .size:           144
        .value_kind:     by_value
    .group_segment_fixed_size: 0
    .kernarg_segment_align: 8
    .kernarg_segment_size: 144
    .language:       OpenCL C
    .language_version:
      - 2
      - 0
    .max_flat_workgroup_size: 256
    .name:           _ZN7rocprim17ROCPRIM_400000_NS6detail17trampoline_kernelINS0_14default_configENS1_27scan_by_key_config_selectorIllEEZZNS1_16scan_by_key_implILNS1_25lookback_scan_determinismE0ELb0ES3_PKlN6hipcub16HIPCUB_304000_NS21ConstantInputIteratorIllEEPllNSB_3SumENSB_8EqualityElEE10hipError_tPvRmT2_T3_T4_T5_mT6_T7_P12ihipStream_tbENKUlT_T0_E_clISt17integral_constantIbLb0EESW_IbLb1EEEEDaSS_ST_EUlSS_E_NS1_11comp_targetILNS1_3genE2ELNS1_11target_archE906ELNS1_3gpuE6ELNS1_3repE0EEENS1_30default_config_static_selectorELNS0_4arch9wavefront6targetE0EEEvT1_
    .private_segment_fixed_size: 0
    .sgpr_count:     0
    .sgpr_spill_count: 0
    .symbol:         _ZN7rocprim17ROCPRIM_400000_NS6detail17trampoline_kernelINS0_14default_configENS1_27scan_by_key_config_selectorIllEEZZNS1_16scan_by_key_implILNS1_25lookback_scan_determinismE0ELb0ES3_PKlN6hipcub16HIPCUB_304000_NS21ConstantInputIteratorIllEEPllNSB_3SumENSB_8EqualityElEE10hipError_tPvRmT2_T3_T4_T5_mT6_T7_P12ihipStream_tbENKUlT_T0_E_clISt17integral_constantIbLb0EESW_IbLb1EEEEDaSS_ST_EUlSS_E_NS1_11comp_targetILNS1_3genE2ELNS1_11target_archE906ELNS1_3gpuE6ELNS1_3repE0EEENS1_30default_config_static_selectorELNS0_4arch9wavefront6targetE0EEEvT1_.kd
    .uniform_work_group_size: 1
    .uses_dynamic_stack: false
    .vgpr_count:     0
    .vgpr_spill_count: 0
    .wavefront_size: 32
  - .args:
      - .offset:         0
        .size:           144
        .value_kind:     by_value
    .group_segment_fixed_size: 0
    .kernarg_segment_align: 8
    .kernarg_segment_size: 144
    .language:       OpenCL C
    .language_version:
      - 2
      - 0
    .max_flat_workgroup_size: 256
    .name:           _ZN7rocprim17ROCPRIM_400000_NS6detail17trampoline_kernelINS0_14default_configENS1_27scan_by_key_config_selectorIllEEZZNS1_16scan_by_key_implILNS1_25lookback_scan_determinismE0ELb0ES3_PKlN6hipcub16HIPCUB_304000_NS21ConstantInputIteratorIllEEPllNSB_3SumENSB_8EqualityElEE10hipError_tPvRmT2_T3_T4_T5_mT6_T7_P12ihipStream_tbENKUlT_T0_E_clISt17integral_constantIbLb0EESW_IbLb1EEEEDaSS_ST_EUlSS_E_NS1_11comp_targetILNS1_3genE10ELNS1_11target_archE1200ELNS1_3gpuE4ELNS1_3repE0EEENS1_30default_config_static_selectorELNS0_4arch9wavefront6targetE0EEEvT1_
    .private_segment_fixed_size: 0
    .sgpr_count:     0
    .sgpr_spill_count: 0
    .symbol:         _ZN7rocprim17ROCPRIM_400000_NS6detail17trampoline_kernelINS0_14default_configENS1_27scan_by_key_config_selectorIllEEZZNS1_16scan_by_key_implILNS1_25lookback_scan_determinismE0ELb0ES3_PKlN6hipcub16HIPCUB_304000_NS21ConstantInputIteratorIllEEPllNSB_3SumENSB_8EqualityElEE10hipError_tPvRmT2_T3_T4_T5_mT6_T7_P12ihipStream_tbENKUlT_T0_E_clISt17integral_constantIbLb0EESW_IbLb1EEEEDaSS_ST_EUlSS_E_NS1_11comp_targetILNS1_3genE10ELNS1_11target_archE1200ELNS1_3gpuE4ELNS1_3repE0EEENS1_30default_config_static_selectorELNS0_4arch9wavefront6targetE0EEEvT1_.kd
    .uniform_work_group_size: 1
    .uses_dynamic_stack: false
    .vgpr_count:     0
    .vgpr_spill_count: 0
    .wavefront_size: 32
  - .args:
      - .offset:         0
        .size:           144
        .value_kind:     by_value
    .group_segment_fixed_size: 0
    .kernarg_segment_align: 8
    .kernarg_segment_size: 144
    .language:       OpenCL C
    .language_version:
      - 2
      - 0
    .max_flat_workgroup_size: 256
    .name:           _ZN7rocprim17ROCPRIM_400000_NS6detail17trampoline_kernelINS0_14default_configENS1_27scan_by_key_config_selectorIllEEZZNS1_16scan_by_key_implILNS1_25lookback_scan_determinismE0ELb0ES3_PKlN6hipcub16HIPCUB_304000_NS21ConstantInputIteratorIllEEPllNSB_3SumENSB_8EqualityElEE10hipError_tPvRmT2_T3_T4_T5_mT6_T7_P12ihipStream_tbENKUlT_T0_E_clISt17integral_constantIbLb0EESW_IbLb1EEEEDaSS_ST_EUlSS_E_NS1_11comp_targetILNS1_3genE9ELNS1_11target_archE1100ELNS1_3gpuE3ELNS1_3repE0EEENS1_30default_config_static_selectorELNS0_4arch9wavefront6targetE0EEEvT1_
    .private_segment_fixed_size: 0
    .sgpr_count:     0
    .sgpr_spill_count: 0
    .symbol:         _ZN7rocprim17ROCPRIM_400000_NS6detail17trampoline_kernelINS0_14default_configENS1_27scan_by_key_config_selectorIllEEZZNS1_16scan_by_key_implILNS1_25lookback_scan_determinismE0ELb0ES3_PKlN6hipcub16HIPCUB_304000_NS21ConstantInputIteratorIllEEPllNSB_3SumENSB_8EqualityElEE10hipError_tPvRmT2_T3_T4_T5_mT6_T7_P12ihipStream_tbENKUlT_T0_E_clISt17integral_constantIbLb0EESW_IbLb1EEEEDaSS_ST_EUlSS_E_NS1_11comp_targetILNS1_3genE9ELNS1_11target_archE1100ELNS1_3gpuE3ELNS1_3repE0EEENS1_30default_config_static_selectorELNS0_4arch9wavefront6targetE0EEEvT1_.kd
    .uniform_work_group_size: 1
    .uses_dynamic_stack: false
    .vgpr_count:     0
    .vgpr_spill_count: 0
    .wavefront_size: 32
  - .args:
      - .offset:         0
        .size:           144
        .value_kind:     by_value
    .group_segment_fixed_size: 0
    .kernarg_segment_align: 8
    .kernarg_segment_size: 144
    .language:       OpenCL C
    .language_version:
      - 2
      - 0
    .max_flat_workgroup_size: 256
    .name:           _ZN7rocprim17ROCPRIM_400000_NS6detail17trampoline_kernelINS0_14default_configENS1_27scan_by_key_config_selectorIllEEZZNS1_16scan_by_key_implILNS1_25lookback_scan_determinismE0ELb0ES3_PKlN6hipcub16HIPCUB_304000_NS21ConstantInputIteratorIllEEPllNSB_3SumENSB_8EqualityElEE10hipError_tPvRmT2_T3_T4_T5_mT6_T7_P12ihipStream_tbENKUlT_T0_E_clISt17integral_constantIbLb0EESW_IbLb1EEEEDaSS_ST_EUlSS_E_NS1_11comp_targetILNS1_3genE8ELNS1_11target_archE1030ELNS1_3gpuE2ELNS1_3repE0EEENS1_30default_config_static_selectorELNS0_4arch9wavefront6targetE0EEEvT1_
    .private_segment_fixed_size: 0
    .sgpr_count:     0
    .sgpr_spill_count: 0
    .symbol:         _ZN7rocprim17ROCPRIM_400000_NS6detail17trampoline_kernelINS0_14default_configENS1_27scan_by_key_config_selectorIllEEZZNS1_16scan_by_key_implILNS1_25lookback_scan_determinismE0ELb0ES3_PKlN6hipcub16HIPCUB_304000_NS21ConstantInputIteratorIllEEPllNSB_3SumENSB_8EqualityElEE10hipError_tPvRmT2_T3_T4_T5_mT6_T7_P12ihipStream_tbENKUlT_T0_E_clISt17integral_constantIbLb0EESW_IbLb1EEEEDaSS_ST_EUlSS_E_NS1_11comp_targetILNS1_3genE8ELNS1_11target_archE1030ELNS1_3gpuE2ELNS1_3repE0EEENS1_30default_config_static_selectorELNS0_4arch9wavefront6targetE0EEEvT1_.kd
    .uniform_work_group_size: 1
    .uses_dynamic_stack: false
    .vgpr_count:     0
    .vgpr_spill_count: 0
    .wavefront_size: 32
  - .args:
      - .offset:         0
        .size:           24
        .value_kind:     by_value
      - .offset:         24
        .size:           4
        .value_kind:     by_value
      - .offset:         28
        .size:           4
        .value_kind:     by_value
      - .address_space:  global
        .offset:         32
        .size:           8
        .value_kind:     global_buffer
      - .address_space:  global
        .offset:         40
        .size:           8
        .value_kind:     global_buffer
      - .actual_access:  write_only
        .address_space:  global
        .offset:         48
        .size:           8
        .value_kind:     global_buffer
      - .offset:         56
        .size:           8
        .value_kind:     by_value
      - .offset:         64
        .size:           4
        .value_kind:     by_value
      - .offset:         68
        .size:           1
        .value_kind:     by_value
      - .offset:         72
        .size:           4
        .value_kind:     hidden_block_count_x
      - .offset:         76
        .size:           4
        .value_kind:     hidden_block_count_y
      - .offset:         80
        .size:           4
        .value_kind:     hidden_block_count_z
      - .offset:         84
        .size:           2
        .value_kind:     hidden_group_size_x
      - .offset:         86
        .size:           2
        .value_kind:     hidden_group_size_y
      - .offset:         88
        .size:           2
        .value_kind:     hidden_group_size_z
      - .offset:         90
        .size:           2
        .value_kind:     hidden_remainder_x
      - .offset:         92
        .size:           2
        .value_kind:     hidden_remainder_y
      - .offset:         94
        .size:           2
        .value_kind:     hidden_remainder_z
      - .offset:         112
        .size:           8
        .value_kind:     hidden_global_offset_x
      - .offset:         120
        .size:           8
        .value_kind:     hidden_global_offset_y
      - .offset:         128
        .size:           8
        .value_kind:     hidden_global_offset_z
      - .offset:         136
        .size:           2
        .value_kind:     hidden_grid_dims
    .group_segment_fixed_size: 0
    .kernarg_segment_align: 8
    .kernarg_segment_size: 328
    .language:       OpenCL C
    .language_version:
      - 2
      - 0
    .max_flat_workgroup_size: 256
    .name:           _ZN7rocprim17ROCPRIM_400000_NS6detail30init_device_scan_by_key_kernelINS1_19lookback_scan_stateINS0_5tupleIJlbEEELb0ELb0EEEN6thrust23THRUST_200600_302600_NS16reverse_iteratorIPKlEEjNS1_16block_id_wrapperIjLb0EEEEEvT_jjPNSF_10value_typeET0_PNSt15iterator_traitsISI_E10value_typeEmT1_T2_
    .private_segment_fixed_size: 0
    .sgpr_count:     23
    .sgpr_spill_count: 0
    .symbol:         _ZN7rocprim17ROCPRIM_400000_NS6detail30init_device_scan_by_key_kernelINS1_19lookback_scan_stateINS0_5tupleIJlbEEELb0ELb0EEEN6thrust23THRUST_200600_302600_NS16reverse_iteratorIPKlEEjNS1_16block_id_wrapperIjLb0EEEEEvT_jjPNSF_10value_typeET0_PNSt15iterator_traitsISI_E10value_typeEmT1_T2_.kd
    .uniform_work_group_size: 1
    .uses_dynamic_stack: false
    .vgpr_count:     8
    .vgpr_spill_count: 0
    .wavefront_size: 32
  - .args:
      - .offset:         0
        .size:           136
        .value_kind:     by_value
    .group_segment_fixed_size: 32768
    .kernarg_segment_align: 8
    .kernarg_segment_size: 136
    .language:       OpenCL C
    .language_version:
      - 2
      - 0
    .max_flat_workgroup_size: 256
    .name:           _ZN7rocprim17ROCPRIM_400000_NS6detail17trampoline_kernelINS0_14default_configENS1_27scan_by_key_config_selectorIllEEZZNS1_16scan_by_key_implILNS1_25lookback_scan_determinismE0ELb0ES3_N6thrust23THRUST_200600_302600_NS16reverse_iteratorIPKlEESD_NSA_IPlEElN6hipcub16HIPCUB_304000_NS3MaxENSH_8EqualityElEE10hipError_tPvRmT2_T3_T4_T5_mT6_T7_P12ihipStream_tbENKUlT_T0_E_clISt17integral_constantIbLb0EES10_EEDaSV_SW_EUlSV_E_NS1_11comp_targetILNS1_3genE0ELNS1_11target_archE4294967295ELNS1_3gpuE0ELNS1_3repE0EEENS1_30default_config_static_selectorELNS0_4arch9wavefront6targetE0EEEvT1_
    .private_segment_fixed_size: 0
    .sgpr_count:     63
    .sgpr_spill_count: 0
    .symbol:         _ZN7rocprim17ROCPRIM_400000_NS6detail17trampoline_kernelINS0_14default_configENS1_27scan_by_key_config_selectorIllEEZZNS1_16scan_by_key_implILNS1_25lookback_scan_determinismE0ELb0ES3_N6thrust23THRUST_200600_302600_NS16reverse_iteratorIPKlEESD_NSA_IPlEElN6hipcub16HIPCUB_304000_NS3MaxENSH_8EqualityElEE10hipError_tPvRmT2_T3_T4_T5_mT6_T7_P12ihipStream_tbENKUlT_T0_E_clISt17integral_constantIbLb0EES10_EEDaSV_SW_EUlSV_E_NS1_11comp_targetILNS1_3genE0ELNS1_11target_archE4294967295ELNS1_3gpuE0ELNS1_3repE0EEENS1_30default_config_static_selectorELNS0_4arch9wavefront6targetE0EEEvT1_.kd
    .uniform_work_group_size: 1
    .uses_dynamic_stack: false
    .vgpr_count:     108
    .vgpr_spill_count: 0
    .wavefront_size: 32
  - .args:
      - .offset:         0
        .size:           136
        .value_kind:     by_value
    .group_segment_fixed_size: 0
    .kernarg_segment_align: 8
    .kernarg_segment_size: 136
    .language:       OpenCL C
    .language_version:
      - 2
      - 0
    .max_flat_workgroup_size: 256
    .name:           _ZN7rocprim17ROCPRIM_400000_NS6detail17trampoline_kernelINS0_14default_configENS1_27scan_by_key_config_selectorIllEEZZNS1_16scan_by_key_implILNS1_25lookback_scan_determinismE0ELb0ES3_N6thrust23THRUST_200600_302600_NS16reverse_iteratorIPKlEESD_NSA_IPlEElN6hipcub16HIPCUB_304000_NS3MaxENSH_8EqualityElEE10hipError_tPvRmT2_T3_T4_T5_mT6_T7_P12ihipStream_tbENKUlT_T0_E_clISt17integral_constantIbLb0EES10_EEDaSV_SW_EUlSV_E_NS1_11comp_targetILNS1_3genE10ELNS1_11target_archE1201ELNS1_3gpuE5ELNS1_3repE0EEENS1_30default_config_static_selectorELNS0_4arch9wavefront6targetE0EEEvT1_
    .private_segment_fixed_size: 0
    .sgpr_count:     0
    .sgpr_spill_count: 0
    .symbol:         _ZN7rocprim17ROCPRIM_400000_NS6detail17trampoline_kernelINS0_14default_configENS1_27scan_by_key_config_selectorIllEEZZNS1_16scan_by_key_implILNS1_25lookback_scan_determinismE0ELb0ES3_N6thrust23THRUST_200600_302600_NS16reverse_iteratorIPKlEESD_NSA_IPlEElN6hipcub16HIPCUB_304000_NS3MaxENSH_8EqualityElEE10hipError_tPvRmT2_T3_T4_T5_mT6_T7_P12ihipStream_tbENKUlT_T0_E_clISt17integral_constantIbLb0EES10_EEDaSV_SW_EUlSV_E_NS1_11comp_targetILNS1_3genE10ELNS1_11target_archE1201ELNS1_3gpuE5ELNS1_3repE0EEENS1_30default_config_static_selectorELNS0_4arch9wavefront6targetE0EEEvT1_.kd
    .uniform_work_group_size: 1
    .uses_dynamic_stack: false
    .vgpr_count:     0
    .vgpr_spill_count: 0
    .wavefront_size: 32
  - .args:
      - .offset:         0
        .size:           136
        .value_kind:     by_value
    .group_segment_fixed_size: 0
    .kernarg_segment_align: 8
    .kernarg_segment_size: 136
    .language:       OpenCL C
    .language_version:
      - 2
      - 0
    .max_flat_workgroup_size: 256
    .name:           _ZN7rocprim17ROCPRIM_400000_NS6detail17trampoline_kernelINS0_14default_configENS1_27scan_by_key_config_selectorIllEEZZNS1_16scan_by_key_implILNS1_25lookback_scan_determinismE0ELb0ES3_N6thrust23THRUST_200600_302600_NS16reverse_iteratorIPKlEESD_NSA_IPlEElN6hipcub16HIPCUB_304000_NS3MaxENSH_8EqualityElEE10hipError_tPvRmT2_T3_T4_T5_mT6_T7_P12ihipStream_tbENKUlT_T0_E_clISt17integral_constantIbLb0EES10_EEDaSV_SW_EUlSV_E_NS1_11comp_targetILNS1_3genE5ELNS1_11target_archE942ELNS1_3gpuE9ELNS1_3repE0EEENS1_30default_config_static_selectorELNS0_4arch9wavefront6targetE0EEEvT1_
    .private_segment_fixed_size: 0
    .sgpr_count:     0
    .sgpr_spill_count: 0
    .symbol:         _ZN7rocprim17ROCPRIM_400000_NS6detail17trampoline_kernelINS0_14default_configENS1_27scan_by_key_config_selectorIllEEZZNS1_16scan_by_key_implILNS1_25lookback_scan_determinismE0ELb0ES3_N6thrust23THRUST_200600_302600_NS16reverse_iteratorIPKlEESD_NSA_IPlEElN6hipcub16HIPCUB_304000_NS3MaxENSH_8EqualityElEE10hipError_tPvRmT2_T3_T4_T5_mT6_T7_P12ihipStream_tbENKUlT_T0_E_clISt17integral_constantIbLb0EES10_EEDaSV_SW_EUlSV_E_NS1_11comp_targetILNS1_3genE5ELNS1_11target_archE942ELNS1_3gpuE9ELNS1_3repE0EEENS1_30default_config_static_selectorELNS0_4arch9wavefront6targetE0EEEvT1_.kd
    .uniform_work_group_size: 1
    .uses_dynamic_stack: false
    .vgpr_count:     0
    .vgpr_spill_count: 0
    .wavefront_size: 32
  - .args:
      - .offset:         0
        .size:           136
        .value_kind:     by_value
    .group_segment_fixed_size: 0
    .kernarg_segment_align: 8
    .kernarg_segment_size: 136
    .language:       OpenCL C
    .language_version:
      - 2
      - 0
    .max_flat_workgroup_size: 64
    .name:           _ZN7rocprim17ROCPRIM_400000_NS6detail17trampoline_kernelINS0_14default_configENS1_27scan_by_key_config_selectorIllEEZZNS1_16scan_by_key_implILNS1_25lookback_scan_determinismE0ELb0ES3_N6thrust23THRUST_200600_302600_NS16reverse_iteratorIPKlEESD_NSA_IPlEElN6hipcub16HIPCUB_304000_NS3MaxENSH_8EqualityElEE10hipError_tPvRmT2_T3_T4_T5_mT6_T7_P12ihipStream_tbENKUlT_T0_E_clISt17integral_constantIbLb0EES10_EEDaSV_SW_EUlSV_E_NS1_11comp_targetILNS1_3genE4ELNS1_11target_archE910ELNS1_3gpuE8ELNS1_3repE0EEENS1_30default_config_static_selectorELNS0_4arch9wavefront6targetE0EEEvT1_
    .private_segment_fixed_size: 0
    .sgpr_count:     0
    .sgpr_spill_count: 0
    .symbol:         _ZN7rocprim17ROCPRIM_400000_NS6detail17trampoline_kernelINS0_14default_configENS1_27scan_by_key_config_selectorIllEEZZNS1_16scan_by_key_implILNS1_25lookback_scan_determinismE0ELb0ES3_N6thrust23THRUST_200600_302600_NS16reverse_iteratorIPKlEESD_NSA_IPlEElN6hipcub16HIPCUB_304000_NS3MaxENSH_8EqualityElEE10hipError_tPvRmT2_T3_T4_T5_mT6_T7_P12ihipStream_tbENKUlT_T0_E_clISt17integral_constantIbLb0EES10_EEDaSV_SW_EUlSV_E_NS1_11comp_targetILNS1_3genE4ELNS1_11target_archE910ELNS1_3gpuE8ELNS1_3repE0EEENS1_30default_config_static_selectorELNS0_4arch9wavefront6targetE0EEEvT1_.kd
    .uniform_work_group_size: 1
    .uses_dynamic_stack: false
    .vgpr_count:     0
    .vgpr_spill_count: 0
    .wavefront_size: 32
  - .args:
      - .offset:         0
        .size:           136
        .value_kind:     by_value
    .group_segment_fixed_size: 0
    .kernarg_segment_align: 8
    .kernarg_segment_size: 136
    .language:       OpenCL C
    .language_version:
      - 2
      - 0
    .max_flat_workgroup_size: 256
    .name:           _ZN7rocprim17ROCPRIM_400000_NS6detail17trampoline_kernelINS0_14default_configENS1_27scan_by_key_config_selectorIllEEZZNS1_16scan_by_key_implILNS1_25lookback_scan_determinismE0ELb0ES3_N6thrust23THRUST_200600_302600_NS16reverse_iteratorIPKlEESD_NSA_IPlEElN6hipcub16HIPCUB_304000_NS3MaxENSH_8EqualityElEE10hipError_tPvRmT2_T3_T4_T5_mT6_T7_P12ihipStream_tbENKUlT_T0_E_clISt17integral_constantIbLb0EES10_EEDaSV_SW_EUlSV_E_NS1_11comp_targetILNS1_3genE3ELNS1_11target_archE908ELNS1_3gpuE7ELNS1_3repE0EEENS1_30default_config_static_selectorELNS0_4arch9wavefront6targetE0EEEvT1_
    .private_segment_fixed_size: 0
    .sgpr_count:     0
    .sgpr_spill_count: 0
    .symbol:         _ZN7rocprim17ROCPRIM_400000_NS6detail17trampoline_kernelINS0_14default_configENS1_27scan_by_key_config_selectorIllEEZZNS1_16scan_by_key_implILNS1_25lookback_scan_determinismE0ELb0ES3_N6thrust23THRUST_200600_302600_NS16reverse_iteratorIPKlEESD_NSA_IPlEElN6hipcub16HIPCUB_304000_NS3MaxENSH_8EqualityElEE10hipError_tPvRmT2_T3_T4_T5_mT6_T7_P12ihipStream_tbENKUlT_T0_E_clISt17integral_constantIbLb0EES10_EEDaSV_SW_EUlSV_E_NS1_11comp_targetILNS1_3genE3ELNS1_11target_archE908ELNS1_3gpuE7ELNS1_3repE0EEENS1_30default_config_static_selectorELNS0_4arch9wavefront6targetE0EEEvT1_.kd
    .uniform_work_group_size: 1
    .uses_dynamic_stack: false
    .vgpr_count:     0
    .vgpr_spill_count: 0
    .wavefront_size: 32
  - .args:
      - .offset:         0
        .size:           136
        .value_kind:     by_value
    .group_segment_fixed_size: 0
    .kernarg_segment_align: 8
    .kernarg_segment_size: 136
    .language:       OpenCL C
    .language_version:
      - 2
      - 0
    .max_flat_workgroup_size: 256
    .name:           _ZN7rocprim17ROCPRIM_400000_NS6detail17trampoline_kernelINS0_14default_configENS1_27scan_by_key_config_selectorIllEEZZNS1_16scan_by_key_implILNS1_25lookback_scan_determinismE0ELb0ES3_N6thrust23THRUST_200600_302600_NS16reverse_iteratorIPKlEESD_NSA_IPlEElN6hipcub16HIPCUB_304000_NS3MaxENSH_8EqualityElEE10hipError_tPvRmT2_T3_T4_T5_mT6_T7_P12ihipStream_tbENKUlT_T0_E_clISt17integral_constantIbLb0EES10_EEDaSV_SW_EUlSV_E_NS1_11comp_targetILNS1_3genE2ELNS1_11target_archE906ELNS1_3gpuE6ELNS1_3repE0EEENS1_30default_config_static_selectorELNS0_4arch9wavefront6targetE0EEEvT1_
    .private_segment_fixed_size: 0
    .sgpr_count:     0
    .sgpr_spill_count: 0
    .symbol:         _ZN7rocprim17ROCPRIM_400000_NS6detail17trampoline_kernelINS0_14default_configENS1_27scan_by_key_config_selectorIllEEZZNS1_16scan_by_key_implILNS1_25lookback_scan_determinismE0ELb0ES3_N6thrust23THRUST_200600_302600_NS16reverse_iteratorIPKlEESD_NSA_IPlEElN6hipcub16HIPCUB_304000_NS3MaxENSH_8EqualityElEE10hipError_tPvRmT2_T3_T4_T5_mT6_T7_P12ihipStream_tbENKUlT_T0_E_clISt17integral_constantIbLb0EES10_EEDaSV_SW_EUlSV_E_NS1_11comp_targetILNS1_3genE2ELNS1_11target_archE906ELNS1_3gpuE6ELNS1_3repE0EEENS1_30default_config_static_selectorELNS0_4arch9wavefront6targetE0EEEvT1_.kd
    .uniform_work_group_size: 1
    .uses_dynamic_stack: false
    .vgpr_count:     0
    .vgpr_spill_count: 0
    .wavefront_size: 32
  - .args:
      - .offset:         0
        .size:           136
        .value_kind:     by_value
    .group_segment_fixed_size: 0
    .kernarg_segment_align: 8
    .kernarg_segment_size: 136
    .language:       OpenCL C
    .language_version:
      - 2
      - 0
    .max_flat_workgroup_size: 256
    .name:           _ZN7rocprim17ROCPRIM_400000_NS6detail17trampoline_kernelINS0_14default_configENS1_27scan_by_key_config_selectorIllEEZZNS1_16scan_by_key_implILNS1_25lookback_scan_determinismE0ELb0ES3_N6thrust23THRUST_200600_302600_NS16reverse_iteratorIPKlEESD_NSA_IPlEElN6hipcub16HIPCUB_304000_NS3MaxENSH_8EqualityElEE10hipError_tPvRmT2_T3_T4_T5_mT6_T7_P12ihipStream_tbENKUlT_T0_E_clISt17integral_constantIbLb0EES10_EEDaSV_SW_EUlSV_E_NS1_11comp_targetILNS1_3genE10ELNS1_11target_archE1200ELNS1_3gpuE4ELNS1_3repE0EEENS1_30default_config_static_selectorELNS0_4arch9wavefront6targetE0EEEvT1_
    .private_segment_fixed_size: 0
    .sgpr_count:     0
    .sgpr_spill_count: 0
    .symbol:         _ZN7rocprim17ROCPRIM_400000_NS6detail17trampoline_kernelINS0_14default_configENS1_27scan_by_key_config_selectorIllEEZZNS1_16scan_by_key_implILNS1_25lookback_scan_determinismE0ELb0ES3_N6thrust23THRUST_200600_302600_NS16reverse_iteratorIPKlEESD_NSA_IPlEElN6hipcub16HIPCUB_304000_NS3MaxENSH_8EqualityElEE10hipError_tPvRmT2_T3_T4_T5_mT6_T7_P12ihipStream_tbENKUlT_T0_E_clISt17integral_constantIbLb0EES10_EEDaSV_SW_EUlSV_E_NS1_11comp_targetILNS1_3genE10ELNS1_11target_archE1200ELNS1_3gpuE4ELNS1_3repE0EEENS1_30default_config_static_selectorELNS0_4arch9wavefront6targetE0EEEvT1_.kd
    .uniform_work_group_size: 1
    .uses_dynamic_stack: false
    .vgpr_count:     0
    .vgpr_spill_count: 0
    .wavefront_size: 32
  - .args:
      - .offset:         0
        .size:           136
        .value_kind:     by_value
    .group_segment_fixed_size: 0
    .kernarg_segment_align: 8
    .kernarg_segment_size: 136
    .language:       OpenCL C
    .language_version:
      - 2
      - 0
    .max_flat_workgroup_size: 256
    .name:           _ZN7rocprim17ROCPRIM_400000_NS6detail17trampoline_kernelINS0_14default_configENS1_27scan_by_key_config_selectorIllEEZZNS1_16scan_by_key_implILNS1_25lookback_scan_determinismE0ELb0ES3_N6thrust23THRUST_200600_302600_NS16reverse_iteratorIPKlEESD_NSA_IPlEElN6hipcub16HIPCUB_304000_NS3MaxENSH_8EqualityElEE10hipError_tPvRmT2_T3_T4_T5_mT6_T7_P12ihipStream_tbENKUlT_T0_E_clISt17integral_constantIbLb0EES10_EEDaSV_SW_EUlSV_E_NS1_11comp_targetILNS1_3genE9ELNS1_11target_archE1100ELNS1_3gpuE3ELNS1_3repE0EEENS1_30default_config_static_selectorELNS0_4arch9wavefront6targetE0EEEvT1_
    .private_segment_fixed_size: 0
    .sgpr_count:     0
    .sgpr_spill_count: 0
    .symbol:         _ZN7rocprim17ROCPRIM_400000_NS6detail17trampoline_kernelINS0_14default_configENS1_27scan_by_key_config_selectorIllEEZZNS1_16scan_by_key_implILNS1_25lookback_scan_determinismE0ELb0ES3_N6thrust23THRUST_200600_302600_NS16reverse_iteratorIPKlEESD_NSA_IPlEElN6hipcub16HIPCUB_304000_NS3MaxENSH_8EqualityElEE10hipError_tPvRmT2_T3_T4_T5_mT6_T7_P12ihipStream_tbENKUlT_T0_E_clISt17integral_constantIbLb0EES10_EEDaSV_SW_EUlSV_E_NS1_11comp_targetILNS1_3genE9ELNS1_11target_archE1100ELNS1_3gpuE3ELNS1_3repE0EEENS1_30default_config_static_selectorELNS0_4arch9wavefront6targetE0EEEvT1_.kd
    .uniform_work_group_size: 1
    .uses_dynamic_stack: false
    .vgpr_count:     0
    .vgpr_spill_count: 0
    .wavefront_size: 32
  - .args:
      - .offset:         0
        .size:           136
        .value_kind:     by_value
    .group_segment_fixed_size: 0
    .kernarg_segment_align: 8
    .kernarg_segment_size: 136
    .language:       OpenCL C
    .language_version:
      - 2
      - 0
    .max_flat_workgroup_size: 256
    .name:           _ZN7rocprim17ROCPRIM_400000_NS6detail17trampoline_kernelINS0_14default_configENS1_27scan_by_key_config_selectorIllEEZZNS1_16scan_by_key_implILNS1_25lookback_scan_determinismE0ELb0ES3_N6thrust23THRUST_200600_302600_NS16reverse_iteratorIPKlEESD_NSA_IPlEElN6hipcub16HIPCUB_304000_NS3MaxENSH_8EqualityElEE10hipError_tPvRmT2_T3_T4_T5_mT6_T7_P12ihipStream_tbENKUlT_T0_E_clISt17integral_constantIbLb0EES10_EEDaSV_SW_EUlSV_E_NS1_11comp_targetILNS1_3genE8ELNS1_11target_archE1030ELNS1_3gpuE2ELNS1_3repE0EEENS1_30default_config_static_selectorELNS0_4arch9wavefront6targetE0EEEvT1_
    .private_segment_fixed_size: 0
    .sgpr_count:     0
    .sgpr_spill_count: 0
    .symbol:         _ZN7rocprim17ROCPRIM_400000_NS6detail17trampoline_kernelINS0_14default_configENS1_27scan_by_key_config_selectorIllEEZZNS1_16scan_by_key_implILNS1_25lookback_scan_determinismE0ELb0ES3_N6thrust23THRUST_200600_302600_NS16reverse_iteratorIPKlEESD_NSA_IPlEElN6hipcub16HIPCUB_304000_NS3MaxENSH_8EqualityElEE10hipError_tPvRmT2_T3_T4_T5_mT6_T7_P12ihipStream_tbENKUlT_T0_E_clISt17integral_constantIbLb0EES10_EEDaSV_SW_EUlSV_E_NS1_11comp_targetILNS1_3genE8ELNS1_11target_archE1030ELNS1_3gpuE2ELNS1_3repE0EEENS1_30default_config_static_selectorELNS0_4arch9wavefront6targetE0EEEvT1_.kd
    .uniform_work_group_size: 1
    .uses_dynamic_stack: false
    .vgpr_count:     0
    .vgpr_spill_count: 0
    .wavefront_size: 32
  - .args:
      - .offset:         0
        .size:           24
        .value_kind:     by_value
      - .offset:         24
        .size:           4
        .value_kind:     by_value
      - .offset:         28
        .size:           4
        .value_kind:     by_value
      - .address_space:  global
        .offset:         32
        .size:           8
        .value_kind:     global_buffer
      - .address_space:  global
        .offset:         40
        .size:           8
        .value_kind:     global_buffer
      - .actual_access:  write_only
        .address_space:  global
        .offset:         48
        .size:           8
        .value_kind:     global_buffer
      - .offset:         56
        .size:           8
        .value_kind:     by_value
      - .offset:         64
        .size:           4
        .value_kind:     by_value
      - .address_space:  global
        .offset:         72
        .size:           8
        .value_kind:     global_buffer
      - .offset:         80
        .size:           4
        .value_kind:     hidden_block_count_x
      - .offset:         84
        .size:           4
        .value_kind:     hidden_block_count_y
      - .offset:         88
        .size:           4
        .value_kind:     hidden_block_count_z
      - .offset:         92
        .size:           2
        .value_kind:     hidden_group_size_x
      - .offset:         94
        .size:           2
        .value_kind:     hidden_group_size_y
      - .offset:         96
        .size:           2
        .value_kind:     hidden_group_size_z
      - .offset:         98
        .size:           2
        .value_kind:     hidden_remainder_x
      - .offset:         100
        .size:           2
        .value_kind:     hidden_remainder_y
      - .offset:         102
        .size:           2
        .value_kind:     hidden_remainder_z
      - .offset:         120
        .size:           8
        .value_kind:     hidden_global_offset_x
      - .offset:         128
        .size:           8
        .value_kind:     hidden_global_offset_y
      - .offset:         136
        .size:           8
        .value_kind:     hidden_global_offset_z
      - .offset:         144
        .size:           2
        .value_kind:     hidden_grid_dims
    .group_segment_fixed_size: 0
    .kernarg_segment_align: 8
    .kernarg_segment_size: 336
    .language:       OpenCL C
    .language_version:
      - 2
      - 0
    .max_flat_workgroup_size: 256
    .name:           _ZN7rocprim17ROCPRIM_400000_NS6detail30init_device_scan_by_key_kernelINS1_19lookback_scan_stateINS0_5tupleIJlbEEELb1ELb0EEEN6thrust23THRUST_200600_302600_NS16reverse_iteratorIPKlEEjNS1_16block_id_wrapperIjLb1EEEEEvT_jjPNSF_10value_typeET0_PNSt15iterator_traitsISI_E10value_typeEmT1_T2_
    .private_segment_fixed_size: 0
    .sgpr_count:     24
    .sgpr_spill_count: 0
    .symbol:         _ZN7rocprim17ROCPRIM_400000_NS6detail30init_device_scan_by_key_kernelINS1_19lookback_scan_stateINS0_5tupleIJlbEEELb1ELb0EEEN6thrust23THRUST_200600_302600_NS16reverse_iteratorIPKlEEjNS1_16block_id_wrapperIjLb1EEEEEvT_jjPNSF_10value_typeET0_PNSt15iterator_traitsISI_E10value_typeEmT1_T2_.kd
    .uniform_work_group_size: 1
    .uses_dynamic_stack: false
    .vgpr_count:     8
    .vgpr_spill_count: 0
    .wavefront_size: 32
  - .args:
      - .offset:         0
        .size:           136
        .value_kind:     by_value
    .group_segment_fixed_size: 0
    .kernarg_segment_align: 8
    .kernarg_segment_size: 136
    .language:       OpenCL C
    .language_version:
      - 2
      - 0
    .max_flat_workgroup_size: 256
    .name:           _ZN7rocprim17ROCPRIM_400000_NS6detail17trampoline_kernelINS0_14default_configENS1_27scan_by_key_config_selectorIllEEZZNS1_16scan_by_key_implILNS1_25lookback_scan_determinismE0ELb0ES3_N6thrust23THRUST_200600_302600_NS16reverse_iteratorIPKlEESD_NSA_IPlEElN6hipcub16HIPCUB_304000_NS3MaxENSH_8EqualityElEE10hipError_tPvRmT2_T3_T4_T5_mT6_T7_P12ihipStream_tbENKUlT_T0_E_clISt17integral_constantIbLb1EES10_EEDaSV_SW_EUlSV_E_NS1_11comp_targetILNS1_3genE0ELNS1_11target_archE4294967295ELNS1_3gpuE0ELNS1_3repE0EEENS1_30default_config_static_selectorELNS0_4arch9wavefront6targetE0EEEvT1_
    .private_segment_fixed_size: 0
    .sgpr_count:     0
    .sgpr_spill_count: 0
    .symbol:         _ZN7rocprim17ROCPRIM_400000_NS6detail17trampoline_kernelINS0_14default_configENS1_27scan_by_key_config_selectorIllEEZZNS1_16scan_by_key_implILNS1_25lookback_scan_determinismE0ELb0ES3_N6thrust23THRUST_200600_302600_NS16reverse_iteratorIPKlEESD_NSA_IPlEElN6hipcub16HIPCUB_304000_NS3MaxENSH_8EqualityElEE10hipError_tPvRmT2_T3_T4_T5_mT6_T7_P12ihipStream_tbENKUlT_T0_E_clISt17integral_constantIbLb1EES10_EEDaSV_SW_EUlSV_E_NS1_11comp_targetILNS1_3genE0ELNS1_11target_archE4294967295ELNS1_3gpuE0ELNS1_3repE0EEENS1_30default_config_static_selectorELNS0_4arch9wavefront6targetE0EEEvT1_.kd
    .uniform_work_group_size: 1
    .uses_dynamic_stack: false
    .vgpr_count:     0
    .vgpr_spill_count: 0
    .wavefront_size: 32
  - .args:
      - .offset:         0
        .size:           136
        .value_kind:     by_value
    .group_segment_fixed_size: 0
    .kernarg_segment_align: 8
    .kernarg_segment_size: 136
    .language:       OpenCL C
    .language_version:
      - 2
      - 0
    .max_flat_workgroup_size: 256
    .name:           _ZN7rocprim17ROCPRIM_400000_NS6detail17trampoline_kernelINS0_14default_configENS1_27scan_by_key_config_selectorIllEEZZNS1_16scan_by_key_implILNS1_25lookback_scan_determinismE0ELb0ES3_N6thrust23THRUST_200600_302600_NS16reverse_iteratorIPKlEESD_NSA_IPlEElN6hipcub16HIPCUB_304000_NS3MaxENSH_8EqualityElEE10hipError_tPvRmT2_T3_T4_T5_mT6_T7_P12ihipStream_tbENKUlT_T0_E_clISt17integral_constantIbLb1EES10_EEDaSV_SW_EUlSV_E_NS1_11comp_targetILNS1_3genE10ELNS1_11target_archE1201ELNS1_3gpuE5ELNS1_3repE0EEENS1_30default_config_static_selectorELNS0_4arch9wavefront6targetE0EEEvT1_
    .private_segment_fixed_size: 0
    .sgpr_count:     0
    .sgpr_spill_count: 0
    .symbol:         _ZN7rocprim17ROCPRIM_400000_NS6detail17trampoline_kernelINS0_14default_configENS1_27scan_by_key_config_selectorIllEEZZNS1_16scan_by_key_implILNS1_25lookback_scan_determinismE0ELb0ES3_N6thrust23THRUST_200600_302600_NS16reverse_iteratorIPKlEESD_NSA_IPlEElN6hipcub16HIPCUB_304000_NS3MaxENSH_8EqualityElEE10hipError_tPvRmT2_T3_T4_T5_mT6_T7_P12ihipStream_tbENKUlT_T0_E_clISt17integral_constantIbLb1EES10_EEDaSV_SW_EUlSV_E_NS1_11comp_targetILNS1_3genE10ELNS1_11target_archE1201ELNS1_3gpuE5ELNS1_3repE0EEENS1_30default_config_static_selectorELNS0_4arch9wavefront6targetE0EEEvT1_.kd
    .uniform_work_group_size: 1
    .uses_dynamic_stack: false
    .vgpr_count:     0
    .vgpr_spill_count: 0
    .wavefront_size: 32
  - .args:
      - .offset:         0
        .size:           136
        .value_kind:     by_value
    .group_segment_fixed_size: 0
    .kernarg_segment_align: 8
    .kernarg_segment_size: 136
    .language:       OpenCL C
    .language_version:
      - 2
      - 0
    .max_flat_workgroup_size: 256
    .name:           _ZN7rocprim17ROCPRIM_400000_NS6detail17trampoline_kernelINS0_14default_configENS1_27scan_by_key_config_selectorIllEEZZNS1_16scan_by_key_implILNS1_25lookback_scan_determinismE0ELb0ES3_N6thrust23THRUST_200600_302600_NS16reverse_iteratorIPKlEESD_NSA_IPlEElN6hipcub16HIPCUB_304000_NS3MaxENSH_8EqualityElEE10hipError_tPvRmT2_T3_T4_T5_mT6_T7_P12ihipStream_tbENKUlT_T0_E_clISt17integral_constantIbLb1EES10_EEDaSV_SW_EUlSV_E_NS1_11comp_targetILNS1_3genE5ELNS1_11target_archE942ELNS1_3gpuE9ELNS1_3repE0EEENS1_30default_config_static_selectorELNS0_4arch9wavefront6targetE0EEEvT1_
    .private_segment_fixed_size: 0
    .sgpr_count:     0
    .sgpr_spill_count: 0
    .symbol:         _ZN7rocprim17ROCPRIM_400000_NS6detail17trampoline_kernelINS0_14default_configENS1_27scan_by_key_config_selectorIllEEZZNS1_16scan_by_key_implILNS1_25lookback_scan_determinismE0ELb0ES3_N6thrust23THRUST_200600_302600_NS16reverse_iteratorIPKlEESD_NSA_IPlEElN6hipcub16HIPCUB_304000_NS3MaxENSH_8EqualityElEE10hipError_tPvRmT2_T3_T4_T5_mT6_T7_P12ihipStream_tbENKUlT_T0_E_clISt17integral_constantIbLb1EES10_EEDaSV_SW_EUlSV_E_NS1_11comp_targetILNS1_3genE5ELNS1_11target_archE942ELNS1_3gpuE9ELNS1_3repE0EEENS1_30default_config_static_selectorELNS0_4arch9wavefront6targetE0EEEvT1_.kd
    .uniform_work_group_size: 1
    .uses_dynamic_stack: false
    .vgpr_count:     0
    .vgpr_spill_count: 0
    .wavefront_size: 32
  - .args:
      - .offset:         0
        .size:           136
        .value_kind:     by_value
    .group_segment_fixed_size: 0
    .kernarg_segment_align: 8
    .kernarg_segment_size: 136
    .language:       OpenCL C
    .language_version:
      - 2
      - 0
    .max_flat_workgroup_size: 64
    .name:           _ZN7rocprim17ROCPRIM_400000_NS6detail17trampoline_kernelINS0_14default_configENS1_27scan_by_key_config_selectorIllEEZZNS1_16scan_by_key_implILNS1_25lookback_scan_determinismE0ELb0ES3_N6thrust23THRUST_200600_302600_NS16reverse_iteratorIPKlEESD_NSA_IPlEElN6hipcub16HIPCUB_304000_NS3MaxENSH_8EqualityElEE10hipError_tPvRmT2_T3_T4_T5_mT6_T7_P12ihipStream_tbENKUlT_T0_E_clISt17integral_constantIbLb1EES10_EEDaSV_SW_EUlSV_E_NS1_11comp_targetILNS1_3genE4ELNS1_11target_archE910ELNS1_3gpuE8ELNS1_3repE0EEENS1_30default_config_static_selectorELNS0_4arch9wavefront6targetE0EEEvT1_
    .private_segment_fixed_size: 0
    .sgpr_count:     0
    .sgpr_spill_count: 0
    .symbol:         _ZN7rocprim17ROCPRIM_400000_NS6detail17trampoline_kernelINS0_14default_configENS1_27scan_by_key_config_selectorIllEEZZNS1_16scan_by_key_implILNS1_25lookback_scan_determinismE0ELb0ES3_N6thrust23THRUST_200600_302600_NS16reverse_iteratorIPKlEESD_NSA_IPlEElN6hipcub16HIPCUB_304000_NS3MaxENSH_8EqualityElEE10hipError_tPvRmT2_T3_T4_T5_mT6_T7_P12ihipStream_tbENKUlT_T0_E_clISt17integral_constantIbLb1EES10_EEDaSV_SW_EUlSV_E_NS1_11comp_targetILNS1_3genE4ELNS1_11target_archE910ELNS1_3gpuE8ELNS1_3repE0EEENS1_30default_config_static_selectorELNS0_4arch9wavefront6targetE0EEEvT1_.kd
    .uniform_work_group_size: 1
    .uses_dynamic_stack: false
    .vgpr_count:     0
    .vgpr_spill_count: 0
    .wavefront_size: 32
  - .args:
      - .offset:         0
        .size:           136
        .value_kind:     by_value
    .group_segment_fixed_size: 0
    .kernarg_segment_align: 8
    .kernarg_segment_size: 136
    .language:       OpenCL C
    .language_version:
      - 2
      - 0
    .max_flat_workgroup_size: 256
    .name:           _ZN7rocprim17ROCPRIM_400000_NS6detail17trampoline_kernelINS0_14default_configENS1_27scan_by_key_config_selectorIllEEZZNS1_16scan_by_key_implILNS1_25lookback_scan_determinismE0ELb0ES3_N6thrust23THRUST_200600_302600_NS16reverse_iteratorIPKlEESD_NSA_IPlEElN6hipcub16HIPCUB_304000_NS3MaxENSH_8EqualityElEE10hipError_tPvRmT2_T3_T4_T5_mT6_T7_P12ihipStream_tbENKUlT_T0_E_clISt17integral_constantIbLb1EES10_EEDaSV_SW_EUlSV_E_NS1_11comp_targetILNS1_3genE3ELNS1_11target_archE908ELNS1_3gpuE7ELNS1_3repE0EEENS1_30default_config_static_selectorELNS0_4arch9wavefront6targetE0EEEvT1_
    .private_segment_fixed_size: 0
    .sgpr_count:     0
    .sgpr_spill_count: 0
    .symbol:         _ZN7rocprim17ROCPRIM_400000_NS6detail17trampoline_kernelINS0_14default_configENS1_27scan_by_key_config_selectorIllEEZZNS1_16scan_by_key_implILNS1_25lookback_scan_determinismE0ELb0ES3_N6thrust23THRUST_200600_302600_NS16reverse_iteratorIPKlEESD_NSA_IPlEElN6hipcub16HIPCUB_304000_NS3MaxENSH_8EqualityElEE10hipError_tPvRmT2_T3_T4_T5_mT6_T7_P12ihipStream_tbENKUlT_T0_E_clISt17integral_constantIbLb1EES10_EEDaSV_SW_EUlSV_E_NS1_11comp_targetILNS1_3genE3ELNS1_11target_archE908ELNS1_3gpuE7ELNS1_3repE0EEENS1_30default_config_static_selectorELNS0_4arch9wavefront6targetE0EEEvT1_.kd
    .uniform_work_group_size: 1
    .uses_dynamic_stack: false
    .vgpr_count:     0
    .vgpr_spill_count: 0
    .wavefront_size: 32
  - .args:
      - .offset:         0
        .size:           136
        .value_kind:     by_value
    .group_segment_fixed_size: 0
    .kernarg_segment_align: 8
    .kernarg_segment_size: 136
    .language:       OpenCL C
    .language_version:
      - 2
      - 0
    .max_flat_workgroup_size: 256
    .name:           _ZN7rocprim17ROCPRIM_400000_NS6detail17trampoline_kernelINS0_14default_configENS1_27scan_by_key_config_selectorIllEEZZNS1_16scan_by_key_implILNS1_25lookback_scan_determinismE0ELb0ES3_N6thrust23THRUST_200600_302600_NS16reverse_iteratorIPKlEESD_NSA_IPlEElN6hipcub16HIPCUB_304000_NS3MaxENSH_8EqualityElEE10hipError_tPvRmT2_T3_T4_T5_mT6_T7_P12ihipStream_tbENKUlT_T0_E_clISt17integral_constantIbLb1EES10_EEDaSV_SW_EUlSV_E_NS1_11comp_targetILNS1_3genE2ELNS1_11target_archE906ELNS1_3gpuE6ELNS1_3repE0EEENS1_30default_config_static_selectorELNS0_4arch9wavefront6targetE0EEEvT1_
    .private_segment_fixed_size: 0
    .sgpr_count:     0
    .sgpr_spill_count: 0
    .symbol:         _ZN7rocprim17ROCPRIM_400000_NS6detail17trampoline_kernelINS0_14default_configENS1_27scan_by_key_config_selectorIllEEZZNS1_16scan_by_key_implILNS1_25lookback_scan_determinismE0ELb0ES3_N6thrust23THRUST_200600_302600_NS16reverse_iteratorIPKlEESD_NSA_IPlEElN6hipcub16HIPCUB_304000_NS3MaxENSH_8EqualityElEE10hipError_tPvRmT2_T3_T4_T5_mT6_T7_P12ihipStream_tbENKUlT_T0_E_clISt17integral_constantIbLb1EES10_EEDaSV_SW_EUlSV_E_NS1_11comp_targetILNS1_3genE2ELNS1_11target_archE906ELNS1_3gpuE6ELNS1_3repE0EEENS1_30default_config_static_selectorELNS0_4arch9wavefront6targetE0EEEvT1_.kd
    .uniform_work_group_size: 1
    .uses_dynamic_stack: false
    .vgpr_count:     0
    .vgpr_spill_count: 0
    .wavefront_size: 32
  - .args:
      - .offset:         0
        .size:           136
        .value_kind:     by_value
    .group_segment_fixed_size: 0
    .kernarg_segment_align: 8
    .kernarg_segment_size: 136
    .language:       OpenCL C
    .language_version:
      - 2
      - 0
    .max_flat_workgroup_size: 256
    .name:           _ZN7rocprim17ROCPRIM_400000_NS6detail17trampoline_kernelINS0_14default_configENS1_27scan_by_key_config_selectorIllEEZZNS1_16scan_by_key_implILNS1_25lookback_scan_determinismE0ELb0ES3_N6thrust23THRUST_200600_302600_NS16reverse_iteratorIPKlEESD_NSA_IPlEElN6hipcub16HIPCUB_304000_NS3MaxENSH_8EqualityElEE10hipError_tPvRmT2_T3_T4_T5_mT6_T7_P12ihipStream_tbENKUlT_T0_E_clISt17integral_constantIbLb1EES10_EEDaSV_SW_EUlSV_E_NS1_11comp_targetILNS1_3genE10ELNS1_11target_archE1200ELNS1_3gpuE4ELNS1_3repE0EEENS1_30default_config_static_selectorELNS0_4arch9wavefront6targetE0EEEvT1_
    .private_segment_fixed_size: 0
    .sgpr_count:     0
    .sgpr_spill_count: 0
    .symbol:         _ZN7rocprim17ROCPRIM_400000_NS6detail17trampoline_kernelINS0_14default_configENS1_27scan_by_key_config_selectorIllEEZZNS1_16scan_by_key_implILNS1_25lookback_scan_determinismE0ELb0ES3_N6thrust23THRUST_200600_302600_NS16reverse_iteratorIPKlEESD_NSA_IPlEElN6hipcub16HIPCUB_304000_NS3MaxENSH_8EqualityElEE10hipError_tPvRmT2_T3_T4_T5_mT6_T7_P12ihipStream_tbENKUlT_T0_E_clISt17integral_constantIbLb1EES10_EEDaSV_SW_EUlSV_E_NS1_11comp_targetILNS1_3genE10ELNS1_11target_archE1200ELNS1_3gpuE4ELNS1_3repE0EEENS1_30default_config_static_selectorELNS0_4arch9wavefront6targetE0EEEvT1_.kd
    .uniform_work_group_size: 1
    .uses_dynamic_stack: false
    .vgpr_count:     0
    .vgpr_spill_count: 0
    .wavefront_size: 32
  - .args:
      - .offset:         0
        .size:           136
        .value_kind:     by_value
    .group_segment_fixed_size: 0
    .kernarg_segment_align: 8
    .kernarg_segment_size: 136
    .language:       OpenCL C
    .language_version:
      - 2
      - 0
    .max_flat_workgroup_size: 256
    .name:           _ZN7rocprim17ROCPRIM_400000_NS6detail17trampoline_kernelINS0_14default_configENS1_27scan_by_key_config_selectorIllEEZZNS1_16scan_by_key_implILNS1_25lookback_scan_determinismE0ELb0ES3_N6thrust23THRUST_200600_302600_NS16reverse_iteratorIPKlEESD_NSA_IPlEElN6hipcub16HIPCUB_304000_NS3MaxENSH_8EqualityElEE10hipError_tPvRmT2_T3_T4_T5_mT6_T7_P12ihipStream_tbENKUlT_T0_E_clISt17integral_constantIbLb1EES10_EEDaSV_SW_EUlSV_E_NS1_11comp_targetILNS1_3genE9ELNS1_11target_archE1100ELNS1_3gpuE3ELNS1_3repE0EEENS1_30default_config_static_selectorELNS0_4arch9wavefront6targetE0EEEvT1_
    .private_segment_fixed_size: 0
    .sgpr_count:     0
    .sgpr_spill_count: 0
    .symbol:         _ZN7rocprim17ROCPRIM_400000_NS6detail17trampoline_kernelINS0_14default_configENS1_27scan_by_key_config_selectorIllEEZZNS1_16scan_by_key_implILNS1_25lookback_scan_determinismE0ELb0ES3_N6thrust23THRUST_200600_302600_NS16reverse_iteratorIPKlEESD_NSA_IPlEElN6hipcub16HIPCUB_304000_NS3MaxENSH_8EqualityElEE10hipError_tPvRmT2_T3_T4_T5_mT6_T7_P12ihipStream_tbENKUlT_T0_E_clISt17integral_constantIbLb1EES10_EEDaSV_SW_EUlSV_E_NS1_11comp_targetILNS1_3genE9ELNS1_11target_archE1100ELNS1_3gpuE3ELNS1_3repE0EEENS1_30default_config_static_selectorELNS0_4arch9wavefront6targetE0EEEvT1_.kd
    .uniform_work_group_size: 1
    .uses_dynamic_stack: false
    .vgpr_count:     0
    .vgpr_spill_count: 0
    .wavefront_size: 32
  - .args:
      - .offset:         0
        .size:           136
        .value_kind:     by_value
    .group_segment_fixed_size: 0
    .kernarg_segment_align: 8
    .kernarg_segment_size: 136
    .language:       OpenCL C
    .language_version:
      - 2
      - 0
    .max_flat_workgroup_size: 256
    .name:           _ZN7rocprim17ROCPRIM_400000_NS6detail17trampoline_kernelINS0_14default_configENS1_27scan_by_key_config_selectorIllEEZZNS1_16scan_by_key_implILNS1_25lookback_scan_determinismE0ELb0ES3_N6thrust23THRUST_200600_302600_NS16reverse_iteratorIPKlEESD_NSA_IPlEElN6hipcub16HIPCUB_304000_NS3MaxENSH_8EqualityElEE10hipError_tPvRmT2_T3_T4_T5_mT6_T7_P12ihipStream_tbENKUlT_T0_E_clISt17integral_constantIbLb1EES10_EEDaSV_SW_EUlSV_E_NS1_11comp_targetILNS1_3genE8ELNS1_11target_archE1030ELNS1_3gpuE2ELNS1_3repE0EEENS1_30default_config_static_selectorELNS0_4arch9wavefront6targetE0EEEvT1_
    .private_segment_fixed_size: 0
    .sgpr_count:     0
    .sgpr_spill_count: 0
    .symbol:         _ZN7rocprim17ROCPRIM_400000_NS6detail17trampoline_kernelINS0_14default_configENS1_27scan_by_key_config_selectorIllEEZZNS1_16scan_by_key_implILNS1_25lookback_scan_determinismE0ELb0ES3_N6thrust23THRUST_200600_302600_NS16reverse_iteratorIPKlEESD_NSA_IPlEElN6hipcub16HIPCUB_304000_NS3MaxENSH_8EqualityElEE10hipError_tPvRmT2_T3_T4_T5_mT6_T7_P12ihipStream_tbENKUlT_T0_E_clISt17integral_constantIbLb1EES10_EEDaSV_SW_EUlSV_E_NS1_11comp_targetILNS1_3genE8ELNS1_11target_archE1030ELNS1_3gpuE2ELNS1_3repE0EEENS1_30default_config_static_selectorELNS0_4arch9wavefront6targetE0EEEvT1_.kd
    .uniform_work_group_size: 1
    .uses_dynamic_stack: false
    .vgpr_count:     0
    .vgpr_spill_count: 0
    .wavefront_size: 32
  - .args:
      - .offset:         0
        .size:           24
        .value_kind:     by_value
      - .offset:         24
        .size:           4
        .value_kind:     by_value
      - .offset:         28
        .size:           4
        .value_kind:     by_value
      - .address_space:  global
        .offset:         32
        .size:           8
        .value_kind:     global_buffer
      - .address_space:  global
        .offset:         40
        .size:           8
        .value_kind:     global_buffer
      - .actual_access:  write_only
        .address_space:  global
        .offset:         48
        .size:           8
        .value_kind:     global_buffer
      - .offset:         56
        .size:           8
        .value_kind:     by_value
      - .offset:         64
        .size:           4
        .value_kind:     by_value
      - .offset:         68
        .size:           1
        .value_kind:     by_value
      - .offset:         72
        .size:           4
        .value_kind:     hidden_block_count_x
      - .offset:         76
        .size:           4
        .value_kind:     hidden_block_count_y
      - .offset:         80
        .size:           4
        .value_kind:     hidden_block_count_z
      - .offset:         84
        .size:           2
        .value_kind:     hidden_group_size_x
      - .offset:         86
        .size:           2
        .value_kind:     hidden_group_size_y
      - .offset:         88
        .size:           2
        .value_kind:     hidden_group_size_z
      - .offset:         90
        .size:           2
        .value_kind:     hidden_remainder_x
      - .offset:         92
        .size:           2
        .value_kind:     hidden_remainder_y
      - .offset:         94
        .size:           2
        .value_kind:     hidden_remainder_z
      - .offset:         112
        .size:           8
        .value_kind:     hidden_global_offset_x
      - .offset:         120
        .size:           8
        .value_kind:     hidden_global_offset_y
      - .offset:         128
        .size:           8
        .value_kind:     hidden_global_offset_z
      - .offset:         136
        .size:           2
        .value_kind:     hidden_grid_dims
    .group_segment_fixed_size: 0
    .kernarg_segment_align: 8
    .kernarg_segment_size: 328
    .language:       OpenCL C
    .language_version:
      - 2
      - 0
    .max_flat_workgroup_size: 256
    .name:           _ZN7rocprim17ROCPRIM_400000_NS6detail30init_device_scan_by_key_kernelINS1_19lookback_scan_stateINS0_5tupleIJlbEEELb1ELb0EEEN6thrust23THRUST_200600_302600_NS16reverse_iteratorIPKlEEjNS1_16block_id_wrapperIjLb0EEEEEvT_jjPNSF_10value_typeET0_PNSt15iterator_traitsISI_E10value_typeEmT1_T2_
    .private_segment_fixed_size: 0
    .sgpr_count:     24
    .sgpr_spill_count: 0
    .symbol:         _ZN7rocprim17ROCPRIM_400000_NS6detail30init_device_scan_by_key_kernelINS1_19lookback_scan_stateINS0_5tupleIJlbEEELb1ELb0EEEN6thrust23THRUST_200600_302600_NS16reverse_iteratorIPKlEEjNS1_16block_id_wrapperIjLb0EEEEEvT_jjPNSF_10value_typeET0_PNSt15iterator_traitsISI_E10value_typeEmT1_T2_.kd
    .uniform_work_group_size: 1
    .uses_dynamic_stack: false
    .vgpr_count:     8
    .vgpr_spill_count: 0
    .wavefront_size: 32
  - .args:
      - .offset:         0
        .size:           136
        .value_kind:     by_value
    .group_segment_fixed_size: 0
    .kernarg_segment_align: 8
    .kernarg_segment_size: 136
    .language:       OpenCL C
    .language_version:
      - 2
      - 0
    .max_flat_workgroup_size: 256
    .name:           _ZN7rocprim17ROCPRIM_400000_NS6detail17trampoline_kernelINS0_14default_configENS1_27scan_by_key_config_selectorIllEEZZNS1_16scan_by_key_implILNS1_25lookback_scan_determinismE0ELb0ES3_N6thrust23THRUST_200600_302600_NS16reverse_iteratorIPKlEESD_NSA_IPlEElN6hipcub16HIPCUB_304000_NS3MaxENSH_8EqualityElEE10hipError_tPvRmT2_T3_T4_T5_mT6_T7_P12ihipStream_tbENKUlT_T0_E_clISt17integral_constantIbLb1EESZ_IbLb0EEEEDaSV_SW_EUlSV_E_NS1_11comp_targetILNS1_3genE0ELNS1_11target_archE4294967295ELNS1_3gpuE0ELNS1_3repE0EEENS1_30default_config_static_selectorELNS0_4arch9wavefront6targetE0EEEvT1_
    .private_segment_fixed_size: 0
    .sgpr_count:     0
    .sgpr_spill_count: 0
    .symbol:         _ZN7rocprim17ROCPRIM_400000_NS6detail17trampoline_kernelINS0_14default_configENS1_27scan_by_key_config_selectorIllEEZZNS1_16scan_by_key_implILNS1_25lookback_scan_determinismE0ELb0ES3_N6thrust23THRUST_200600_302600_NS16reverse_iteratorIPKlEESD_NSA_IPlEElN6hipcub16HIPCUB_304000_NS3MaxENSH_8EqualityElEE10hipError_tPvRmT2_T3_T4_T5_mT6_T7_P12ihipStream_tbENKUlT_T0_E_clISt17integral_constantIbLb1EESZ_IbLb0EEEEDaSV_SW_EUlSV_E_NS1_11comp_targetILNS1_3genE0ELNS1_11target_archE4294967295ELNS1_3gpuE0ELNS1_3repE0EEENS1_30default_config_static_selectorELNS0_4arch9wavefront6targetE0EEEvT1_.kd
    .uniform_work_group_size: 1
    .uses_dynamic_stack: false
    .vgpr_count:     0
    .vgpr_spill_count: 0
    .wavefront_size: 32
  - .args:
      - .offset:         0
        .size:           136
        .value_kind:     by_value
    .group_segment_fixed_size: 0
    .kernarg_segment_align: 8
    .kernarg_segment_size: 136
    .language:       OpenCL C
    .language_version:
      - 2
      - 0
    .max_flat_workgroup_size: 256
    .name:           _ZN7rocprim17ROCPRIM_400000_NS6detail17trampoline_kernelINS0_14default_configENS1_27scan_by_key_config_selectorIllEEZZNS1_16scan_by_key_implILNS1_25lookback_scan_determinismE0ELb0ES3_N6thrust23THRUST_200600_302600_NS16reverse_iteratorIPKlEESD_NSA_IPlEElN6hipcub16HIPCUB_304000_NS3MaxENSH_8EqualityElEE10hipError_tPvRmT2_T3_T4_T5_mT6_T7_P12ihipStream_tbENKUlT_T0_E_clISt17integral_constantIbLb1EESZ_IbLb0EEEEDaSV_SW_EUlSV_E_NS1_11comp_targetILNS1_3genE10ELNS1_11target_archE1201ELNS1_3gpuE5ELNS1_3repE0EEENS1_30default_config_static_selectorELNS0_4arch9wavefront6targetE0EEEvT1_
    .private_segment_fixed_size: 0
    .sgpr_count:     0
    .sgpr_spill_count: 0
    .symbol:         _ZN7rocprim17ROCPRIM_400000_NS6detail17trampoline_kernelINS0_14default_configENS1_27scan_by_key_config_selectorIllEEZZNS1_16scan_by_key_implILNS1_25lookback_scan_determinismE0ELb0ES3_N6thrust23THRUST_200600_302600_NS16reverse_iteratorIPKlEESD_NSA_IPlEElN6hipcub16HIPCUB_304000_NS3MaxENSH_8EqualityElEE10hipError_tPvRmT2_T3_T4_T5_mT6_T7_P12ihipStream_tbENKUlT_T0_E_clISt17integral_constantIbLb1EESZ_IbLb0EEEEDaSV_SW_EUlSV_E_NS1_11comp_targetILNS1_3genE10ELNS1_11target_archE1201ELNS1_3gpuE5ELNS1_3repE0EEENS1_30default_config_static_selectorELNS0_4arch9wavefront6targetE0EEEvT1_.kd
    .uniform_work_group_size: 1
    .uses_dynamic_stack: false
    .vgpr_count:     0
    .vgpr_spill_count: 0
    .wavefront_size: 32
  - .args:
      - .offset:         0
        .size:           136
        .value_kind:     by_value
    .group_segment_fixed_size: 0
    .kernarg_segment_align: 8
    .kernarg_segment_size: 136
    .language:       OpenCL C
    .language_version:
      - 2
      - 0
    .max_flat_workgroup_size: 256
    .name:           _ZN7rocprim17ROCPRIM_400000_NS6detail17trampoline_kernelINS0_14default_configENS1_27scan_by_key_config_selectorIllEEZZNS1_16scan_by_key_implILNS1_25lookback_scan_determinismE0ELb0ES3_N6thrust23THRUST_200600_302600_NS16reverse_iteratorIPKlEESD_NSA_IPlEElN6hipcub16HIPCUB_304000_NS3MaxENSH_8EqualityElEE10hipError_tPvRmT2_T3_T4_T5_mT6_T7_P12ihipStream_tbENKUlT_T0_E_clISt17integral_constantIbLb1EESZ_IbLb0EEEEDaSV_SW_EUlSV_E_NS1_11comp_targetILNS1_3genE5ELNS1_11target_archE942ELNS1_3gpuE9ELNS1_3repE0EEENS1_30default_config_static_selectorELNS0_4arch9wavefront6targetE0EEEvT1_
    .private_segment_fixed_size: 0
    .sgpr_count:     0
    .sgpr_spill_count: 0
    .symbol:         _ZN7rocprim17ROCPRIM_400000_NS6detail17trampoline_kernelINS0_14default_configENS1_27scan_by_key_config_selectorIllEEZZNS1_16scan_by_key_implILNS1_25lookback_scan_determinismE0ELb0ES3_N6thrust23THRUST_200600_302600_NS16reverse_iteratorIPKlEESD_NSA_IPlEElN6hipcub16HIPCUB_304000_NS3MaxENSH_8EqualityElEE10hipError_tPvRmT2_T3_T4_T5_mT6_T7_P12ihipStream_tbENKUlT_T0_E_clISt17integral_constantIbLb1EESZ_IbLb0EEEEDaSV_SW_EUlSV_E_NS1_11comp_targetILNS1_3genE5ELNS1_11target_archE942ELNS1_3gpuE9ELNS1_3repE0EEENS1_30default_config_static_selectorELNS0_4arch9wavefront6targetE0EEEvT1_.kd
    .uniform_work_group_size: 1
    .uses_dynamic_stack: false
    .vgpr_count:     0
    .vgpr_spill_count: 0
    .wavefront_size: 32
  - .args:
      - .offset:         0
        .size:           136
        .value_kind:     by_value
    .group_segment_fixed_size: 0
    .kernarg_segment_align: 8
    .kernarg_segment_size: 136
    .language:       OpenCL C
    .language_version:
      - 2
      - 0
    .max_flat_workgroup_size: 64
    .name:           _ZN7rocprim17ROCPRIM_400000_NS6detail17trampoline_kernelINS0_14default_configENS1_27scan_by_key_config_selectorIllEEZZNS1_16scan_by_key_implILNS1_25lookback_scan_determinismE0ELb0ES3_N6thrust23THRUST_200600_302600_NS16reverse_iteratorIPKlEESD_NSA_IPlEElN6hipcub16HIPCUB_304000_NS3MaxENSH_8EqualityElEE10hipError_tPvRmT2_T3_T4_T5_mT6_T7_P12ihipStream_tbENKUlT_T0_E_clISt17integral_constantIbLb1EESZ_IbLb0EEEEDaSV_SW_EUlSV_E_NS1_11comp_targetILNS1_3genE4ELNS1_11target_archE910ELNS1_3gpuE8ELNS1_3repE0EEENS1_30default_config_static_selectorELNS0_4arch9wavefront6targetE0EEEvT1_
    .private_segment_fixed_size: 0
    .sgpr_count:     0
    .sgpr_spill_count: 0
    .symbol:         _ZN7rocprim17ROCPRIM_400000_NS6detail17trampoline_kernelINS0_14default_configENS1_27scan_by_key_config_selectorIllEEZZNS1_16scan_by_key_implILNS1_25lookback_scan_determinismE0ELb0ES3_N6thrust23THRUST_200600_302600_NS16reverse_iteratorIPKlEESD_NSA_IPlEElN6hipcub16HIPCUB_304000_NS3MaxENSH_8EqualityElEE10hipError_tPvRmT2_T3_T4_T5_mT6_T7_P12ihipStream_tbENKUlT_T0_E_clISt17integral_constantIbLb1EESZ_IbLb0EEEEDaSV_SW_EUlSV_E_NS1_11comp_targetILNS1_3genE4ELNS1_11target_archE910ELNS1_3gpuE8ELNS1_3repE0EEENS1_30default_config_static_selectorELNS0_4arch9wavefront6targetE0EEEvT1_.kd
    .uniform_work_group_size: 1
    .uses_dynamic_stack: false
    .vgpr_count:     0
    .vgpr_spill_count: 0
    .wavefront_size: 32
  - .args:
      - .offset:         0
        .size:           136
        .value_kind:     by_value
    .group_segment_fixed_size: 0
    .kernarg_segment_align: 8
    .kernarg_segment_size: 136
    .language:       OpenCL C
    .language_version:
      - 2
      - 0
    .max_flat_workgroup_size: 256
    .name:           _ZN7rocprim17ROCPRIM_400000_NS6detail17trampoline_kernelINS0_14default_configENS1_27scan_by_key_config_selectorIllEEZZNS1_16scan_by_key_implILNS1_25lookback_scan_determinismE0ELb0ES3_N6thrust23THRUST_200600_302600_NS16reverse_iteratorIPKlEESD_NSA_IPlEElN6hipcub16HIPCUB_304000_NS3MaxENSH_8EqualityElEE10hipError_tPvRmT2_T3_T4_T5_mT6_T7_P12ihipStream_tbENKUlT_T0_E_clISt17integral_constantIbLb1EESZ_IbLb0EEEEDaSV_SW_EUlSV_E_NS1_11comp_targetILNS1_3genE3ELNS1_11target_archE908ELNS1_3gpuE7ELNS1_3repE0EEENS1_30default_config_static_selectorELNS0_4arch9wavefront6targetE0EEEvT1_
    .private_segment_fixed_size: 0
    .sgpr_count:     0
    .sgpr_spill_count: 0
    .symbol:         _ZN7rocprim17ROCPRIM_400000_NS6detail17trampoline_kernelINS0_14default_configENS1_27scan_by_key_config_selectorIllEEZZNS1_16scan_by_key_implILNS1_25lookback_scan_determinismE0ELb0ES3_N6thrust23THRUST_200600_302600_NS16reverse_iteratorIPKlEESD_NSA_IPlEElN6hipcub16HIPCUB_304000_NS3MaxENSH_8EqualityElEE10hipError_tPvRmT2_T3_T4_T5_mT6_T7_P12ihipStream_tbENKUlT_T0_E_clISt17integral_constantIbLb1EESZ_IbLb0EEEEDaSV_SW_EUlSV_E_NS1_11comp_targetILNS1_3genE3ELNS1_11target_archE908ELNS1_3gpuE7ELNS1_3repE0EEENS1_30default_config_static_selectorELNS0_4arch9wavefront6targetE0EEEvT1_.kd
    .uniform_work_group_size: 1
    .uses_dynamic_stack: false
    .vgpr_count:     0
    .vgpr_spill_count: 0
    .wavefront_size: 32
  - .args:
      - .offset:         0
        .size:           136
        .value_kind:     by_value
    .group_segment_fixed_size: 0
    .kernarg_segment_align: 8
    .kernarg_segment_size: 136
    .language:       OpenCL C
    .language_version:
      - 2
      - 0
    .max_flat_workgroup_size: 256
    .name:           _ZN7rocprim17ROCPRIM_400000_NS6detail17trampoline_kernelINS0_14default_configENS1_27scan_by_key_config_selectorIllEEZZNS1_16scan_by_key_implILNS1_25lookback_scan_determinismE0ELb0ES3_N6thrust23THRUST_200600_302600_NS16reverse_iteratorIPKlEESD_NSA_IPlEElN6hipcub16HIPCUB_304000_NS3MaxENSH_8EqualityElEE10hipError_tPvRmT2_T3_T4_T5_mT6_T7_P12ihipStream_tbENKUlT_T0_E_clISt17integral_constantIbLb1EESZ_IbLb0EEEEDaSV_SW_EUlSV_E_NS1_11comp_targetILNS1_3genE2ELNS1_11target_archE906ELNS1_3gpuE6ELNS1_3repE0EEENS1_30default_config_static_selectorELNS0_4arch9wavefront6targetE0EEEvT1_
    .private_segment_fixed_size: 0
    .sgpr_count:     0
    .sgpr_spill_count: 0
    .symbol:         _ZN7rocprim17ROCPRIM_400000_NS6detail17trampoline_kernelINS0_14default_configENS1_27scan_by_key_config_selectorIllEEZZNS1_16scan_by_key_implILNS1_25lookback_scan_determinismE0ELb0ES3_N6thrust23THRUST_200600_302600_NS16reverse_iteratorIPKlEESD_NSA_IPlEElN6hipcub16HIPCUB_304000_NS3MaxENSH_8EqualityElEE10hipError_tPvRmT2_T3_T4_T5_mT6_T7_P12ihipStream_tbENKUlT_T0_E_clISt17integral_constantIbLb1EESZ_IbLb0EEEEDaSV_SW_EUlSV_E_NS1_11comp_targetILNS1_3genE2ELNS1_11target_archE906ELNS1_3gpuE6ELNS1_3repE0EEENS1_30default_config_static_selectorELNS0_4arch9wavefront6targetE0EEEvT1_.kd
    .uniform_work_group_size: 1
    .uses_dynamic_stack: false
    .vgpr_count:     0
    .vgpr_spill_count: 0
    .wavefront_size: 32
  - .args:
      - .offset:         0
        .size:           136
        .value_kind:     by_value
    .group_segment_fixed_size: 0
    .kernarg_segment_align: 8
    .kernarg_segment_size: 136
    .language:       OpenCL C
    .language_version:
      - 2
      - 0
    .max_flat_workgroup_size: 256
    .name:           _ZN7rocprim17ROCPRIM_400000_NS6detail17trampoline_kernelINS0_14default_configENS1_27scan_by_key_config_selectorIllEEZZNS1_16scan_by_key_implILNS1_25lookback_scan_determinismE0ELb0ES3_N6thrust23THRUST_200600_302600_NS16reverse_iteratorIPKlEESD_NSA_IPlEElN6hipcub16HIPCUB_304000_NS3MaxENSH_8EqualityElEE10hipError_tPvRmT2_T3_T4_T5_mT6_T7_P12ihipStream_tbENKUlT_T0_E_clISt17integral_constantIbLb1EESZ_IbLb0EEEEDaSV_SW_EUlSV_E_NS1_11comp_targetILNS1_3genE10ELNS1_11target_archE1200ELNS1_3gpuE4ELNS1_3repE0EEENS1_30default_config_static_selectorELNS0_4arch9wavefront6targetE0EEEvT1_
    .private_segment_fixed_size: 0
    .sgpr_count:     0
    .sgpr_spill_count: 0
    .symbol:         _ZN7rocprim17ROCPRIM_400000_NS6detail17trampoline_kernelINS0_14default_configENS1_27scan_by_key_config_selectorIllEEZZNS1_16scan_by_key_implILNS1_25lookback_scan_determinismE0ELb0ES3_N6thrust23THRUST_200600_302600_NS16reverse_iteratorIPKlEESD_NSA_IPlEElN6hipcub16HIPCUB_304000_NS3MaxENSH_8EqualityElEE10hipError_tPvRmT2_T3_T4_T5_mT6_T7_P12ihipStream_tbENKUlT_T0_E_clISt17integral_constantIbLb1EESZ_IbLb0EEEEDaSV_SW_EUlSV_E_NS1_11comp_targetILNS1_3genE10ELNS1_11target_archE1200ELNS1_3gpuE4ELNS1_3repE0EEENS1_30default_config_static_selectorELNS0_4arch9wavefront6targetE0EEEvT1_.kd
    .uniform_work_group_size: 1
    .uses_dynamic_stack: false
    .vgpr_count:     0
    .vgpr_spill_count: 0
    .wavefront_size: 32
  - .args:
      - .offset:         0
        .size:           136
        .value_kind:     by_value
    .group_segment_fixed_size: 0
    .kernarg_segment_align: 8
    .kernarg_segment_size: 136
    .language:       OpenCL C
    .language_version:
      - 2
      - 0
    .max_flat_workgroup_size: 256
    .name:           _ZN7rocprim17ROCPRIM_400000_NS6detail17trampoline_kernelINS0_14default_configENS1_27scan_by_key_config_selectorIllEEZZNS1_16scan_by_key_implILNS1_25lookback_scan_determinismE0ELb0ES3_N6thrust23THRUST_200600_302600_NS16reverse_iteratorIPKlEESD_NSA_IPlEElN6hipcub16HIPCUB_304000_NS3MaxENSH_8EqualityElEE10hipError_tPvRmT2_T3_T4_T5_mT6_T7_P12ihipStream_tbENKUlT_T0_E_clISt17integral_constantIbLb1EESZ_IbLb0EEEEDaSV_SW_EUlSV_E_NS1_11comp_targetILNS1_3genE9ELNS1_11target_archE1100ELNS1_3gpuE3ELNS1_3repE0EEENS1_30default_config_static_selectorELNS0_4arch9wavefront6targetE0EEEvT1_
    .private_segment_fixed_size: 0
    .sgpr_count:     0
    .sgpr_spill_count: 0
    .symbol:         _ZN7rocprim17ROCPRIM_400000_NS6detail17trampoline_kernelINS0_14default_configENS1_27scan_by_key_config_selectorIllEEZZNS1_16scan_by_key_implILNS1_25lookback_scan_determinismE0ELb0ES3_N6thrust23THRUST_200600_302600_NS16reverse_iteratorIPKlEESD_NSA_IPlEElN6hipcub16HIPCUB_304000_NS3MaxENSH_8EqualityElEE10hipError_tPvRmT2_T3_T4_T5_mT6_T7_P12ihipStream_tbENKUlT_T0_E_clISt17integral_constantIbLb1EESZ_IbLb0EEEEDaSV_SW_EUlSV_E_NS1_11comp_targetILNS1_3genE9ELNS1_11target_archE1100ELNS1_3gpuE3ELNS1_3repE0EEENS1_30default_config_static_selectorELNS0_4arch9wavefront6targetE0EEEvT1_.kd
    .uniform_work_group_size: 1
    .uses_dynamic_stack: false
    .vgpr_count:     0
    .vgpr_spill_count: 0
    .wavefront_size: 32
  - .args:
      - .offset:         0
        .size:           136
        .value_kind:     by_value
    .group_segment_fixed_size: 0
    .kernarg_segment_align: 8
    .kernarg_segment_size: 136
    .language:       OpenCL C
    .language_version:
      - 2
      - 0
    .max_flat_workgroup_size: 256
    .name:           _ZN7rocprim17ROCPRIM_400000_NS6detail17trampoline_kernelINS0_14default_configENS1_27scan_by_key_config_selectorIllEEZZNS1_16scan_by_key_implILNS1_25lookback_scan_determinismE0ELb0ES3_N6thrust23THRUST_200600_302600_NS16reverse_iteratorIPKlEESD_NSA_IPlEElN6hipcub16HIPCUB_304000_NS3MaxENSH_8EqualityElEE10hipError_tPvRmT2_T3_T4_T5_mT6_T7_P12ihipStream_tbENKUlT_T0_E_clISt17integral_constantIbLb1EESZ_IbLb0EEEEDaSV_SW_EUlSV_E_NS1_11comp_targetILNS1_3genE8ELNS1_11target_archE1030ELNS1_3gpuE2ELNS1_3repE0EEENS1_30default_config_static_selectorELNS0_4arch9wavefront6targetE0EEEvT1_
    .private_segment_fixed_size: 0
    .sgpr_count:     0
    .sgpr_spill_count: 0
    .symbol:         _ZN7rocprim17ROCPRIM_400000_NS6detail17trampoline_kernelINS0_14default_configENS1_27scan_by_key_config_selectorIllEEZZNS1_16scan_by_key_implILNS1_25lookback_scan_determinismE0ELb0ES3_N6thrust23THRUST_200600_302600_NS16reverse_iteratorIPKlEESD_NSA_IPlEElN6hipcub16HIPCUB_304000_NS3MaxENSH_8EqualityElEE10hipError_tPvRmT2_T3_T4_T5_mT6_T7_P12ihipStream_tbENKUlT_T0_E_clISt17integral_constantIbLb1EESZ_IbLb0EEEEDaSV_SW_EUlSV_E_NS1_11comp_targetILNS1_3genE8ELNS1_11target_archE1030ELNS1_3gpuE2ELNS1_3repE0EEENS1_30default_config_static_selectorELNS0_4arch9wavefront6targetE0EEEvT1_.kd
    .uniform_work_group_size: 1
    .uses_dynamic_stack: false
    .vgpr_count:     0
    .vgpr_spill_count: 0
    .wavefront_size: 32
  - .args:
      - .offset:         0
        .size:           24
        .value_kind:     by_value
      - .offset:         24
        .size:           4
        .value_kind:     by_value
      - .offset:         28
        .size:           4
        .value_kind:     by_value
      - .address_space:  global
        .offset:         32
        .size:           8
        .value_kind:     global_buffer
      - .address_space:  global
        .offset:         40
        .size:           8
        .value_kind:     global_buffer
      - .actual_access:  write_only
        .address_space:  global
        .offset:         48
        .size:           8
        .value_kind:     global_buffer
      - .offset:         56
        .size:           8
        .value_kind:     by_value
      - .offset:         64
        .size:           4
        .value_kind:     by_value
      - .address_space:  global
        .offset:         72
        .size:           8
        .value_kind:     global_buffer
      - .offset:         80
        .size:           4
        .value_kind:     hidden_block_count_x
      - .offset:         84
        .size:           4
        .value_kind:     hidden_block_count_y
      - .offset:         88
        .size:           4
        .value_kind:     hidden_block_count_z
      - .offset:         92
        .size:           2
        .value_kind:     hidden_group_size_x
      - .offset:         94
        .size:           2
        .value_kind:     hidden_group_size_y
      - .offset:         96
        .size:           2
        .value_kind:     hidden_group_size_z
      - .offset:         98
        .size:           2
        .value_kind:     hidden_remainder_x
      - .offset:         100
        .size:           2
        .value_kind:     hidden_remainder_y
      - .offset:         102
        .size:           2
        .value_kind:     hidden_remainder_z
      - .offset:         120
        .size:           8
        .value_kind:     hidden_global_offset_x
      - .offset:         128
        .size:           8
        .value_kind:     hidden_global_offset_y
      - .offset:         136
        .size:           8
        .value_kind:     hidden_global_offset_z
      - .offset:         144
        .size:           2
        .value_kind:     hidden_grid_dims
    .group_segment_fixed_size: 0
    .kernarg_segment_align: 8
    .kernarg_segment_size: 336
    .language:       OpenCL C
    .language_version:
      - 2
      - 0
    .max_flat_workgroup_size: 256
    .name:           _ZN7rocprim17ROCPRIM_400000_NS6detail30init_device_scan_by_key_kernelINS1_19lookback_scan_stateINS0_5tupleIJlbEEELb0ELb0EEEN6thrust23THRUST_200600_302600_NS16reverse_iteratorIPKlEEjNS1_16block_id_wrapperIjLb1EEEEEvT_jjPNSF_10value_typeET0_PNSt15iterator_traitsISI_E10value_typeEmT1_T2_
    .private_segment_fixed_size: 0
    .sgpr_count:     23
    .sgpr_spill_count: 0
    .symbol:         _ZN7rocprim17ROCPRIM_400000_NS6detail30init_device_scan_by_key_kernelINS1_19lookback_scan_stateINS0_5tupleIJlbEEELb0ELb0EEEN6thrust23THRUST_200600_302600_NS16reverse_iteratorIPKlEEjNS1_16block_id_wrapperIjLb1EEEEEvT_jjPNSF_10value_typeET0_PNSt15iterator_traitsISI_E10value_typeEmT1_T2_.kd
    .uniform_work_group_size: 1
    .uses_dynamic_stack: false
    .vgpr_count:     8
    .vgpr_spill_count: 0
    .wavefront_size: 32
  - .args:
      - .offset:         0
        .size:           136
        .value_kind:     by_value
    .group_segment_fixed_size: 32768
    .kernarg_segment_align: 8
    .kernarg_segment_size: 136
    .language:       OpenCL C
    .language_version:
      - 2
      - 0
    .max_flat_workgroup_size: 256
    .name:           _ZN7rocprim17ROCPRIM_400000_NS6detail17trampoline_kernelINS0_14default_configENS1_27scan_by_key_config_selectorIllEEZZNS1_16scan_by_key_implILNS1_25lookback_scan_determinismE0ELb0ES3_N6thrust23THRUST_200600_302600_NS16reverse_iteratorIPKlEESD_NSA_IPlEElN6hipcub16HIPCUB_304000_NS3MaxENSH_8EqualityElEE10hipError_tPvRmT2_T3_T4_T5_mT6_T7_P12ihipStream_tbENKUlT_T0_E_clISt17integral_constantIbLb0EESZ_IbLb1EEEEDaSV_SW_EUlSV_E_NS1_11comp_targetILNS1_3genE0ELNS1_11target_archE4294967295ELNS1_3gpuE0ELNS1_3repE0EEENS1_30default_config_static_selectorELNS0_4arch9wavefront6targetE0EEEvT1_
    .private_segment_fixed_size: 0
    .sgpr_count:     65
    .sgpr_spill_count: 0
    .symbol:         _ZN7rocprim17ROCPRIM_400000_NS6detail17trampoline_kernelINS0_14default_configENS1_27scan_by_key_config_selectorIllEEZZNS1_16scan_by_key_implILNS1_25lookback_scan_determinismE0ELb0ES3_N6thrust23THRUST_200600_302600_NS16reverse_iteratorIPKlEESD_NSA_IPlEElN6hipcub16HIPCUB_304000_NS3MaxENSH_8EqualityElEE10hipError_tPvRmT2_T3_T4_T5_mT6_T7_P12ihipStream_tbENKUlT_T0_E_clISt17integral_constantIbLb0EESZ_IbLb1EEEEDaSV_SW_EUlSV_E_NS1_11comp_targetILNS1_3genE0ELNS1_11target_archE4294967295ELNS1_3gpuE0ELNS1_3repE0EEENS1_30default_config_static_selectorELNS0_4arch9wavefront6targetE0EEEvT1_.kd
    .uniform_work_group_size: 1
    .uses_dynamic_stack: false
    .vgpr_count:     108
    .vgpr_spill_count: 0
    .wavefront_size: 32
  - .args:
      - .offset:         0
        .size:           136
        .value_kind:     by_value
    .group_segment_fixed_size: 0
    .kernarg_segment_align: 8
    .kernarg_segment_size: 136
    .language:       OpenCL C
    .language_version:
      - 2
      - 0
    .max_flat_workgroup_size: 256
    .name:           _ZN7rocprim17ROCPRIM_400000_NS6detail17trampoline_kernelINS0_14default_configENS1_27scan_by_key_config_selectorIllEEZZNS1_16scan_by_key_implILNS1_25lookback_scan_determinismE0ELb0ES3_N6thrust23THRUST_200600_302600_NS16reverse_iteratorIPKlEESD_NSA_IPlEElN6hipcub16HIPCUB_304000_NS3MaxENSH_8EqualityElEE10hipError_tPvRmT2_T3_T4_T5_mT6_T7_P12ihipStream_tbENKUlT_T0_E_clISt17integral_constantIbLb0EESZ_IbLb1EEEEDaSV_SW_EUlSV_E_NS1_11comp_targetILNS1_3genE10ELNS1_11target_archE1201ELNS1_3gpuE5ELNS1_3repE0EEENS1_30default_config_static_selectorELNS0_4arch9wavefront6targetE0EEEvT1_
    .private_segment_fixed_size: 0
    .sgpr_count:     0
    .sgpr_spill_count: 0
    .symbol:         _ZN7rocprim17ROCPRIM_400000_NS6detail17trampoline_kernelINS0_14default_configENS1_27scan_by_key_config_selectorIllEEZZNS1_16scan_by_key_implILNS1_25lookback_scan_determinismE0ELb0ES3_N6thrust23THRUST_200600_302600_NS16reverse_iteratorIPKlEESD_NSA_IPlEElN6hipcub16HIPCUB_304000_NS3MaxENSH_8EqualityElEE10hipError_tPvRmT2_T3_T4_T5_mT6_T7_P12ihipStream_tbENKUlT_T0_E_clISt17integral_constantIbLb0EESZ_IbLb1EEEEDaSV_SW_EUlSV_E_NS1_11comp_targetILNS1_3genE10ELNS1_11target_archE1201ELNS1_3gpuE5ELNS1_3repE0EEENS1_30default_config_static_selectorELNS0_4arch9wavefront6targetE0EEEvT1_.kd
    .uniform_work_group_size: 1
    .uses_dynamic_stack: false
    .vgpr_count:     0
    .vgpr_spill_count: 0
    .wavefront_size: 32
  - .args:
      - .offset:         0
        .size:           136
        .value_kind:     by_value
    .group_segment_fixed_size: 0
    .kernarg_segment_align: 8
    .kernarg_segment_size: 136
    .language:       OpenCL C
    .language_version:
      - 2
      - 0
    .max_flat_workgroup_size: 256
    .name:           _ZN7rocprim17ROCPRIM_400000_NS6detail17trampoline_kernelINS0_14default_configENS1_27scan_by_key_config_selectorIllEEZZNS1_16scan_by_key_implILNS1_25lookback_scan_determinismE0ELb0ES3_N6thrust23THRUST_200600_302600_NS16reverse_iteratorIPKlEESD_NSA_IPlEElN6hipcub16HIPCUB_304000_NS3MaxENSH_8EqualityElEE10hipError_tPvRmT2_T3_T4_T5_mT6_T7_P12ihipStream_tbENKUlT_T0_E_clISt17integral_constantIbLb0EESZ_IbLb1EEEEDaSV_SW_EUlSV_E_NS1_11comp_targetILNS1_3genE5ELNS1_11target_archE942ELNS1_3gpuE9ELNS1_3repE0EEENS1_30default_config_static_selectorELNS0_4arch9wavefront6targetE0EEEvT1_
    .private_segment_fixed_size: 0
    .sgpr_count:     0
    .sgpr_spill_count: 0
    .symbol:         _ZN7rocprim17ROCPRIM_400000_NS6detail17trampoline_kernelINS0_14default_configENS1_27scan_by_key_config_selectorIllEEZZNS1_16scan_by_key_implILNS1_25lookback_scan_determinismE0ELb0ES3_N6thrust23THRUST_200600_302600_NS16reverse_iteratorIPKlEESD_NSA_IPlEElN6hipcub16HIPCUB_304000_NS3MaxENSH_8EqualityElEE10hipError_tPvRmT2_T3_T4_T5_mT6_T7_P12ihipStream_tbENKUlT_T0_E_clISt17integral_constantIbLb0EESZ_IbLb1EEEEDaSV_SW_EUlSV_E_NS1_11comp_targetILNS1_3genE5ELNS1_11target_archE942ELNS1_3gpuE9ELNS1_3repE0EEENS1_30default_config_static_selectorELNS0_4arch9wavefront6targetE0EEEvT1_.kd
    .uniform_work_group_size: 1
    .uses_dynamic_stack: false
    .vgpr_count:     0
    .vgpr_spill_count: 0
    .wavefront_size: 32
  - .args:
      - .offset:         0
        .size:           136
        .value_kind:     by_value
    .group_segment_fixed_size: 0
    .kernarg_segment_align: 8
    .kernarg_segment_size: 136
    .language:       OpenCL C
    .language_version:
      - 2
      - 0
    .max_flat_workgroup_size: 64
    .name:           _ZN7rocprim17ROCPRIM_400000_NS6detail17trampoline_kernelINS0_14default_configENS1_27scan_by_key_config_selectorIllEEZZNS1_16scan_by_key_implILNS1_25lookback_scan_determinismE0ELb0ES3_N6thrust23THRUST_200600_302600_NS16reverse_iteratorIPKlEESD_NSA_IPlEElN6hipcub16HIPCUB_304000_NS3MaxENSH_8EqualityElEE10hipError_tPvRmT2_T3_T4_T5_mT6_T7_P12ihipStream_tbENKUlT_T0_E_clISt17integral_constantIbLb0EESZ_IbLb1EEEEDaSV_SW_EUlSV_E_NS1_11comp_targetILNS1_3genE4ELNS1_11target_archE910ELNS1_3gpuE8ELNS1_3repE0EEENS1_30default_config_static_selectorELNS0_4arch9wavefront6targetE0EEEvT1_
    .private_segment_fixed_size: 0
    .sgpr_count:     0
    .sgpr_spill_count: 0
    .symbol:         _ZN7rocprim17ROCPRIM_400000_NS6detail17trampoline_kernelINS0_14default_configENS1_27scan_by_key_config_selectorIllEEZZNS1_16scan_by_key_implILNS1_25lookback_scan_determinismE0ELb0ES3_N6thrust23THRUST_200600_302600_NS16reverse_iteratorIPKlEESD_NSA_IPlEElN6hipcub16HIPCUB_304000_NS3MaxENSH_8EqualityElEE10hipError_tPvRmT2_T3_T4_T5_mT6_T7_P12ihipStream_tbENKUlT_T0_E_clISt17integral_constantIbLb0EESZ_IbLb1EEEEDaSV_SW_EUlSV_E_NS1_11comp_targetILNS1_3genE4ELNS1_11target_archE910ELNS1_3gpuE8ELNS1_3repE0EEENS1_30default_config_static_selectorELNS0_4arch9wavefront6targetE0EEEvT1_.kd
    .uniform_work_group_size: 1
    .uses_dynamic_stack: false
    .vgpr_count:     0
    .vgpr_spill_count: 0
    .wavefront_size: 32
  - .args:
      - .offset:         0
        .size:           136
        .value_kind:     by_value
    .group_segment_fixed_size: 0
    .kernarg_segment_align: 8
    .kernarg_segment_size: 136
    .language:       OpenCL C
    .language_version:
      - 2
      - 0
    .max_flat_workgroup_size: 256
    .name:           _ZN7rocprim17ROCPRIM_400000_NS6detail17trampoline_kernelINS0_14default_configENS1_27scan_by_key_config_selectorIllEEZZNS1_16scan_by_key_implILNS1_25lookback_scan_determinismE0ELb0ES3_N6thrust23THRUST_200600_302600_NS16reverse_iteratorIPKlEESD_NSA_IPlEElN6hipcub16HIPCUB_304000_NS3MaxENSH_8EqualityElEE10hipError_tPvRmT2_T3_T4_T5_mT6_T7_P12ihipStream_tbENKUlT_T0_E_clISt17integral_constantIbLb0EESZ_IbLb1EEEEDaSV_SW_EUlSV_E_NS1_11comp_targetILNS1_3genE3ELNS1_11target_archE908ELNS1_3gpuE7ELNS1_3repE0EEENS1_30default_config_static_selectorELNS0_4arch9wavefront6targetE0EEEvT1_
    .private_segment_fixed_size: 0
    .sgpr_count:     0
    .sgpr_spill_count: 0
    .symbol:         _ZN7rocprim17ROCPRIM_400000_NS6detail17trampoline_kernelINS0_14default_configENS1_27scan_by_key_config_selectorIllEEZZNS1_16scan_by_key_implILNS1_25lookback_scan_determinismE0ELb0ES3_N6thrust23THRUST_200600_302600_NS16reverse_iteratorIPKlEESD_NSA_IPlEElN6hipcub16HIPCUB_304000_NS3MaxENSH_8EqualityElEE10hipError_tPvRmT2_T3_T4_T5_mT6_T7_P12ihipStream_tbENKUlT_T0_E_clISt17integral_constantIbLb0EESZ_IbLb1EEEEDaSV_SW_EUlSV_E_NS1_11comp_targetILNS1_3genE3ELNS1_11target_archE908ELNS1_3gpuE7ELNS1_3repE0EEENS1_30default_config_static_selectorELNS0_4arch9wavefront6targetE0EEEvT1_.kd
    .uniform_work_group_size: 1
    .uses_dynamic_stack: false
    .vgpr_count:     0
    .vgpr_spill_count: 0
    .wavefront_size: 32
  - .args:
      - .offset:         0
        .size:           136
        .value_kind:     by_value
    .group_segment_fixed_size: 0
    .kernarg_segment_align: 8
    .kernarg_segment_size: 136
    .language:       OpenCL C
    .language_version:
      - 2
      - 0
    .max_flat_workgroup_size: 256
    .name:           _ZN7rocprim17ROCPRIM_400000_NS6detail17trampoline_kernelINS0_14default_configENS1_27scan_by_key_config_selectorIllEEZZNS1_16scan_by_key_implILNS1_25lookback_scan_determinismE0ELb0ES3_N6thrust23THRUST_200600_302600_NS16reverse_iteratorIPKlEESD_NSA_IPlEElN6hipcub16HIPCUB_304000_NS3MaxENSH_8EqualityElEE10hipError_tPvRmT2_T3_T4_T5_mT6_T7_P12ihipStream_tbENKUlT_T0_E_clISt17integral_constantIbLb0EESZ_IbLb1EEEEDaSV_SW_EUlSV_E_NS1_11comp_targetILNS1_3genE2ELNS1_11target_archE906ELNS1_3gpuE6ELNS1_3repE0EEENS1_30default_config_static_selectorELNS0_4arch9wavefront6targetE0EEEvT1_
    .private_segment_fixed_size: 0
    .sgpr_count:     0
    .sgpr_spill_count: 0
    .symbol:         _ZN7rocprim17ROCPRIM_400000_NS6detail17trampoline_kernelINS0_14default_configENS1_27scan_by_key_config_selectorIllEEZZNS1_16scan_by_key_implILNS1_25lookback_scan_determinismE0ELb0ES3_N6thrust23THRUST_200600_302600_NS16reverse_iteratorIPKlEESD_NSA_IPlEElN6hipcub16HIPCUB_304000_NS3MaxENSH_8EqualityElEE10hipError_tPvRmT2_T3_T4_T5_mT6_T7_P12ihipStream_tbENKUlT_T0_E_clISt17integral_constantIbLb0EESZ_IbLb1EEEEDaSV_SW_EUlSV_E_NS1_11comp_targetILNS1_3genE2ELNS1_11target_archE906ELNS1_3gpuE6ELNS1_3repE0EEENS1_30default_config_static_selectorELNS0_4arch9wavefront6targetE0EEEvT1_.kd
    .uniform_work_group_size: 1
    .uses_dynamic_stack: false
    .vgpr_count:     0
    .vgpr_spill_count: 0
    .wavefront_size: 32
  - .args:
      - .offset:         0
        .size:           136
        .value_kind:     by_value
    .group_segment_fixed_size: 0
    .kernarg_segment_align: 8
    .kernarg_segment_size: 136
    .language:       OpenCL C
    .language_version:
      - 2
      - 0
    .max_flat_workgroup_size: 256
    .name:           _ZN7rocprim17ROCPRIM_400000_NS6detail17trampoline_kernelINS0_14default_configENS1_27scan_by_key_config_selectorIllEEZZNS1_16scan_by_key_implILNS1_25lookback_scan_determinismE0ELb0ES3_N6thrust23THRUST_200600_302600_NS16reverse_iteratorIPKlEESD_NSA_IPlEElN6hipcub16HIPCUB_304000_NS3MaxENSH_8EqualityElEE10hipError_tPvRmT2_T3_T4_T5_mT6_T7_P12ihipStream_tbENKUlT_T0_E_clISt17integral_constantIbLb0EESZ_IbLb1EEEEDaSV_SW_EUlSV_E_NS1_11comp_targetILNS1_3genE10ELNS1_11target_archE1200ELNS1_3gpuE4ELNS1_3repE0EEENS1_30default_config_static_selectorELNS0_4arch9wavefront6targetE0EEEvT1_
    .private_segment_fixed_size: 0
    .sgpr_count:     0
    .sgpr_spill_count: 0
    .symbol:         _ZN7rocprim17ROCPRIM_400000_NS6detail17trampoline_kernelINS0_14default_configENS1_27scan_by_key_config_selectorIllEEZZNS1_16scan_by_key_implILNS1_25lookback_scan_determinismE0ELb0ES3_N6thrust23THRUST_200600_302600_NS16reverse_iteratorIPKlEESD_NSA_IPlEElN6hipcub16HIPCUB_304000_NS3MaxENSH_8EqualityElEE10hipError_tPvRmT2_T3_T4_T5_mT6_T7_P12ihipStream_tbENKUlT_T0_E_clISt17integral_constantIbLb0EESZ_IbLb1EEEEDaSV_SW_EUlSV_E_NS1_11comp_targetILNS1_3genE10ELNS1_11target_archE1200ELNS1_3gpuE4ELNS1_3repE0EEENS1_30default_config_static_selectorELNS0_4arch9wavefront6targetE0EEEvT1_.kd
    .uniform_work_group_size: 1
    .uses_dynamic_stack: false
    .vgpr_count:     0
    .vgpr_spill_count: 0
    .wavefront_size: 32
  - .args:
      - .offset:         0
        .size:           136
        .value_kind:     by_value
    .group_segment_fixed_size: 0
    .kernarg_segment_align: 8
    .kernarg_segment_size: 136
    .language:       OpenCL C
    .language_version:
      - 2
      - 0
    .max_flat_workgroup_size: 256
    .name:           _ZN7rocprim17ROCPRIM_400000_NS6detail17trampoline_kernelINS0_14default_configENS1_27scan_by_key_config_selectorIllEEZZNS1_16scan_by_key_implILNS1_25lookback_scan_determinismE0ELb0ES3_N6thrust23THRUST_200600_302600_NS16reverse_iteratorIPKlEESD_NSA_IPlEElN6hipcub16HIPCUB_304000_NS3MaxENSH_8EqualityElEE10hipError_tPvRmT2_T3_T4_T5_mT6_T7_P12ihipStream_tbENKUlT_T0_E_clISt17integral_constantIbLb0EESZ_IbLb1EEEEDaSV_SW_EUlSV_E_NS1_11comp_targetILNS1_3genE9ELNS1_11target_archE1100ELNS1_3gpuE3ELNS1_3repE0EEENS1_30default_config_static_selectorELNS0_4arch9wavefront6targetE0EEEvT1_
    .private_segment_fixed_size: 0
    .sgpr_count:     0
    .sgpr_spill_count: 0
    .symbol:         _ZN7rocprim17ROCPRIM_400000_NS6detail17trampoline_kernelINS0_14default_configENS1_27scan_by_key_config_selectorIllEEZZNS1_16scan_by_key_implILNS1_25lookback_scan_determinismE0ELb0ES3_N6thrust23THRUST_200600_302600_NS16reverse_iteratorIPKlEESD_NSA_IPlEElN6hipcub16HIPCUB_304000_NS3MaxENSH_8EqualityElEE10hipError_tPvRmT2_T3_T4_T5_mT6_T7_P12ihipStream_tbENKUlT_T0_E_clISt17integral_constantIbLb0EESZ_IbLb1EEEEDaSV_SW_EUlSV_E_NS1_11comp_targetILNS1_3genE9ELNS1_11target_archE1100ELNS1_3gpuE3ELNS1_3repE0EEENS1_30default_config_static_selectorELNS0_4arch9wavefront6targetE0EEEvT1_.kd
    .uniform_work_group_size: 1
    .uses_dynamic_stack: false
    .vgpr_count:     0
    .vgpr_spill_count: 0
    .wavefront_size: 32
  - .args:
      - .offset:         0
        .size:           136
        .value_kind:     by_value
    .group_segment_fixed_size: 0
    .kernarg_segment_align: 8
    .kernarg_segment_size: 136
    .language:       OpenCL C
    .language_version:
      - 2
      - 0
    .max_flat_workgroup_size: 256
    .name:           _ZN7rocprim17ROCPRIM_400000_NS6detail17trampoline_kernelINS0_14default_configENS1_27scan_by_key_config_selectorIllEEZZNS1_16scan_by_key_implILNS1_25lookback_scan_determinismE0ELb0ES3_N6thrust23THRUST_200600_302600_NS16reverse_iteratorIPKlEESD_NSA_IPlEElN6hipcub16HIPCUB_304000_NS3MaxENSH_8EqualityElEE10hipError_tPvRmT2_T3_T4_T5_mT6_T7_P12ihipStream_tbENKUlT_T0_E_clISt17integral_constantIbLb0EESZ_IbLb1EEEEDaSV_SW_EUlSV_E_NS1_11comp_targetILNS1_3genE8ELNS1_11target_archE1030ELNS1_3gpuE2ELNS1_3repE0EEENS1_30default_config_static_selectorELNS0_4arch9wavefront6targetE0EEEvT1_
    .private_segment_fixed_size: 0
    .sgpr_count:     0
    .sgpr_spill_count: 0
    .symbol:         _ZN7rocprim17ROCPRIM_400000_NS6detail17trampoline_kernelINS0_14default_configENS1_27scan_by_key_config_selectorIllEEZZNS1_16scan_by_key_implILNS1_25lookback_scan_determinismE0ELb0ES3_N6thrust23THRUST_200600_302600_NS16reverse_iteratorIPKlEESD_NSA_IPlEElN6hipcub16HIPCUB_304000_NS3MaxENSH_8EqualityElEE10hipError_tPvRmT2_T3_T4_T5_mT6_T7_P12ihipStream_tbENKUlT_T0_E_clISt17integral_constantIbLb0EESZ_IbLb1EEEEDaSV_SW_EUlSV_E_NS1_11comp_targetILNS1_3genE8ELNS1_11target_archE1030ELNS1_3gpuE2ELNS1_3repE0EEENS1_30default_config_static_selectorELNS0_4arch9wavefront6targetE0EEEvT1_.kd
    .uniform_work_group_size: 1
    .uses_dynamic_stack: false
    .vgpr_count:     0
    .vgpr_spill_count: 0
    .wavefront_size: 32
  - .args:
      - .address_space:  global
        .offset:         0
        .size:           8
        .value_kind:     global_buffer
      - .address_space:  global
        .offset:         8
        .size:           8
        .value_kind:     global_buffer
      - .offset:         16
        .size:           8
        .value_kind:     by_value
      - .offset:         24
        .size:           8
        .value_kind:     by_value
      - .offset:         32
        .size:           4
        .value_kind:     hidden_block_count_x
      - .offset:         36
        .size:           4
        .value_kind:     hidden_block_count_y
      - .offset:         40
        .size:           4
        .value_kind:     hidden_block_count_z
      - .offset:         44
        .size:           2
        .value_kind:     hidden_group_size_x
      - .offset:         46
        .size:           2
        .value_kind:     hidden_group_size_y
      - .offset:         48
        .size:           2
        .value_kind:     hidden_group_size_z
      - .offset:         50
        .size:           2
        .value_kind:     hidden_remainder_x
      - .offset:         52
        .size:           2
        .value_kind:     hidden_remainder_y
      - .offset:         54
        .size:           2
        .value_kind:     hidden_remainder_z
      - .offset:         72
        .size:           8
        .value_kind:     hidden_global_offset_x
      - .offset:         80
        .size:           8
        .value_kind:     hidden_global_offset_y
      - .offset:         88
        .size:           8
        .value_kind:     hidden_global_offset_z
      - .offset:         96
        .size:           2
        .value_kind:     hidden_grid_dims
    .group_segment_fixed_size: 0
    .kernarg_segment_align: 8
    .kernarg_segment_size: 288
    .language:       OpenCL C
    .language_version:
      - 2
      - 0
    .max_flat_workgroup_size: 1024
    .name:           _ZN2at6native12_GLOBAL__N_136embedding_renorm_wrap_indices_kernelIiEEvPKT_PS3_ll
    .private_segment_fixed_size: 0
    .sgpr_count:     15
    .sgpr_spill_count: 0
    .symbol:         _ZN2at6native12_GLOBAL__N_136embedding_renorm_wrap_indices_kernelIiEEvPKT_PS3_ll.kd
    .uniform_work_group_size: 1
    .uses_dynamic_stack: false
    .vgpr_count:     4
    .vgpr_spill_count: 0
    .wavefront_size: 32
  - .args:
      - .address_space:  global
        .offset:         0
        .size:           8
        .value_kind:     global_buffer
      - .offset:         8
        .size:           4
        .value_kind:     by_value
      - .offset:         12
        .size:           1
        .value_kind:     by_value
      - .offset:         16
        .size:           4
        .value_kind:     by_value
      - .address_space:  global
        .offset:         24
        .size:           8
        .value_kind:     global_buffer
      - .offset:         32
        .size:           4
        .value_kind:     hidden_block_count_x
      - .offset:         36
        .size:           4
        .value_kind:     hidden_block_count_y
      - .offset:         40
        .size:           4
        .value_kind:     hidden_block_count_z
      - .offset:         44
        .size:           2
        .value_kind:     hidden_group_size_x
      - .offset:         46
        .size:           2
        .value_kind:     hidden_group_size_y
      - .offset:         48
        .size:           2
        .value_kind:     hidden_group_size_z
      - .offset:         50
        .size:           2
        .value_kind:     hidden_remainder_x
      - .offset:         52
        .size:           2
        .value_kind:     hidden_remainder_y
      - .offset:         54
        .size:           2
        .value_kind:     hidden_remainder_z
      - .offset:         72
        .size:           8
        .value_kind:     hidden_global_offset_x
      - .offset:         80
        .size:           8
        .value_kind:     hidden_global_offset_y
      - .offset:         88
        .size:           8
        .value_kind:     hidden_global_offset_z
      - .offset:         96
        .size:           2
        .value_kind:     hidden_grid_dims
    .group_segment_fixed_size: 0
    .kernarg_segment_align: 8
    .kernarg_segment_size: 288
    .language:       OpenCL C
    .language_version:
      - 2
      - 0
    .max_flat_workgroup_size: 256
    .name:           _ZN7rocprim17ROCPRIM_400000_NS6detail31init_lookback_scan_state_kernelINS1_19lookback_scan_stateIjLb0ELb1EEENS1_16block_id_wrapperIjLb0EEEEEvT_jT0_jPNS7_10value_typeE
    .private_segment_fixed_size: 0
    .sgpr_count:     13
    .sgpr_spill_count: 0
    .symbol:         _ZN7rocprim17ROCPRIM_400000_NS6detail31init_lookback_scan_state_kernelINS1_19lookback_scan_stateIjLb0ELb1EEENS1_16block_id_wrapperIjLb0EEEEEvT_jT0_jPNS7_10value_typeE.kd
    .uniform_work_group_size: 1
    .uses_dynamic_stack: false
    .vgpr_count:     5
    .vgpr_spill_count: 0
    .wavefront_size: 32
  - .args:
      - .offset:         0
        .size:           112
        .value_kind:     by_value
    .group_segment_fixed_size: 22536
    .kernarg_segment_align: 8
    .kernarg_segment_size: 112
    .language:       OpenCL C
    .language_version:
      - 2
      - 0
    .max_flat_workgroup_size: 512
    .name:           _ZN7rocprim17ROCPRIM_400000_NS6detail17trampoline_kernelINS0_14default_configENS1_25partition_config_selectorILNS1_17partition_subalgoE8EiNS0_10empty_typeEbEEZZNS1_14partition_implILS5_8ELb0ES3_jPKiPS6_PKS6_NS0_5tupleIJPiS6_EEENSE_IJSB_SB_EEENS0_18inequality_wrapperIN6hipcub16HIPCUB_304000_NS8EqualityEEEPlJS6_EEE10hipError_tPvRmT3_T4_T5_T6_T7_T9_mT8_P12ihipStream_tbDpT10_ENKUlT_T0_E_clISt17integral_constantIbLb0EES17_EEDaS12_S13_EUlS12_E_NS1_11comp_targetILNS1_3genE0ELNS1_11target_archE4294967295ELNS1_3gpuE0ELNS1_3repE0EEENS1_30default_config_static_selectorELNS0_4arch9wavefront6targetE0EEEvT1_
    .private_segment_fixed_size: 0
    .sgpr_count:     32
    .sgpr_spill_count: 0
    .symbol:         _ZN7rocprim17ROCPRIM_400000_NS6detail17trampoline_kernelINS0_14default_configENS1_25partition_config_selectorILNS1_17partition_subalgoE8EiNS0_10empty_typeEbEEZZNS1_14partition_implILS5_8ELb0ES3_jPKiPS6_PKS6_NS0_5tupleIJPiS6_EEENSE_IJSB_SB_EEENS0_18inequality_wrapperIN6hipcub16HIPCUB_304000_NS8EqualityEEEPlJS6_EEE10hipError_tPvRmT3_T4_T5_T6_T7_T9_mT8_P12ihipStream_tbDpT10_ENKUlT_T0_E_clISt17integral_constantIbLb0EES17_EEDaS12_S13_EUlS12_E_NS1_11comp_targetILNS1_3genE0ELNS1_11target_archE4294967295ELNS1_3gpuE0ELNS1_3repE0EEENS1_30default_config_static_selectorELNS0_4arch9wavefront6targetE0EEEvT1_.kd
    .uniform_work_group_size: 1
    .uses_dynamic_stack: false
    .vgpr_count:     58
    .vgpr_spill_count: 0
    .wavefront_size: 32
  - .args:
      - .offset:         0
        .size:           112
        .value_kind:     by_value
    .group_segment_fixed_size: 0
    .kernarg_segment_align: 8
    .kernarg_segment_size: 112
    .language:       OpenCL C
    .language_version:
      - 2
      - 0
    .max_flat_workgroup_size: 512
    .name:           _ZN7rocprim17ROCPRIM_400000_NS6detail17trampoline_kernelINS0_14default_configENS1_25partition_config_selectorILNS1_17partition_subalgoE8EiNS0_10empty_typeEbEEZZNS1_14partition_implILS5_8ELb0ES3_jPKiPS6_PKS6_NS0_5tupleIJPiS6_EEENSE_IJSB_SB_EEENS0_18inequality_wrapperIN6hipcub16HIPCUB_304000_NS8EqualityEEEPlJS6_EEE10hipError_tPvRmT3_T4_T5_T6_T7_T9_mT8_P12ihipStream_tbDpT10_ENKUlT_T0_E_clISt17integral_constantIbLb0EES17_EEDaS12_S13_EUlS12_E_NS1_11comp_targetILNS1_3genE5ELNS1_11target_archE942ELNS1_3gpuE9ELNS1_3repE0EEENS1_30default_config_static_selectorELNS0_4arch9wavefront6targetE0EEEvT1_
    .private_segment_fixed_size: 0
    .sgpr_count:     0
    .sgpr_spill_count: 0
    .symbol:         _ZN7rocprim17ROCPRIM_400000_NS6detail17trampoline_kernelINS0_14default_configENS1_25partition_config_selectorILNS1_17partition_subalgoE8EiNS0_10empty_typeEbEEZZNS1_14partition_implILS5_8ELb0ES3_jPKiPS6_PKS6_NS0_5tupleIJPiS6_EEENSE_IJSB_SB_EEENS0_18inequality_wrapperIN6hipcub16HIPCUB_304000_NS8EqualityEEEPlJS6_EEE10hipError_tPvRmT3_T4_T5_T6_T7_T9_mT8_P12ihipStream_tbDpT10_ENKUlT_T0_E_clISt17integral_constantIbLb0EES17_EEDaS12_S13_EUlS12_E_NS1_11comp_targetILNS1_3genE5ELNS1_11target_archE942ELNS1_3gpuE9ELNS1_3repE0EEENS1_30default_config_static_selectorELNS0_4arch9wavefront6targetE0EEEvT1_.kd
    .uniform_work_group_size: 1
    .uses_dynamic_stack: false
    .vgpr_count:     0
    .vgpr_spill_count: 0
    .wavefront_size: 32
  - .args:
      - .offset:         0
        .size:           112
        .value_kind:     by_value
    .group_segment_fixed_size: 0
    .kernarg_segment_align: 8
    .kernarg_segment_size: 112
    .language:       OpenCL C
    .language_version:
      - 2
      - 0
    .max_flat_workgroup_size: 256
    .name:           _ZN7rocprim17ROCPRIM_400000_NS6detail17trampoline_kernelINS0_14default_configENS1_25partition_config_selectorILNS1_17partition_subalgoE8EiNS0_10empty_typeEbEEZZNS1_14partition_implILS5_8ELb0ES3_jPKiPS6_PKS6_NS0_5tupleIJPiS6_EEENSE_IJSB_SB_EEENS0_18inequality_wrapperIN6hipcub16HIPCUB_304000_NS8EqualityEEEPlJS6_EEE10hipError_tPvRmT3_T4_T5_T6_T7_T9_mT8_P12ihipStream_tbDpT10_ENKUlT_T0_E_clISt17integral_constantIbLb0EES17_EEDaS12_S13_EUlS12_E_NS1_11comp_targetILNS1_3genE4ELNS1_11target_archE910ELNS1_3gpuE8ELNS1_3repE0EEENS1_30default_config_static_selectorELNS0_4arch9wavefront6targetE0EEEvT1_
    .private_segment_fixed_size: 0
    .sgpr_count:     0
    .sgpr_spill_count: 0
    .symbol:         _ZN7rocprim17ROCPRIM_400000_NS6detail17trampoline_kernelINS0_14default_configENS1_25partition_config_selectorILNS1_17partition_subalgoE8EiNS0_10empty_typeEbEEZZNS1_14partition_implILS5_8ELb0ES3_jPKiPS6_PKS6_NS0_5tupleIJPiS6_EEENSE_IJSB_SB_EEENS0_18inequality_wrapperIN6hipcub16HIPCUB_304000_NS8EqualityEEEPlJS6_EEE10hipError_tPvRmT3_T4_T5_T6_T7_T9_mT8_P12ihipStream_tbDpT10_ENKUlT_T0_E_clISt17integral_constantIbLb0EES17_EEDaS12_S13_EUlS12_E_NS1_11comp_targetILNS1_3genE4ELNS1_11target_archE910ELNS1_3gpuE8ELNS1_3repE0EEENS1_30default_config_static_selectorELNS0_4arch9wavefront6targetE0EEEvT1_.kd
    .uniform_work_group_size: 1
    .uses_dynamic_stack: false
    .vgpr_count:     0
    .vgpr_spill_count: 0
    .wavefront_size: 32
  - .args:
      - .offset:         0
        .size:           112
        .value_kind:     by_value
    .group_segment_fixed_size: 0
    .kernarg_segment_align: 8
    .kernarg_segment_size: 112
    .language:       OpenCL C
    .language_version:
      - 2
      - 0
    .max_flat_workgroup_size: 512
    .name:           _ZN7rocprim17ROCPRIM_400000_NS6detail17trampoline_kernelINS0_14default_configENS1_25partition_config_selectorILNS1_17partition_subalgoE8EiNS0_10empty_typeEbEEZZNS1_14partition_implILS5_8ELb0ES3_jPKiPS6_PKS6_NS0_5tupleIJPiS6_EEENSE_IJSB_SB_EEENS0_18inequality_wrapperIN6hipcub16HIPCUB_304000_NS8EqualityEEEPlJS6_EEE10hipError_tPvRmT3_T4_T5_T6_T7_T9_mT8_P12ihipStream_tbDpT10_ENKUlT_T0_E_clISt17integral_constantIbLb0EES17_EEDaS12_S13_EUlS12_E_NS1_11comp_targetILNS1_3genE3ELNS1_11target_archE908ELNS1_3gpuE7ELNS1_3repE0EEENS1_30default_config_static_selectorELNS0_4arch9wavefront6targetE0EEEvT1_
    .private_segment_fixed_size: 0
    .sgpr_count:     0
    .sgpr_spill_count: 0
    .symbol:         _ZN7rocprim17ROCPRIM_400000_NS6detail17trampoline_kernelINS0_14default_configENS1_25partition_config_selectorILNS1_17partition_subalgoE8EiNS0_10empty_typeEbEEZZNS1_14partition_implILS5_8ELb0ES3_jPKiPS6_PKS6_NS0_5tupleIJPiS6_EEENSE_IJSB_SB_EEENS0_18inequality_wrapperIN6hipcub16HIPCUB_304000_NS8EqualityEEEPlJS6_EEE10hipError_tPvRmT3_T4_T5_T6_T7_T9_mT8_P12ihipStream_tbDpT10_ENKUlT_T0_E_clISt17integral_constantIbLb0EES17_EEDaS12_S13_EUlS12_E_NS1_11comp_targetILNS1_3genE3ELNS1_11target_archE908ELNS1_3gpuE7ELNS1_3repE0EEENS1_30default_config_static_selectorELNS0_4arch9wavefront6targetE0EEEvT1_.kd
    .uniform_work_group_size: 1
    .uses_dynamic_stack: false
    .vgpr_count:     0
    .vgpr_spill_count: 0
    .wavefront_size: 32
  - .args:
      - .offset:         0
        .size:           112
        .value_kind:     by_value
    .group_segment_fixed_size: 0
    .kernarg_segment_align: 8
    .kernarg_segment_size: 112
    .language:       OpenCL C
    .language_version:
      - 2
      - 0
    .max_flat_workgroup_size: 256
    .name:           _ZN7rocprim17ROCPRIM_400000_NS6detail17trampoline_kernelINS0_14default_configENS1_25partition_config_selectorILNS1_17partition_subalgoE8EiNS0_10empty_typeEbEEZZNS1_14partition_implILS5_8ELb0ES3_jPKiPS6_PKS6_NS0_5tupleIJPiS6_EEENSE_IJSB_SB_EEENS0_18inequality_wrapperIN6hipcub16HIPCUB_304000_NS8EqualityEEEPlJS6_EEE10hipError_tPvRmT3_T4_T5_T6_T7_T9_mT8_P12ihipStream_tbDpT10_ENKUlT_T0_E_clISt17integral_constantIbLb0EES17_EEDaS12_S13_EUlS12_E_NS1_11comp_targetILNS1_3genE2ELNS1_11target_archE906ELNS1_3gpuE6ELNS1_3repE0EEENS1_30default_config_static_selectorELNS0_4arch9wavefront6targetE0EEEvT1_
    .private_segment_fixed_size: 0
    .sgpr_count:     0
    .sgpr_spill_count: 0
    .symbol:         _ZN7rocprim17ROCPRIM_400000_NS6detail17trampoline_kernelINS0_14default_configENS1_25partition_config_selectorILNS1_17partition_subalgoE8EiNS0_10empty_typeEbEEZZNS1_14partition_implILS5_8ELb0ES3_jPKiPS6_PKS6_NS0_5tupleIJPiS6_EEENSE_IJSB_SB_EEENS0_18inequality_wrapperIN6hipcub16HIPCUB_304000_NS8EqualityEEEPlJS6_EEE10hipError_tPvRmT3_T4_T5_T6_T7_T9_mT8_P12ihipStream_tbDpT10_ENKUlT_T0_E_clISt17integral_constantIbLb0EES17_EEDaS12_S13_EUlS12_E_NS1_11comp_targetILNS1_3genE2ELNS1_11target_archE906ELNS1_3gpuE6ELNS1_3repE0EEENS1_30default_config_static_selectorELNS0_4arch9wavefront6targetE0EEEvT1_.kd
    .uniform_work_group_size: 1
    .uses_dynamic_stack: false
    .vgpr_count:     0
    .vgpr_spill_count: 0
    .wavefront_size: 32
  - .args:
      - .offset:         0
        .size:           112
        .value_kind:     by_value
    .group_segment_fixed_size: 0
    .kernarg_segment_align: 8
    .kernarg_segment_size: 112
    .language:       OpenCL C
    .language_version:
      - 2
      - 0
    .max_flat_workgroup_size: 384
    .name:           _ZN7rocprim17ROCPRIM_400000_NS6detail17trampoline_kernelINS0_14default_configENS1_25partition_config_selectorILNS1_17partition_subalgoE8EiNS0_10empty_typeEbEEZZNS1_14partition_implILS5_8ELb0ES3_jPKiPS6_PKS6_NS0_5tupleIJPiS6_EEENSE_IJSB_SB_EEENS0_18inequality_wrapperIN6hipcub16HIPCUB_304000_NS8EqualityEEEPlJS6_EEE10hipError_tPvRmT3_T4_T5_T6_T7_T9_mT8_P12ihipStream_tbDpT10_ENKUlT_T0_E_clISt17integral_constantIbLb0EES17_EEDaS12_S13_EUlS12_E_NS1_11comp_targetILNS1_3genE10ELNS1_11target_archE1200ELNS1_3gpuE4ELNS1_3repE0EEENS1_30default_config_static_selectorELNS0_4arch9wavefront6targetE0EEEvT1_
    .private_segment_fixed_size: 0
    .sgpr_count:     0
    .sgpr_spill_count: 0
    .symbol:         _ZN7rocprim17ROCPRIM_400000_NS6detail17trampoline_kernelINS0_14default_configENS1_25partition_config_selectorILNS1_17partition_subalgoE8EiNS0_10empty_typeEbEEZZNS1_14partition_implILS5_8ELb0ES3_jPKiPS6_PKS6_NS0_5tupleIJPiS6_EEENSE_IJSB_SB_EEENS0_18inequality_wrapperIN6hipcub16HIPCUB_304000_NS8EqualityEEEPlJS6_EEE10hipError_tPvRmT3_T4_T5_T6_T7_T9_mT8_P12ihipStream_tbDpT10_ENKUlT_T0_E_clISt17integral_constantIbLb0EES17_EEDaS12_S13_EUlS12_E_NS1_11comp_targetILNS1_3genE10ELNS1_11target_archE1200ELNS1_3gpuE4ELNS1_3repE0EEENS1_30default_config_static_selectorELNS0_4arch9wavefront6targetE0EEEvT1_.kd
    .uniform_work_group_size: 1
    .uses_dynamic_stack: false
    .vgpr_count:     0
    .vgpr_spill_count: 0
    .wavefront_size: 32
  - .args:
      - .offset:         0
        .size:           112
        .value_kind:     by_value
    .group_segment_fixed_size: 0
    .kernarg_segment_align: 8
    .kernarg_segment_size: 112
    .language:       OpenCL C
    .language_version:
      - 2
      - 0
    .max_flat_workgroup_size: 384
    .name:           _ZN7rocprim17ROCPRIM_400000_NS6detail17trampoline_kernelINS0_14default_configENS1_25partition_config_selectorILNS1_17partition_subalgoE8EiNS0_10empty_typeEbEEZZNS1_14partition_implILS5_8ELb0ES3_jPKiPS6_PKS6_NS0_5tupleIJPiS6_EEENSE_IJSB_SB_EEENS0_18inequality_wrapperIN6hipcub16HIPCUB_304000_NS8EqualityEEEPlJS6_EEE10hipError_tPvRmT3_T4_T5_T6_T7_T9_mT8_P12ihipStream_tbDpT10_ENKUlT_T0_E_clISt17integral_constantIbLb0EES17_EEDaS12_S13_EUlS12_E_NS1_11comp_targetILNS1_3genE9ELNS1_11target_archE1100ELNS1_3gpuE3ELNS1_3repE0EEENS1_30default_config_static_selectorELNS0_4arch9wavefront6targetE0EEEvT1_
    .private_segment_fixed_size: 0
    .sgpr_count:     0
    .sgpr_spill_count: 0
    .symbol:         _ZN7rocprim17ROCPRIM_400000_NS6detail17trampoline_kernelINS0_14default_configENS1_25partition_config_selectorILNS1_17partition_subalgoE8EiNS0_10empty_typeEbEEZZNS1_14partition_implILS5_8ELb0ES3_jPKiPS6_PKS6_NS0_5tupleIJPiS6_EEENSE_IJSB_SB_EEENS0_18inequality_wrapperIN6hipcub16HIPCUB_304000_NS8EqualityEEEPlJS6_EEE10hipError_tPvRmT3_T4_T5_T6_T7_T9_mT8_P12ihipStream_tbDpT10_ENKUlT_T0_E_clISt17integral_constantIbLb0EES17_EEDaS12_S13_EUlS12_E_NS1_11comp_targetILNS1_3genE9ELNS1_11target_archE1100ELNS1_3gpuE3ELNS1_3repE0EEENS1_30default_config_static_selectorELNS0_4arch9wavefront6targetE0EEEvT1_.kd
    .uniform_work_group_size: 1
    .uses_dynamic_stack: false
    .vgpr_count:     0
    .vgpr_spill_count: 0
    .wavefront_size: 32
  - .args:
      - .offset:         0
        .size:           112
        .value_kind:     by_value
    .group_segment_fixed_size: 0
    .kernarg_segment_align: 8
    .kernarg_segment_size: 112
    .language:       OpenCL C
    .language_version:
      - 2
      - 0
    .max_flat_workgroup_size: 512
    .name:           _ZN7rocprim17ROCPRIM_400000_NS6detail17trampoline_kernelINS0_14default_configENS1_25partition_config_selectorILNS1_17partition_subalgoE8EiNS0_10empty_typeEbEEZZNS1_14partition_implILS5_8ELb0ES3_jPKiPS6_PKS6_NS0_5tupleIJPiS6_EEENSE_IJSB_SB_EEENS0_18inequality_wrapperIN6hipcub16HIPCUB_304000_NS8EqualityEEEPlJS6_EEE10hipError_tPvRmT3_T4_T5_T6_T7_T9_mT8_P12ihipStream_tbDpT10_ENKUlT_T0_E_clISt17integral_constantIbLb0EES17_EEDaS12_S13_EUlS12_E_NS1_11comp_targetILNS1_3genE8ELNS1_11target_archE1030ELNS1_3gpuE2ELNS1_3repE0EEENS1_30default_config_static_selectorELNS0_4arch9wavefront6targetE0EEEvT1_
    .private_segment_fixed_size: 0
    .sgpr_count:     0
    .sgpr_spill_count: 0
    .symbol:         _ZN7rocprim17ROCPRIM_400000_NS6detail17trampoline_kernelINS0_14default_configENS1_25partition_config_selectorILNS1_17partition_subalgoE8EiNS0_10empty_typeEbEEZZNS1_14partition_implILS5_8ELb0ES3_jPKiPS6_PKS6_NS0_5tupleIJPiS6_EEENSE_IJSB_SB_EEENS0_18inequality_wrapperIN6hipcub16HIPCUB_304000_NS8EqualityEEEPlJS6_EEE10hipError_tPvRmT3_T4_T5_T6_T7_T9_mT8_P12ihipStream_tbDpT10_ENKUlT_T0_E_clISt17integral_constantIbLb0EES17_EEDaS12_S13_EUlS12_E_NS1_11comp_targetILNS1_3genE8ELNS1_11target_archE1030ELNS1_3gpuE2ELNS1_3repE0EEENS1_30default_config_static_selectorELNS0_4arch9wavefront6targetE0EEEvT1_.kd
    .uniform_work_group_size: 1
    .uses_dynamic_stack: false
    .vgpr_count:     0
    .vgpr_spill_count: 0
    .wavefront_size: 32
  - .args:
      - .offset:         0
        .size:           40
        .value_kind:     by_value
      - .offset:         40
        .size:           4
        .value_kind:     hidden_block_count_x
      - .offset:         44
        .size:           4
        .value_kind:     hidden_block_count_y
      - .offset:         48
        .size:           4
        .value_kind:     hidden_block_count_z
      - .offset:         52
        .size:           2
        .value_kind:     hidden_group_size_x
      - .offset:         54
        .size:           2
        .value_kind:     hidden_group_size_y
      - .offset:         56
        .size:           2
        .value_kind:     hidden_group_size_z
      - .offset:         58
        .size:           2
        .value_kind:     hidden_remainder_x
      - .offset:         60
        .size:           2
        .value_kind:     hidden_remainder_y
      - .offset:         62
        .size:           2
        .value_kind:     hidden_remainder_z
      - .offset:         80
        .size:           8
        .value_kind:     hidden_global_offset_x
      - .offset:         88
        .size:           8
        .value_kind:     hidden_global_offset_y
      - .offset:         96
        .size:           8
        .value_kind:     hidden_global_offset_z
      - .offset:         104
        .size:           2
        .value_kind:     hidden_grid_dims
    .group_segment_fixed_size: 0
    .kernarg_segment_align: 8
    .kernarg_segment_size: 296
    .language:       OpenCL C
    .language_version:
      - 2
      - 0
    .max_flat_workgroup_size: 128
    .name:           _ZN7rocprim17ROCPRIM_400000_NS6detail17trampoline_kernelINS0_14default_configENS1_25transform_config_selectorImLb1EEEZNS1_14transform_implILb1ES3_S5_PmPlNS0_8identityIvEEEE10hipError_tT2_T3_mT4_P12ihipStream_tbEUlT_E_NS1_11comp_targetILNS1_3genE0ELNS1_11target_archE4294967295ELNS1_3gpuE0ELNS1_3repE0EEENS1_30default_config_static_selectorELNS0_4arch9wavefront6targetE0EEEvT1_
    .private_segment_fixed_size: 0
    .sgpr_count:     12
    .sgpr_spill_count: 0
    .symbol:         _ZN7rocprim17ROCPRIM_400000_NS6detail17trampoline_kernelINS0_14default_configENS1_25transform_config_selectorImLb1EEEZNS1_14transform_implILb1ES3_S5_PmPlNS0_8identityIvEEEE10hipError_tT2_T3_mT4_P12ihipStream_tbEUlT_E_NS1_11comp_targetILNS1_3genE0ELNS1_11target_archE4294967295ELNS1_3gpuE0ELNS1_3repE0EEENS1_30default_config_static_selectorELNS0_4arch9wavefront6targetE0EEEvT1_.kd
    .uniform_work_group_size: 1
    .uses_dynamic_stack: false
    .vgpr_count:     4
    .vgpr_spill_count: 0
    .wavefront_size: 32
  - .args:
      - .offset:         0
        .size:           40
        .value_kind:     by_value
    .group_segment_fixed_size: 0
    .kernarg_segment_align: 8
    .kernarg_segment_size: 40
    .language:       OpenCL C
    .language_version:
      - 2
      - 0
    .max_flat_workgroup_size: 1024
    .name:           _ZN7rocprim17ROCPRIM_400000_NS6detail17trampoline_kernelINS0_14default_configENS1_25transform_config_selectorImLb1EEEZNS1_14transform_implILb1ES3_S5_PmPlNS0_8identityIvEEEE10hipError_tT2_T3_mT4_P12ihipStream_tbEUlT_E_NS1_11comp_targetILNS1_3genE10ELNS1_11target_archE1201ELNS1_3gpuE5ELNS1_3repE0EEENS1_30default_config_static_selectorELNS0_4arch9wavefront6targetE0EEEvT1_
    .private_segment_fixed_size: 0
    .sgpr_count:     0
    .sgpr_spill_count: 0
    .symbol:         _ZN7rocprim17ROCPRIM_400000_NS6detail17trampoline_kernelINS0_14default_configENS1_25transform_config_selectorImLb1EEEZNS1_14transform_implILb1ES3_S5_PmPlNS0_8identityIvEEEE10hipError_tT2_T3_mT4_P12ihipStream_tbEUlT_E_NS1_11comp_targetILNS1_3genE10ELNS1_11target_archE1201ELNS1_3gpuE5ELNS1_3repE0EEENS1_30default_config_static_selectorELNS0_4arch9wavefront6targetE0EEEvT1_.kd
    .uniform_work_group_size: 1
    .uses_dynamic_stack: false
    .vgpr_count:     0
    .vgpr_spill_count: 0
    .wavefront_size: 32
  - .args:
      - .offset:         0
        .size:           40
        .value_kind:     by_value
    .group_segment_fixed_size: 0
    .kernarg_segment_align: 8
    .kernarg_segment_size: 40
    .language:       OpenCL C
    .language_version:
      - 2
      - 0
    .max_flat_workgroup_size: 512
    .name:           _ZN7rocprim17ROCPRIM_400000_NS6detail17trampoline_kernelINS0_14default_configENS1_25transform_config_selectorImLb1EEEZNS1_14transform_implILb1ES3_S5_PmPlNS0_8identityIvEEEE10hipError_tT2_T3_mT4_P12ihipStream_tbEUlT_E_NS1_11comp_targetILNS1_3genE5ELNS1_11target_archE942ELNS1_3gpuE9ELNS1_3repE0EEENS1_30default_config_static_selectorELNS0_4arch9wavefront6targetE0EEEvT1_
    .private_segment_fixed_size: 0
    .sgpr_count:     0
    .sgpr_spill_count: 0
    .symbol:         _ZN7rocprim17ROCPRIM_400000_NS6detail17trampoline_kernelINS0_14default_configENS1_25transform_config_selectorImLb1EEEZNS1_14transform_implILb1ES3_S5_PmPlNS0_8identityIvEEEE10hipError_tT2_T3_mT4_P12ihipStream_tbEUlT_E_NS1_11comp_targetILNS1_3genE5ELNS1_11target_archE942ELNS1_3gpuE9ELNS1_3repE0EEENS1_30default_config_static_selectorELNS0_4arch9wavefront6targetE0EEEvT1_.kd
    .uniform_work_group_size: 1
    .uses_dynamic_stack: false
    .vgpr_count:     0
    .vgpr_spill_count: 0
    .wavefront_size: 32
  - .args:
      - .offset:         0
        .size:           40
        .value_kind:     by_value
    .group_segment_fixed_size: 0
    .kernarg_segment_align: 8
    .kernarg_segment_size: 40
    .language:       OpenCL C
    .language_version:
      - 2
      - 0
    .max_flat_workgroup_size: 1024
    .name:           _ZN7rocprim17ROCPRIM_400000_NS6detail17trampoline_kernelINS0_14default_configENS1_25transform_config_selectorImLb1EEEZNS1_14transform_implILb1ES3_S5_PmPlNS0_8identityIvEEEE10hipError_tT2_T3_mT4_P12ihipStream_tbEUlT_E_NS1_11comp_targetILNS1_3genE4ELNS1_11target_archE910ELNS1_3gpuE8ELNS1_3repE0EEENS1_30default_config_static_selectorELNS0_4arch9wavefront6targetE0EEEvT1_
    .private_segment_fixed_size: 0
    .sgpr_count:     0
    .sgpr_spill_count: 0
    .symbol:         _ZN7rocprim17ROCPRIM_400000_NS6detail17trampoline_kernelINS0_14default_configENS1_25transform_config_selectorImLb1EEEZNS1_14transform_implILb1ES3_S5_PmPlNS0_8identityIvEEEE10hipError_tT2_T3_mT4_P12ihipStream_tbEUlT_E_NS1_11comp_targetILNS1_3genE4ELNS1_11target_archE910ELNS1_3gpuE8ELNS1_3repE0EEENS1_30default_config_static_selectorELNS0_4arch9wavefront6targetE0EEEvT1_.kd
    .uniform_work_group_size: 1
    .uses_dynamic_stack: false
    .vgpr_count:     0
    .vgpr_spill_count: 0
    .wavefront_size: 32
  - .args:
      - .offset:         0
        .size:           40
        .value_kind:     by_value
    .group_segment_fixed_size: 0
    .kernarg_segment_align: 8
    .kernarg_segment_size: 40
    .language:       OpenCL C
    .language_version:
      - 2
      - 0
    .max_flat_workgroup_size: 128
    .name:           _ZN7rocprim17ROCPRIM_400000_NS6detail17trampoline_kernelINS0_14default_configENS1_25transform_config_selectorImLb1EEEZNS1_14transform_implILb1ES3_S5_PmPlNS0_8identityIvEEEE10hipError_tT2_T3_mT4_P12ihipStream_tbEUlT_E_NS1_11comp_targetILNS1_3genE3ELNS1_11target_archE908ELNS1_3gpuE7ELNS1_3repE0EEENS1_30default_config_static_selectorELNS0_4arch9wavefront6targetE0EEEvT1_
    .private_segment_fixed_size: 0
    .sgpr_count:     0
    .sgpr_spill_count: 0
    .symbol:         _ZN7rocprim17ROCPRIM_400000_NS6detail17trampoline_kernelINS0_14default_configENS1_25transform_config_selectorImLb1EEEZNS1_14transform_implILb1ES3_S5_PmPlNS0_8identityIvEEEE10hipError_tT2_T3_mT4_P12ihipStream_tbEUlT_E_NS1_11comp_targetILNS1_3genE3ELNS1_11target_archE908ELNS1_3gpuE7ELNS1_3repE0EEENS1_30default_config_static_selectorELNS0_4arch9wavefront6targetE0EEEvT1_.kd
    .uniform_work_group_size: 1
    .uses_dynamic_stack: false
    .vgpr_count:     0
    .vgpr_spill_count: 0
    .wavefront_size: 32
  - .args:
      - .offset:         0
        .size:           40
        .value_kind:     by_value
    .group_segment_fixed_size: 0
    .kernarg_segment_align: 8
    .kernarg_segment_size: 40
    .language:       OpenCL C
    .language_version:
      - 2
      - 0
    .max_flat_workgroup_size: 512
    .name:           _ZN7rocprim17ROCPRIM_400000_NS6detail17trampoline_kernelINS0_14default_configENS1_25transform_config_selectorImLb1EEEZNS1_14transform_implILb1ES3_S5_PmPlNS0_8identityIvEEEE10hipError_tT2_T3_mT4_P12ihipStream_tbEUlT_E_NS1_11comp_targetILNS1_3genE2ELNS1_11target_archE906ELNS1_3gpuE6ELNS1_3repE0EEENS1_30default_config_static_selectorELNS0_4arch9wavefront6targetE0EEEvT1_
    .private_segment_fixed_size: 0
    .sgpr_count:     0
    .sgpr_spill_count: 0
    .symbol:         _ZN7rocprim17ROCPRIM_400000_NS6detail17trampoline_kernelINS0_14default_configENS1_25transform_config_selectorImLb1EEEZNS1_14transform_implILb1ES3_S5_PmPlNS0_8identityIvEEEE10hipError_tT2_T3_mT4_P12ihipStream_tbEUlT_E_NS1_11comp_targetILNS1_3genE2ELNS1_11target_archE906ELNS1_3gpuE6ELNS1_3repE0EEENS1_30default_config_static_selectorELNS0_4arch9wavefront6targetE0EEEvT1_.kd
    .uniform_work_group_size: 1
    .uses_dynamic_stack: false
    .vgpr_count:     0
    .vgpr_spill_count: 0
    .wavefront_size: 32
  - .args:
      - .offset:         0
        .size:           40
        .value_kind:     by_value
    .group_segment_fixed_size: 0
    .kernarg_segment_align: 8
    .kernarg_segment_size: 40
    .language:       OpenCL C
    .language_version:
      - 2
      - 0
    .max_flat_workgroup_size: 1024
    .name:           _ZN7rocprim17ROCPRIM_400000_NS6detail17trampoline_kernelINS0_14default_configENS1_25transform_config_selectorImLb1EEEZNS1_14transform_implILb1ES3_S5_PmPlNS0_8identityIvEEEE10hipError_tT2_T3_mT4_P12ihipStream_tbEUlT_E_NS1_11comp_targetILNS1_3genE9ELNS1_11target_archE1100ELNS1_3gpuE3ELNS1_3repE0EEENS1_30default_config_static_selectorELNS0_4arch9wavefront6targetE0EEEvT1_
    .private_segment_fixed_size: 0
    .sgpr_count:     0
    .sgpr_spill_count: 0
    .symbol:         _ZN7rocprim17ROCPRIM_400000_NS6detail17trampoline_kernelINS0_14default_configENS1_25transform_config_selectorImLb1EEEZNS1_14transform_implILb1ES3_S5_PmPlNS0_8identityIvEEEE10hipError_tT2_T3_mT4_P12ihipStream_tbEUlT_E_NS1_11comp_targetILNS1_3genE9ELNS1_11target_archE1100ELNS1_3gpuE3ELNS1_3repE0EEENS1_30default_config_static_selectorELNS0_4arch9wavefront6targetE0EEEvT1_.kd
    .uniform_work_group_size: 1
    .uses_dynamic_stack: false
    .vgpr_count:     0
    .vgpr_spill_count: 0
    .wavefront_size: 32
  - .args:
      - .offset:         0
        .size:           40
        .value_kind:     by_value
    .group_segment_fixed_size: 0
    .kernarg_segment_align: 8
    .kernarg_segment_size: 40
    .language:       OpenCL C
    .language_version:
      - 2
      - 0
    .max_flat_workgroup_size: 1024
    .name:           _ZN7rocprim17ROCPRIM_400000_NS6detail17trampoline_kernelINS0_14default_configENS1_25transform_config_selectorImLb1EEEZNS1_14transform_implILb1ES3_S5_PmPlNS0_8identityIvEEEE10hipError_tT2_T3_mT4_P12ihipStream_tbEUlT_E_NS1_11comp_targetILNS1_3genE8ELNS1_11target_archE1030ELNS1_3gpuE2ELNS1_3repE0EEENS1_30default_config_static_selectorELNS0_4arch9wavefront6targetE0EEEvT1_
    .private_segment_fixed_size: 0
    .sgpr_count:     0
    .sgpr_spill_count: 0
    .symbol:         _ZN7rocprim17ROCPRIM_400000_NS6detail17trampoline_kernelINS0_14default_configENS1_25transform_config_selectorImLb1EEEZNS1_14transform_implILb1ES3_S5_PmPlNS0_8identityIvEEEE10hipError_tT2_T3_mT4_P12ihipStream_tbEUlT_E_NS1_11comp_targetILNS1_3genE8ELNS1_11target_archE1030ELNS1_3gpuE2ELNS1_3repE0EEENS1_30default_config_static_selectorELNS0_4arch9wavefront6targetE0EEEvT1_.kd
    .uniform_work_group_size: 1
    .uses_dynamic_stack: false
    .vgpr_count:     0
    .vgpr_spill_count: 0
    .wavefront_size: 32
  - .args:
      - .address_space:  global
        .offset:         0
        .size:           8
        .value_kind:     global_buffer
      - .offset:         8
        .size:           4
        .value_kind:     by_value
      - .address_space:  global
        .offset:         16
        .size:           8
        .value_kind:     global_buffer
      - .offset:         24
        .size:           4
        .value_kind:     by_value
      - .address_space:  global
        .offset:         32
        .size:           8
        .value_kind:     global_buffer
      - .offset:         40
        .size:           4
        .value_kind:     hidden_block_count_x
      - .offset:         44
        .size:           4
        .value_kind:     hidden_block_count_y
      - .offset:         48
        .size:           4
        .value_kind:     hidden_block_count_z
      - .offset:         52
        .size:           2
        .value_kind:     hidden_group_size_x
      - .offset:         54
        .size:           2
        .value_kind:     hidden_group_size_y
      - .offset:         56
        .size:           2
        .value_kind:     hidden_group_size_z
      - .offset:         58
        .size:           2
        .value_kind:     hidden_remainder_x
      - .offset:         60
        .size:           2
        .value_kind:     hidden_remainder_y
      - .offset:         62
        .size:           2
        .value_kind:     hidden_remainder_z
      - .offset:         80
        .size:           8
        .value_kind:     hidden_global_offset_x
      - .offset:         88
        .size:           8
        .value_kind:     hidden_global_offset_y
      - .offset:         96
        .size:           8
        .value_kind:     hidden_global_offset_z
      - .offset:         104
        .size:           2
        .value_kind:     hidden_grid_dims
    .group_segment_fixed_size: 0
    .kernarg_segment_align: 8
    .kernarg_segment_size: 296
    .language:       OpenCL C
    .language_version:
      - 2
      - 0
    .max_flat_workgroup_size: 256
    .name:           _ZN7rocprim17ROCPRIM_400000_NS6detail31init_lookback_scan_state_kernelINS1_19lookback_scan_stateIjLb1ELb1EEENS1_16block_id_wrapperIjLb1EEEEEvT_jT0_jPNS7_10value_typeE
    .private_segment_fixed_size: 0
    .sgpr_count:     14
    .sgpr_spill_count: 0
    .symbol:         _ZN7rocprim17ROCPRIM_400000_NS6detail31init_lookback_scan_state_kernelINS1_19lookback_scan_stateIjLb1ELb1EEENS1_16block_id_wrapperIjLb1EEEEEvT_jT0_jPNS7_10value_typeE.kd
    .uniform_work_group_size: 1
    .uses_dynamic_stack: false
    .vgpr_count:     5
    .vgpr_spill_count: 0
    .wavefront_size: 32
  - .args:
      - .offset:         0
        .size:           128
        .value_kind:     by_value
    .group_segment_fixed_size: 0
    .kernarg_segment_align: 8
    .kernarg_segment_size: 128
    .language:       OpenCL C
    .language_version:
      - 2
      - 0
    .max_flat_workgroup_size: 512
    .name:           _ZN7rocprim17ROCPRIM_400000_NS6detail17trampoline_kernelINS0_14default_configENS1_25partition_config_selectorILNS1_17partition_subalgoE8EiNS0_10empty_typeEbEEZZNS1_14partition_implILS5_8ELb0ES3_jPKiPS6_PKS6_NS0_5tupleIJPiS6_EEENSE_IJSB_SB_EEENS0_18inequality_wrapperIN6hipcub16HIPCUB_304000_NS8EqualityEEEPlJS6_EEE10hipError_tPvRmT3_T4_T5_T6_T7_T9_mT8_P12ihipStream_tbDpT10_ENKUlT_T0_E_clISt17integral_constantIbLb1EES17_EEDaS12_S13_EUlS12_E_NS1_11comp_targetILNS1_3genE0ELNS1_11target_archE4294967295ELNS1_3gpuE0ELNS1_3repE0EEENS1_30default_config_static_selectorELNS0_4arch9wavefront6targetE0EEEvT1_
    .private_segment_fixed_size: 0
    .sgpr_count:     0
    .sgpr_spill_count: 0
    .symbol:         _ZN7rocprim17ROCPRIM_400000_NS6detail17trampoline_kernelINS0_14default_configENS1_25partition_config_selectorILNS1_17partition_subalgoE8EiNS0_10empty_typeEbEEZZNS1_14partition_implILS5_8ELb0ES3_jPKiPS6_PKS6_NS0_5tupleIJPiS6_EEENSE_IJSB_SB_EEENS0_18inequality_wrapperIN6hipcub16HIPCUB_304000_NS8EqualityEEEPlJS6_EEE10hipError_tPvRmT3_T4_T5_T6_T7_T9_mT8_P12ihipStream_tbDpT10_ENKUlT_T0_E_clISt17integral_constantIbLb1EES17_EEDaS12_S13_EUlS12_E_NS1_11comp_targetILNS1_3genE0ELNS1_11target_archE4294967295ELNS1_3gpuE0ELNS1_3repE0EEENS1_30default_config_static_selectorELNS0_4arch9wavefront6targetE0EEEvT1_.kd
    .uniform_work_group_size: 1
    .uses_dynamic_stack: false
    .vgpr_count:     0
    .vgpr_spill_count: 0
    .wavefront_size: 32
  - .args:
      - .offset:         0
        .size:           128
        .value_kind:     by_value
    .group_segment_fixed_size: 0
    .kernarg_segment_align: 8
    .kernarg_segment_size: 128
    .language:       OpenCL C
    .language_version:
      - 2
      - 0
    .max_flat_workgroup_size: 512
    .name:           _ZN7rocprim17ROCPRIM_400000_NS6detail17trampoline_kernelINS0_14default_configENS1_25partition_config_selectorILNS1_17partition_subalgoE8EiNS0_10empty_typeEbEEZZNS1_14partition_implILS5_8ELb0ES3_jPKiPS6_PKS6_NS0_5tupleIJPiS6_EEENSE_IJSB_SB_EEENS0_18inequality_wrapperIN6hipcub16HIPCUB_304000_NS8EqualityEEEPlJS6_EEE10hipError_tPvRmT3_T4_T5_T6_T7_T9_mT8_P12ihipStream_tbDpT10_ENKUlT_T0_E_clISt17integral_constantIbLb1EES17_EEDaS12_S13_EUlS12_E_NS1_11comp_targetILNS1_3genE5ELNS1_11target_archE942ELNS1_3gpuE9ELNS1_3repE0EEENS1_30default_config_static_selectorELNS0_4arch9wavefront6targetE0EEEvT1_
    .private_segment_fixed_size: 0
    .sgpr_count:     0
    .sgpr_spill_count: 0
    .symbol:         _ZN7rocprim17ROCPRIM_400000_NS6detail17trampoline_kernelINS0_14default_configENS1_25partition_config_selectorILNS1_17partition_subalgoE8EiNS0_10empty_typeEbEEZZNS1_14partition_implILS5_8ELb0ES3_jPKiPS6_PKS6_NS0_5tupleIJPiS6_EEENSE_IJSB_SB_EEENS0_18inequality_wrapperIN6hipcub16HIPCUB_304000_NS8EqualityEEEPlJS6_EEE10hipError_tPvRmT3_T4_T5_T6_T7_T9_mT8_P12ihipStream_tbDpT10_ENKUlT_T0_E_clISt17integral_constantIbLb1EES17_EEDaS12_S13_EUlS12_E_NS1_11comp_targetILNS1_3genE5ELNS1_11target_archE942ELNS1_3gpuE9ELNS1_3repE0EEENS1_30default_config_static_selectorELNS0_4arch9wavefront6targetE0EEEvT1_.kd
    .uniform_work_group_size: 1
    .uses_dynamic_stack: false
    .vgpr_count:     0
    .vgpr_spill_count: 0
    .wavefront_size: 32
  - .args:
      - .offset:         0
        .size:           128
        .value_kind:     by_value
    .group_segment_fixed_size: 0
    .kernarg_segment_align: 8
    .kernarg_segment_size: 128
    .language:       OpenCL C
    .language_version:
      - 2
      - 0
    .max_flat_workgroup_size: 256
    .name:           _ZN7rocprim17ROCPRIM_400000_NS6detail17trampoline_kernelINS0_14default_configENS1_25partition_config_selectorILNS1_17partition_subalgoE8EiNS0_10empty_typeEbEEZZNS1_14partition_implILS5_8ELb0ES3_jPKiPS6_PKS6_NS0_5tupleIJPiS6_EEENSE_IJSB_SB_EEENS0_18inequality_wrapperIN6hipcub16HIPCUB_304000_NS8EqualityEEEPlJS6_EEE10hipError_tPvRmT3_T4_T5_T6_T7_T9_mT8_P12ihipStream_tbDpT10_ENKUlT_T0_E_clISt17integral_constantIbLb1EES17_EEDaS12_S13_EUlS12_E_NS1_11comp_targetILNS1_3genE4ELNS1_11target_archE910ELNS1_3gpuE8ELNS1_3repE0EEENS1_30default_config_static_selectorELNS0_4arch9wavefront6targetE0EEEvT1_
    .private_segment_fixed_size: 0
    .sgpr_count:     0
    .sgpr_spill_count: 0
    .symbol:         _ZN7rocprim17ROCPRIM_400000_NS6detail17trampoline_kernelINS0_14default_configENS1_25partition_config_selectorILNS1_17partition_subalgoE8EiNS0_10empty_typeEbEEZZNS1_14partition_implILS5_8ELb0ES3_jPKiPS6_PKS6_NS0_5tupleIJPiS6_EEENSE_IJSB_SB_EEENS0_18inequality_wrapperIN6hipcub16HIPCUB_304000_NS8EqualityEEEPlJS6_EEE10hipError_tPvRmT3_T4_T5_T6_T7_T9_mT8_P12ihipStream_tbDpT10_ENKUlT_T0_E_clISt17integral_constantIbLb1EES17_EEDaS12_S13_EUlS12_E_NS1_11comp_targetILNS1_3genE4ELNS1_11target_archE910ELNS1_3gpuE8ELNS1_3repE0EEENS1_30default_config_static_selectorELNS0_4arch9wavefront6targetE0EEEvT1_.kd
    .uniform_work_group_size: 1
    .uses_dynamic_stack: false
    .vgpr_count:     0
    .vgpr_spill_count: 0
    .wavefront_size: 32
  - .args:
      - .offset:         0
        .size:           128
        .value_kind:     by_value
    .group_segment_fixed_size: 0
    .kernarg_segment_align: 8
    .kernarg_segment_size: 128
    .language:       OpenCL C
    .language_version:
      - 2
      - 0
    .max_flat_workgroup_size: 512
    .name:           _ZN7rocprim17ROCPRIM_400000_NS6detail17trampoline_kernelINS0_14default_configENS1_25partition_config_selectorILNS1_17partition_subalgoE8EiNS0_10empty_typeEbEEZZNS1_14partition_implILS5_8ELb0ES3_jPKiPS6_PKS6_NS0_5tupleIJPiS6_EEENSE_IJSB_SB_EEENS0_18inequality_wrapperIN6hipcub16HIPCUB_304000_NS8EqualityEEEPlJS6_EEE10hipError_tPvRmT3_T4_T5_T6_T7_T9_mT8_P12ihipStream_tbDpT10_ENKUlT_T0_E_clISt17integral_constantIbLb1EES17_EEDaS12_S13_EUlS12_E_NS1_11comp_targetILNS1_3genE3ELNS1_11target_archE908ELNS1_3gpuE7ELNS1_3repE0EEENS1_30default_config_static_selectorELNS0_4arch9wavefront6targetE0EEEvT1_
    .private_segment_fixed_size: 0
    .sgpr_count:     0
    .sgpr_spill_count: 0
    .symbol:         _ZN7rocprim17ROCPRIM_400000_NS6detail17trampoline_kernelINS0_14default_configENS1_25partition_config_selectorILNS1_17partition_subalgoE8EiNS0_10empty_typeEbEEZZNS1_14partition_implILS5_8ELb0ES3_jPKiPS6_PKS6_NS0_5tupleIJPiS6_EEENSE_IJSB_SB_EEENS0_18inequality_wrapperIN6hipcub16HIPCUB_304000_NS8EqualityEEEPlJS6_EEE10hipError_tPvRmT3_T4_T5_T6_T7_T9_mT8_P12ihipStream_tbDpT10_ENKUlT_T0_E_clISt17integral_constantIbLb1EES17_EEDaS12_S13_EUlS12_E_NS1_11comp_targetILNS1_3genE3ELNS1_11target_archE908ELNS1_3gpuE7ELNS1_3repE0EEENS1_30default_config_static_selectorELNS0_4arch9wavefront6targetE0EEEvT1_.kd
    .uniform_work_group_size: 1
    .uses_dynamic_stack: false
    .vgpr_count:     0
    .vgpr_spill_count: 0
    .wavefront_size: 32
  - .args:
      - .offset:         0
        .size:           128
        .value_kind:     by_value
    .group_segment_fixed_size: 0
    .kernarg_segment_align: 8
    .kernarg_segment_size: 128
    .language:       OpenCL C
    .language_version:
      - 2
      - 0
    .max_flat_workgroup_size: 256
    .name:           _ZN7rocprim17ROCPRIM_400000_NS6detail17trampoline_kernelINS0_14default_configENS1_25partition_config_selectorILNS1_17partition_subalgoE8EiNS0_10empty_typeEbEEZZNS1_14partition_implILS5_8ELb0ES3_jPKiPS6_PKS6_NS0_5tupleIJPiS6_EEENSE_IJSB_SB_EEENS0_18inequality_wrapperIN6hipcub16HIPCUB_304000_NS8EqualityEEEPlJS6_EEE10hipError_tPvRmT3_T4_T5_T6_T7_T9_mT8_P12ihipStream_tbDpT10_ENKUlT_T0_E_clISt17integral_constantIbLb1EES17_EEDaS12_S13_EUlS12_E_NS1_11comp_targetILNS1_3genE2ELNS1_11target_archE906ELNS1_3gpuE6ELNS1_3repE0EEENS1_30default_config_static_selectorELNS0_4arch9wavefront6targetE0EEEvT1_
    .private_segment_fixed_size: 0
    .sgpr_count:     0
    .sgpr_spill_count: 0
    .symbol:         _ZN7rocprim17ROCPRIM_400000_NS6detail17trampoline_kernelINS0_14default_configENS1_25partition_config_selectorILNS1_17partition_subalgoE8EiNS0_10empty_typeEbEEZZNS1_14partition_implILS5_8ELb0ES3_jPKiPS6_PKS6_NS0_5tupleIJPiS6_EEENSE_IJSB_SB_EEENS0_18inequality_wrapperIN6hipcub16HIPCUB_304000_NS8EqualityEEEPlJS6_EEE10hipError_tPvRmT3_T4_T5_T6_T7_T9_mT8_P12ihipStream_tbDpT10_ENKUlT_T0_E_clISt17integral_constantIbLb1EES17_EEDaS12_S13_EUlS12_E_NS1_11comp_targetILNS1_3genE2ELNS1_11target_archE906ELNS1_3gpuE6ELNS1_3repE0EEENS1_30default_config_static_selectorELNS0_4arch9wavefront6targetE0EEEvT1_.kd
    .uniform_work_group_size: 1
    .uses_dynamic_stack: false
    .vgpr_count:     0
    .vgpr_spill_count: 0
    .wavefront_size: 32
  - .args:
      - .offset:         0
        .size:           128
        .value_kind:     by_value
    .group_segment_fixed_size: 0
    .kernarg_segment_align: 8
    .kernarg_segment_size: 128
    .language:       OpenCL C
    .language_version:
      - 2
      - 0
    .max_flat_workgroup_size: 384
    .name:           _ZN7rocprim17ROCPRIM_400000_NS6detail17trampoline_kernelINS0_14default_configENS1_25partition_config_selectorILNS1_17partition_subalgoE8EiNS0_10empty_typeEbEEZZNS1_14partition_implILS5_8ELb0ES3_jPKiPS6_PKS6_NS0_5tupleIJPiS6_EEENSE_IJSB_SB_EEENS0_18inequality_wrapperIN6hipcub16HIPCUB_304000_NS8EqualityEEEPlJS6_EEE10hipError_tPvRmT3_T4_T5_T6_T7_T9_mT8_P12ihipStream_tbDpT10_ENKUlT_T0_E_clISt17integral_constantIbLb1EES17_EEDaS12_S13_EUlS12_E_NS1_11comp_targetILNS1_3genE10ELNS1_11target_archE1200ELNS1_3gpuE4ELNS1_3repE0EEENS1_30default_config_static_selectorELNS0_4arch9wavefront6targetE0EEEvT1_
    .private_segment_fixed_size: 0
    .sgpr_count:     0
    .sgpr_spill_count: 0
    .symbol:         _ZN7rocprim17ROCPRIM_400000_NS6detail17trampoline_kernelINS0_14default_configENS1_25partition_config_selectorILNS1_17partition_subalgoE8EiNS0_10empty_typeEbEEZZNS1_14partition_implILS5_8ELb0ES3_jPKiPS6_PKS6_NS0_5tupleIJPiS6_EEENSE_IJSB_SB_EEENS0_18inequality_wrapperIN6hipcub16HIPCUB_304000_NS8EqualityEEEPlJS6_EEE10hipError_tPvRmT3_T4_T5_T6_T7_T9_mT8_P12ihipStream_tbDpT10_ENKUlT_T0_E_clISt17integral_constantIbLb1EES17_EEDaS12_S13_EUlS12_E_NS1_11comp_targetILNS1_3genE10ELNS1_11target_archE1200ELNS1_3gpuE4ELNS1_3repE0EEENS1_30default_config_static_selectorELNS0_4arch9wavefront6targetE0EEEvT1_.kd
    .uniform_work_group_size: 1
    .uses_dynamic_stack: false
    .vgpr_count:     0
    .vgpr_spill_count: 0
    .wavefront_size: 32
  - .args:
      - .offset:         0
        .size:           128
        .value_kind:     by_value
    .group_segment_fixed_size: 0
    .kernarg_segment_align: 8
    .kernarg_segment_size: 128
    .language:       OpenCL C
    .language_version:
      - 2
      - 0
    .max_flat_workgroup_size: 384
    .name:           _ZN7rocprim17ROCPRIM_400000_NS6detail17trampoline_kernelINS0_14default_configENS1_25partition_config_selectorILNS1_17partition_subalgoE8EiNS0_10empty_typeEbEEZZNS1_14partition_implILS5_8ELb0ES3_jPKiPS6_PKS6_NS0_5tupleIJPiS6_EEENSE_IJSB_SB_EEENS0_18inequality_wrapperIN6hipcub16HIPCUB_304000_NS8EqualityEEEPlJS6_EEE10hipError_tPvRmT3_T4_T5_T6_T7_T9_mT8_P12ihipStream_tbDpT10_ENKUlT_T0_E_clISt17integral_constantIbLb1EES17_EEDaS12_S13_EUlS12_E_NS1_11comp_targetILNS1_3genE9ELNS1_11target_archE1100ELNS1_3gpuE3ELNS1_3repE0EEENS1_30default_config_static_selectorELNS0_4arch9wavefront6targetE0EEEvT1_
    .private_segment_fixed_size: 0
    .sgpr_count:     0
    .sgpr_spill_count: 0
    .symbol:         _ZN7rocprim17ROCPRIM_400000_NS6detail17trampoline_kernelINS0_14default_configENS1_25partition_config_selectorILNS1_17partition_subalgoE8EiNS0_10empty_typeEbEEZZNS1_14partition_implILS5_8ELb0ES3_jPKiPS6_PKS6_NS0_5tupleIJPiS6_EEENSE_IJSB_SB_EEENS0_18inequality_wrapperIN6hipcub16HIPCUB_304000_NS8EqualityEEEPlJS6_EEE10hipError_tPvRmT3_T4_T5_T6_T7_T9_mT8_P12ihipStream_tbDpT10_ENKUlT_T0_E_clISt17integral_constantIbLb1EES17_EEDaS12_S13_EUlS12_E_NS1_11comp_targetILNS1_3genE9ELNS1_11target_archE1100ELNS1_3gpuE3ELNS1_3repE0EEENS1_30default_config_static_selectorELNS0_4arch9wavefront6targetE0EEEvT1_.kd
    .uniform_work_group_size: 1
    .uses_dynamic_stack: false
    .vgpr_count:     0
    .vgpr_spill_count: 0
    .wavefront_size: 32
  - .args:
      - .offset:         0
        .size:           128
        .value_kind:     by_value
    .group_segment_fixed_size: 0
    .kernarg_segment_align: 8
    .kernarg_segment_size: 128
    .language:       OpenCL C
    .language_version:
      - 2
      - 0
    .max_flat_workgroup_size: 512
    .name:           _ZN7rocprim17ROCPRIM_400000_NS6detail17trampoline_kernelINS0_14default_configENS1_25partition_config_selectorILNS1_17partition_subalgoE8EiNS0_10empty_typeEbEEZZNS1_14partition_implILS5_8ELb0ES3_jPKiPS6_PKS6_NS0_5tupleIJPiS6_EEENSE_IJSB_SB_EEENS0_18inequality_wrapperIN6hipcub16HIPCUB_304000_NS8EqualityEEEPlJS6_EEE10hipError_tPvRmT3_T4_T5_T6_T7_T9_mT8_P12ihipStream_tbDpT10_ENKUlT_T0_E_clISt17integral_constantIbLb1EES17_EEDaS12_S13_EUlS12_E_NS1_11comp_targetILNS1_3genE8ELNS1_11target_archE1030ELNS1_3gpuE2ELNS1_3repE0EEENS1_30default_config_static_selectorELNS0_4arch9wavefront6targetE0EEEvT1_
    .private_segment_fixed_size: 0
    .sgpr_count:     0
    .sgpr_spill_count: 0
    .symbol:         _ZN7rocprim17ROCPRIM_400000_NS6detail17trampoline_kernelINS0_14default_configENS1_25partition_config_selectorILNS1_17partition_subalgoE8EiNS0_10empty_typeEbEEZZNS1_14partition_implILS5_8ELb0ES3_jPKiPS6_PKS6_NS0_5tupleIJPiS6_EEENSE_IJSB_SB_EEENS0_18inequality_wrapperIN6hipcub16HIPCUB_304000_NS8EqualityEEEPlJS6_EEE10hipError_tPvRmT3_T4_T5_T6_T7_T9_mT8_P12ihipStream_tbDpT10_ENKUlT_T0_E_clISt17integral_constantIbLb1EES17_EEDaS12_S13_EUlS12_E_NS1_11comp_targetILNS1_3genE8ELNS1_11target_archE1030ELNS1_3gpuE2ELNS1_3repE0EEENS1_30default_config_static_selectorELNS0_4arch9wavefront6targetE0EEEvT1_.kd
    .uniform_work_group_size: 1
    .uses_dynamic_stack: false
    .vgpr_count:     0
    .vgpr_spill_count: 0
    .wavefront_size: 32
  - .args:
      - .address_space:  global
        .offset:         0
        .size:           8
        .value_kind:     global_buffer
      - .offset:         8
        .size:           4
        .value_kind:     by_value
      - .offset:         12
        .size:           1
        .value_kind:     by_value
      - .offset:         16
        .size:           4
        .value_kind:     by_value
      - .address_space:  global
        .offset:         24
        .size:           8
        .value_kind:     global_buffer
      - .offset:         32
        .size:           4
        .value_kind:     hidden_block_count_x
      - .offset:         36
        .size:           4
        .value_kind:     hidden_block_count_y
      - .offset:         40
        .size:           4
        .value_kind:     hidden_block_count_z
      - .offset:         44
        .size:           2
        .value_kind:     hidden_group_size_x
      - .offset:         46
        .size:           2
        .value_kind:     hidden_group_size_y
      - .offset:         48
        .size:           2
        .value_kind:     hidden_group_size_z
      - .offset:         50
        .size:           2
        .value_kind:     hidden_remainder_x
      - .offset:         52
        .size:           2
        .value_kind:     hidden_remainder_y
      - .offset:         54
        .size:           2
        .value_kind:     hidden_remainder_z
      - .offset:         72
        .size:           8
        .value_kind:     hidden_global_offset_x
      - .offset:         80
        .size:           8
        .value_kind:     hidden_global_offset_y
      - .offset:         88
        .size:           8
        .value_kind:     hidden_global_offset_z
      - .offset:         96
        .size:           2
        .value_kind:     hidden_grid_dims
    .group_segment_fixed_size: 0
    .kernarg_segment_align: 8
    .kernarg_segment_size: 288
    .language:       OpenCL C
    .language_version:
      - 2
      - 0
    .max_flat_workgroup_size: 256
    .name:           _ZN7rocprim17ROCPRIM_400000_NS6detail31init_lookback_scan_state_kernelINS1_19lookback_scan_stateIjLb1ELb1EEENS1_16block_id_wrapperIjLb0EEEEEvT_jT0_jPNS7_10value_typeE
    .private_segment_fixed_size: 0
    .sgpr_count:     13
    .sgpr_spill_count: 0
    .symbol:         _ZN7rocprim17ROCPRIM_400000_NS6detail31init_lookback_scan_state_kernelINS1_19lookback_scan_stateIjLb1ELb1EEENS1_16block_id_wrapperIjLb0EEEEEvT_jT0_jPNS7_10value_typeE.kd
    .uniform_work_group_size: 1
    .uses_dynamic_stack: false
    .vgpr_count:     5
    .vgpr_spill_count: 0
    .wavefront_size: 32
  - .args:
      - .offset:         0
        .size:           112
        .value_kind:     by_value
    .group_segment_fixed_size: 0
    .kernarg_segment_align: 8
    .kernarg_segment_size: 112
    .language:       OpenCL C
    .language_version:
      - 2
      - 0
    .max_flat_workgroup_size: 512
    .name:           _ZN7rocprim17ROCPRIM_400000_NS6detail17trampoline_kernelINS0_14default_configENS1_25partition_config_selectorILNS1_17partition_subalgoE8EiNS0_10empty_typeEbEEZZNS1_14partition_implILS5_8ELb0ES3_jPKiPS6_PKS6_NS0_5tupleIJPiS6_EEENSE_IJSB_SB_EEENS0_18inequality_wrapperIN6hipcub16HIPCUB_304000_NS8EqualityEEEPlJS6_EEE10hipError_tPvRmT3_T4_T5_T6_T7_T9_mT8_P12ihipStream_tbDpT10_ENKUlT_T0_E_clISt17integral_constantIbLb1EES16_IbLb0EEEEDaS12_S13_EUlS12_E_NS1_11comp_targetILNS1_3genE0ELNS1_11target_archE4294967295ELNS1_3gpuE0ELNS1_3repE0EEENS1_30default_config_static_selectorELNS0_4arch9wavefront6targetE0EEEvT1_
    .private_segment_fixed_size: 0
    .sgpr_count:     0
    .sgpr_spill_count: 0
    .symbol:         _ZN7rocprim17ROCPRIM_400000_NS6detail17trampoline_kernelINS0_14default_configENS1_25partition_config_selectorILNS1_17partition_subalgoE8EiNS0_10empty_typeEbEEZZNS1_14partition_implILS5_8ELb0ES3_jPKiPS6_PKS6_NS0_5tupleIJPiS6_EEENSE_IJSB_SB_EEENS0_18inequality_wrapperIN6hipcub16HIPCUB_304000_NS8EqualityEEEPlJS6_EEE10hipError_tPvRmT3_T4_T5_T6_T7_T9_mT8_P12ihipStream_tbDpT10_ENKUlT_T0_E_clISt17integral_constantIbLb1EES16_IbLb0EEEEDaS12_S13_EUlS12_E_NS1_11comp_targetILNS1_3genE0ELNS1_11target_archE4294967295ELNS1_3gpuE0ELNS1_3repE0EEENS1_30default_config_static_selectorELNS0_4arch9wavefront6targetE0EEEvT1_.kd
    .uniform_work_group_size: 1
    .uses_dynamic_stack: false
    .vgpr_count:     0
    .vgpr_spill_count: 0
    .wavefront_size: 32
  - .args:
      - .offset:         0
        .size:           112
        .value_kind:     by_value
    .group_segment_fixed_size: 0
    .kernarg_segment_align: 8
    .kernarg_segment_size: 112
    .language:       OpenCL C
    .language_version:
      - 2
      - 0
    .max_flat_workgroup_size: 512
    .name:           _ZN7rocprim17ROCPRIM_400000_NS6detail17trampoline_kernelINS0_14default_configENS1_25partition_config_selectorILNS1_17partition_subalgoE8EiNS0_10empty_typeEbEEZZNS1_14partition_implILS5_8ELb0ES3_jPKiPS6_PKS6_NS0_5tupleIJPiS6_EEENSE_IJSB_SB_EEENS0_18inequality_wrapperIN6hipcub16HIPCUB_304000_NS8EqualityEEEPlJS6_EEE10hipError_tPvRmT3_T4_T5_T6_T7_T9_mT8_P12ihipStream_tbDpT10_ENKUlT_T0_E_clISt17integral_constantIbLb1EES16_IbLb0EEEEDaS12_S13_EUlS12_E_NS1_11comp_targetILNS1_3genE5ELNS1_11target_archE942ELNS1_3gpuE9ELNS1_3repE0EEENS1_30default_config_static_selectorELNS0_4arch9wavefront6targetE0EEEvT1_
    .private_segment_fixed_size: 0
    .sgpr_count:     0
    .sgpr_spill_count: 0
    .symbol:         _ZN7rocprim17ROCPRIM_400000_NS6detail17trampoline_kernelINS0_14default_configENS1_25partition_config_selectorILNS1_17partition_subalgoE8EiNS0_10empty_typeEbEEZZNS1_14partition_implILS5_8ELb0ES3_jPKiPS6_PKS6_NS0_5tupleIJPiS6_EEENSE_IJSB_SB_EEENS0_18inequality_wrapperIN6hipcub16HIPCUB_304000_NS8EqualityEEEPlJS6_EEE10hipError_tPvRmT3_T4_T5_T6_T7_T9_mT8_P12ihipStream_tbDpT10_ENKUlT_T0_E_clISt17integral_constantIbLb1EES16_IbLb0EEEEDaS12_S13_EUlS12_E_NS1_11comp_targetILNS1_3genE5ELNS1_11target_archE942ELNS1_3gpuE9ELNS1_3repE0EEENS1_30default_config_static_selectorELNS0_4arch9wavefront6targetE0EEEvT1_.kd
    .uniform_work_group_size: 1
    .uses_dynamic_stack: false
    .vgpr_count:     0
    .vgpr_spill_count: 0
    .wavefront_size: 32
  - .args:
      - .offset:         0
        .size:           112
        .value_kind:     by_value
    .group_segment_fixed_size: 0
    .kernarg_segment_align: 8
    .kernarg_segment_size: 112
    .language:       OpenCL C
    .language_version:
      - 2
      - 0
    .max_flat_workgroup_size: 256
    .name:           _ZN7rocprim17ROCPRIM_400000_NS6detail17trampoline_kernelINS0_14default_configENS1_25partition_config_selectorILNS1_17partition_subalgoE8EiNS0_10empty_typeEbEEZZNS1_14partition_implILS5_8ELb0ES3_jPKiPS6_PKS6_NS0_5tupleIJPiS6_EEENSE_IJSB_SB_EEENS0_18inequality_wrapperIN6hipcub16HIPCUB_304000_NS8EqualityEEEPlJS6_EEE10hipError_tPvRmT3_T4_T5_T6_T7_T9_mT8_P12ihipStream_tbDpT10_ENKUlT_T0_E_clISt17integral_constantIbLb1EES16_IbLb0EEEEDaS12_S13_EUlS12_E_NS1_11comp_targetILNS1_3genE4ELNS1_11target_archE910ELNS1_3gpuE8ELNS1_3repE0EEENS1_30default_config_static_selectorELNS0_4arch9wavefront6targetE0EEEvT1_
    .private_segment_fixed_size: 0
    .sgpr_count:     0
    .sgpr_spill_count: 0
    .symbol:         _ZN7rocprim17ROCPRIM_400000_NS6detail17trampoline_kernelINS0_14default_configENS1_25partition_config_selectorILNS1_17partition_subalgoE8EiNS0_10empty_typeEbEEZZNS1_14partition_implILS5_8ELb0ES3_jPKiPS6_PKS6_NS0_5tupleIJPiS6_EEENSE_IJSB_SB_EEENS0_18inequality_wrapperIN6hipcub16HIPCUB_304000_NS8EqualityEEEPlJS6_EEE10hipError_tPvRmT3_T4_T5_T6_T7_T9_mT8_P12ihipStream_tbDpT10_ENKUlT_T0_E_clISt17integral_constantIbLb1EES16_IbLb0EEEEDaS12_S13_EUlS12_E_NS1_11comp_targetILNS1_3genE4ELNS1_11target_archE910ELNS1_3gpuE8ELNS1_3repE0EEENS1_30default_config_static_selectorELNS0_4arch9wavefront6targetE0EEEvT1_.kd
    .uniform_work_group_size: 1
    .uses_dynamic_stack: false
    .vgpr_count:     0
    .vgpr_spill_count: 0
    .wavefront_size: 32
  - .args:
      - .offset:         0
        .size:           112
        .value_kind:     by_value
    .group_segment_fixed_size: 0
    .kernarg_segment_align: 8
    .kernarg_segment_size: 112
    .language:       OpenCL C
    .language_version:
      - 2
      - 0
    .max_flat_workgroup_size: 512
    .name:           _ZN7rocprim17ROCPRIM_400000_NS6detail17trampoline_kernelINS0_14default_configENS1_25partition_config_selectorILNS1_17partition_subalgoE8EiNS0_10empty_typeEbEEZZNS1_14partition_implILS5_8ELb0ES3_jPKiPS6_PKS6_NS0_5tupleIJPiS6_EEENSE_IJSB_SB_EEENS0_18inequality_wrapperIN6hipcub16HIPCUB_304000_NS8EqualityEEEPlJS6_EEE10hipError_tPvRmT3_T4_T5_T6_T7_T9_mT8_P12ihipStream_tbDpT10_ENKUlT_T0_E_clISt17integral_constantIbLb1EES16_IbLb0EEEEDaS12_S13_EUlS12_E_NS1_11comp_targetILNS1_3genE3ELNS1_11target_archE908ELNS1_3gpuE7ELNS1_3repE0EEENS1_30default_config_static_selectorELNS0_4arch9wavefront6targetE0EEEvT1_
    .private_segment_fixed_size: 0
    .sgpr_count:     0
    .sgpr_spill_count: 0
    .symbol:         _ZN7rocprim17ROCPRIM_400000_NS6detail17trampoline_kernelINS0_14default_configENS1_25partition_config_selectorILNS1_17partition_subalgoE8EiNS0_10empty_typeEbEEZZNS1_14partition_implILS5_8ELb0ES3_jPKiPS6_PKS6_NS0_5tupleIJPiS6_EEENSE_IJSB_SB_EEENS0_18inequality_wrapperIN6hipcub16HIPCUB_304000_NS8EqualityEEEPlJS6_EEE10hipError_tPvRmT3_T4_T5_T6_T7_T9_mT8_P12ihipStream_tbDpT10_ENKUlT_T0_E_clISt17integral_constantIbLb1EES16_IbLb0EEEEDaS12_S13_EUlS12_E_NS1_11comp_targetILNS1_3genE3ELNS1_11target_archE908ELNS1_3gpuE7ELNS1_3repE0EEENS1_30default_config_static_selectorELNS0_4arch9wavefront6targetE0EEEvT1_.kd
    .uniform_work_group_size: 1
    .uses_dynamic_stack: false
    .vgpr_count:     0
    .vgpr_spill_count: 0
    .wavefront_size: 32
  - .args:
      - .offset:         0
        .size:           112
        .value_kind:     by_value
    .group_segment_fixed_size: 0
    .kernarg_segment_align: 8
    .kernarg_segment_size: 112
    .language:       OpenCL C
    .language_version:
      - 2
      - 0
    .max_flat_workgroup_size: 256
    .name:           _ZN7rocprim17ROCPRIM_400000_NS6detail17trampoline_kernelINS0_14default_configENS1_25partition_config_selectorILNS1_17partition_subalgoE8EiNS0_10empty_typeEbEEZZNS1_14partition_implILS5_8ELb0ES3_jPKiPS6_PKS6_NS0_5tupleIJPiS6_EEENSE_IJSB_SB_EEENS0_18inequality_wrapperIN6hipcub16HIPCUB_304000_NS8EqualityEEEPlJS6_EEE10hipError_tPvRmT3_T4_T5_T6_T7_T9_mT8_P12ihipStream_tbDpT10_ENKUlT_T0_E_clISt17integral_constantIbLb1EES16_IbLb0EEEEDaS12_S13_EUlS12_E_NS1_11comp_targetILNS1_3genE2ELNS1_11target_archE906ELNS1_3gpuE6ELNS1_3repE0EEENS1_30default_config_static_selectorELNS0_4arch9wavefront6targetE0EEEvT1_
    .private_segment_fixed_size: 0
    .sgpr_count:     0
    .sgpr_spill_count: 0
    .symbol:         _ZN7rocprim17ROCPRIM_400000_NS6detail17trampoline_kernelINS0_14default_configENS1_25partition_config_selectorILNS1_17partition_subalgoE8EiNS0_10empty_typeEbEEZZNS1_14partition_implILS5_8ELb0ES3_jPKiPS6_PKS6_NS0_5tupleIJPiS6_EEENSE_IJSB_SB_EEENS0_18inequality_wrapperIN6hipcub16HIPCUB_304000_NS8EqualityEEEPlJS6_EEE10hipError_tPvRmT3_T4_T5_T6_T7_T9_mT8_P12ihipStream_tbDpT10_ENKUlT_T0_E_clISt17integral_constantIbLb1EES16_IbLb0EEEEDaS12_S13_EUlS12_E_NS1_11comp_targetILNS1_3genE2ELNS1_11target_archE906ELNS1_3gpuE6ELNS1_3repE0EEENS1_30default_config_static_selectorELNS0_4arch9wavefront6targetE0EEEvT1_.kd
    .uniform_work_group_size: 1
    .uses_dynamic_stack: false
    .vgpr_count:     0
    .vgpr_spill_count: 0
    .wavefront_size: 32
  - .args:
      - .offset:         0
        .size:           112
        .value_kind:     by_value
    .group_segment_fixed_size: 0
    .kernarg_segment_align: 8
    .kernarg_segment_size: 112
    .language:       OpenCL C
    .language_version:
      - 2
      - 0
    .max_flat_workgroup_size: 384
    .name:           _ZN7rocprim17ROCPRIM_400000_NS6detail17trampoline_kernelINS0_14default_configENS1_25partition_config_selectorILNS1_17partition_subalgoE8EiNS0_10empty_typeEbEEZZNS1_14partition_implILS5_8ELb0ES3_jPKiPS6_PKS6_NS0_5tupleIJPiS6_EEENSE_IJSB_SB_EEENS0_18inequality_wrapperIN6hipcub16HIPCUB_304000_NS8EqualityEEEPlJS6_EEE10hipError_tPvRmT3_T4_T5_T6_T7_T9_mT8_P12ihipStream_tbDpT10_ENKUlT_T0_E_clISt17integral_constantIbLb1EES16_IbLb0EEEEDaS12_S13_EUlS12_E_NS1_11comp_targetILNS1_3genE10ELNS1_11target_archE1200ELNS1_3gpuE4ELNS1_3repE0EEENS1_30default_config_static_selectorELNS0_4arch9wavefront6targetE0EEEvT1_
    .private_segment_fixed_size: 0
    .sgpr_count:     0
    .sgpr_spill_count: 0
    .symbol:         _ZN7rocprim17ROCPRIM_400000_NS6detail17trampoline_kernelINS0_14default_configENS1_25partition_config_selectorILNS1_17partition_subalgoE8EiNS0_10empty_typeEbEEZZNS1_14partition_implILS5_8ELb0ES3_jPKiPS6_PKS6_NS0_5tupleIJPiS6_EEENSE_IJSB_SB_EEENS0_18inequality_wrapperIN6hipcub16HIPCUB_304000_NS8EqualityEEEPlJS6_EEE10hipError_tPvRmT3_T4_T5_T6_T7_T9_mT8_P12ihipStream_tbDpT10_ENKUlT_T0_E_clISt17integral_constantIbLb1EES16_IbLb0EEEEDaS12_S13_EUlS12_E_NS1_11comp_targetILNS1_3genE10ELNS1_11target_archE1200ELNS1_3gpuE4ELNS1_3repE0EEENS1_30default_config_static_selectorELNS0_4arch9wavefront6targetE0EEEvT1_.kd
    .uniform_work_group_size: 1
    .uses_dynamic_stack: false
    .vgpr_count:     0
    .vgpr_spill_count: 0
    .wavefront_size: 32
  - .args:
      - .offset:         0
        .size:           112
        .value_kind:     by_value
    .group_segment_fixed_size: 0
    .kernarg_segment_align: 8
    .kernarg_segment_size: 112
    .language:       OpenCL C
    .language_version:
      - 2
      - 0
    .max_flat_workgroup_size: 384
    .name:           _ZN7rocprim17ROCPRIM_400000_NS6detail17trampoline_kernelINS0_14default_configENS1_25partition_config_selectorILNS1_17partition_subalgoE8EiNS0_10empty_typeEbEEZZNS1_14partition_implILS5_8ELb0ES3_jPKiPS6_PKS6_NS0_5tupleIJPiS6_EEENSE_IJSB_SB_EEENS0_18inequality_wrapperIN6hipcub16HIPCUB_304000_NS8EqualityEEEPlJS6_EEE10hipError_tPvRmT3_T4_T5_T6_T7_T9_mT8_P12ihipStream_tbDpT10_ENKUlT_T0_E_clISt17integral_constantIbLb1EES16_IbLb0EEEEDaS12_S13_EUlS12_E_NS1_11comp_targetILNS1_3genE9ELNS1_11target_archE1100ELNS1_3gpuE3ELNS1_3repE0EEENS1_30default_config_static_selectorELNS0_4arch9wavefront6targetE0EEEvT1_
    .private_segment_fixed_size: 0
    .sgpr_count:     0
    .sgpr_spill_count: 0
    .symbol:         _ZN7rocprim17ROCPRIM_400000_NS6detail17trampoline_kernelINS0_14default_configENS1_25partition_config_selectorILNS1_17partition_subalgoE8EiNS0_10empty_typeEbEEZZNS1_14partition_implILS5_8ELb0ES3_jPKiPS6_PKS6_NS0_5tupleIJPiS6_EEENSE_IJSB_SB_EEENS0_18inequality_wrapperIN6hipcub16HIPCUB_304000_NS8EqualityEEEPlJS6_EEE10hipError_tPvRmT3_T4_T5_T6_T7_T9_mT8_P12ihipStream_tbDpT10_ENKUlT_T0_E_clISt17integral_constantIbLb1EES16_IbLb0EEEEDaS12_S13_EUlS12_E_NS1_11comp_targetILNS1_3genE9ELNS1_11target_archE1100ELNS1_3gpuE3ELNS1_3repE0EEENS1_30default_config_static_selectorELNS0_4arch9wavefront6targetE0EEEvT1_.kd
    .uniform_work_group_size: 1
    .uses_dynamic_stack: false
    .vgpr_count:     0
    .vgpr_spill_count: 0
    .wavefront_size: 32
  - .args:
      - .offset:         0
        .size:           112
        .value_kind:     by_value
    .group_segment_fixed_size: 0
    .kernarg_segment_align: 8
    .kernarg_segment_size: 112
    .language:       OpenCL C
    .language_version:
      - 2
      - 0
    .max_flat_workgroup_size: 512
    .name:           _ZN7rocprim17ROCPRIM_400000_NS6detail17trampoline_kernelINS0_14default_configENS1_25partition_config_selectorILNS1_17partition_subalgoE8EiNS0_10empty_typeEbEEZZNS1_14partition_implILS5_8ELb0ES3_jPKiPS6_PKS6_NS0_5tupleIJPiS6_EEENSE_IJSB_SB_EEENS0_18inequality_wrapperIN6hipcub16HIPCUB_304000_NS8EqualityEEEPlJS6_EEE10hipError_tPvRmT3_T4_T5_T6_T7_T9_mT8_P12ihipStream_tbDpT10_ENKUlT_T0_E_clISt17integral_constantIbLb1EES16_IbLb0EEEEDaS12_S13_EUlS12_E_NS1_11comp_targetILNS1_3genE8ELNS1_11target_archE1030ELNS1_3gpuE2ELNS1_3repE0EEENS1_30default_config_static_selectorELNS0_4arch9wavefront6targetE0EEEvT1_
    .private_segment_fixed_size: 0
    .sgpr_count:     0
    .sgpr_spill_count: 0
    .symbol:         _ZN7rocprim17ROCPRIM_400000_NS6detail17trampoline_kernelINS0_14default_configENS1_25partition_config_selectorILNS1_17partition_subalgoE8EiNS0_10empty_typeEbEEZZNS1_14partition_implILS5_8ELb0ES3_jPKiPS6_PKS6_NS0_5tupleIJPiS6_EEENSE_IJSB_SB_EEENS0_18inequality_wrapperIN6hipcub16HIPCUB_304000_NS8EqualityEEEPlJS6_EEE10hipError_tPvRmT3_T4_T5_T6_T7_T9_mT8_P12ihipStream_tbDpT10_ENKUlT_T0_E_clISt17integral_constantIbLb1EES16_IbLb0EEEEDaS12_S13_EUlS12_E_NS1_11comp_targetILNS1_3genE8ELNS1_11target_archE1030ELNS1_3gpuE2ELNS1_3repE0EEENS1_30default_config_static_selectorELNS0_4arch9wavefront6targetE0EEEvT1_.kd
    .uniform_work_group_size: 1
    .uses_dynamic_stack: false
    .vgpr_count:     0
    .vgpr_spill_count: 0
    .wavefront_size: 32
  - .args:
      - .address_space:  global
        .offset:         0
        .size:           8
        .value_kind:     global_buffer
      - .offset:         8
        .size:           4
        .value_kind:     by_value
      - .address_space:  global
        .offset:         16
        .size:           8
        .value_kind:     global_buffer
      - .offset:         24
        .size:           4
        .value_kind:     by_value
      - .address_space:  global
        .offset:         32
        .size:           8
        .value_kind:     global_buffer
      - .offset:         40
        .size:           4
        .value_kind:     hidden_block_count_x
      - .offset:         44
        .size:           4
        .value_kind:     hidden_block_count_y
      - .offset:         48
        .size:           4
        .value_kind:     hidden_block_count_z
      - .offset:         52
        .size:           2
        .value_kind:     hidden_group_size_x
      - .offset:         54
        .size:           2
        .value_kind:     hidden_group_size_y
      - .offset:         56
        .size:           2
        .value_kind:     hidden_group_size_z
      - .offset:         58
        .size:           2
        .value_kind:     hidden_remainder_x
      - .offset:         60
        .size:           2
        .value_kind:     hidden_remainder_y
      - .offset:         62
        .size:           2
        .value_kind:     hidden_remainder_z
      - .offset:         80
        .size:           8
        .value_kind:     hidden_global_offset_x
      - .offset:         88
        .size:           8
        .value_kind:     hidden_global_offset_y
      - .offset:         96
        .size:           8
        .value_kind:     hidden_global_offset_z
      - .offset:         104
        .size:           2
        .value_kind:     hidden_grid_dims
    .group_segment_fixed_size: 0
    .kernarg_segment_align: 8
    .kernarg_segment_size: 296
    .language:       OpenCL C
    .language_version:
      - 2
      - 0
    .max_flat_workgroup_size: 256
    .name:           _ZN7rocprim17ROCPRIM_400000_NS6detail31init_lookback_scan_state_kernelINS1_19lookback_scan_stateIjLb0ELb1EEENS1_16block_id_wrapperIjLb1EEEEEvT_jT0_jPNS7_10value_typeE
    .private_segment_fixed_size: 0
    .sgpr_count:     13
    .sgpr_spill_count: 0
    .symbol:         _ZN7rocprim17ROCPRIM_400000_NS6detail31init_lookback_scan_state_kernelINS1_19lookback_scan_stateIjLb0ELb1EEENS1_16block_id_wrapperIjLb1EEEEEvT_jT0_jPNS7_10value_typeE.kd
    .uniform_work_group_size: 1
    .uses_dynamic_stack: false
    .vgpr_count:     5
    .vgpr_spill_count: 0
    .wavefront_size: 32
  - .args:
      - .offset:         0
        .size:           128
        .value_kind:     by_value
    .group_segment_fixed_size: 22536
    .kernarg_segment_align: 8
    .kernarg_segment_size: 128
    .language:       OpenCL C
    .language_version:
      - 2
      - 0
    .max_flat_workgroup_size: 512
    .name:           _ZN7rocprim17ROCPRIM_400000_NS6detail17trampoline_kernelINS0_14default_configENS1_25partition_config_selectorILNS1_17partition_subalgoE8EiNS0_10empty_typeEbEEZZNS1_14partition_implILS5_8ELb0ES3_jPKiPS6_PKS6_NS0_5tupleIJPiS6_EEENSE_IJSB_SB_EEENS0_18inequality_wrapperIN6hipcub16HIPCUB_304000_NS8EqualityEEEPlJS6_EEE10hipError_tPvRmT3_T4_T5_T6_T7_T9_mT8_P12ihipStream_tbDpT10_ENKUlT_T0_E_clISt17integral_constantIbLb0EES16_IbLb1EEEEDaS12_S13_EUlS12_E_NS1_11comp_targetILNS1_3genE0ELNS1_11target_archE4294967295ELNS1_3gpuE0ELNS1_3repE0EEENS1_30default_config_static_selectorELNS0_4arch9wavefront6targetE0EEEvT1_
    .private_segment_fixed_size: 0
    .sgpr_count:     34
    .sgpr_spill_count: 0
    .symbol:         _ZN7rocprim17ROCPRIM_400000_NS6detail17trampoline_kernelINS0_14default_configENS1_25partition_config_selectorILNS1_17partition_subalgoE8EiNS0_10empty_typeEbEEZZNS1_14partition_implILS5_8ELb0ES3_jPKiPS6_PKS6_NS0_5tupleIJPiS6_EEENSE_IJSB_SB_EEENS0_18inequality_wrapperIN6hipcub16HIPCUB_304000_NS8EqualityEEEPlJS6_EEE10hipError_tPvRmT3_T4_T5_T6_T7_T9_mT8_P12ihipStream_tbDpT10_ENKUlT_T0_E_clISt17integral_constantIbLb0EES16_IbLb1EEEEDaS12_S13_EUlS12_E_NS1_11comp_targetILNS1_3genE0ELNS1_11target_archE4294967295ELNS1_3gpuE0ELNS1_3repE0EEENS1_30default_config_static_selectorELNS0_4arch9wavefront6targetE0EEEvT1_.kd
    .uniform_work_group_size: 1
    .uses_dynamic_stack: false
    .vgpr_count:     62
    .vgpr_spill_count: 0
    .wavefront_size: 32
  - .args:
      - .offset:         0
        .size:           128
        .value_kind:     by_value
    .group_segment_fixed_size: 0
    .kernarg_segment_align: 8
    .kernarg_segment_size: 128
    .language:       OpenCL C
    .language_version:
      - 2
      - 0
    .max_flat_workgroup_size: 512
    .name:           _ZN7rocprim17ROCPRIM_400000_NS6detail17trampoline_kernelINS0_14default_configENS1_25partition_config_selectorILNS1_17partition_subalgoE8EiNS0_10empty_typeEbEEZZNS1_14partition_implILS5_8ELb0ES3_jPKiPS6_PKS6_NS0_5tupleIJPiS6_EEENSE_IJSB_SB_EEENS0_18inequality_wrapperIN6hipcub16HIPCUB_304000_NS8EqualityEEEPlJS6_EEE10hipError_tPvRmT3_T4_T5_T6_T7_T9_mT8_P12ihipStream_tbDpT10_ENKUlT_T0_E_clISt17integral_constantIbLb0EES16_IbLb1EEEEDaS12_S13_EUlS12_E_NS1_11comp_targetILNS1_3genE5ELNS1_11target_archE942ELNS1_3gpuE9ELNS1_3repE0EEENS1_30default_config_static_selectorELNS0_4arch9wavefront6targetE0EEEvT1_
    .private_segment_fixed_size: 0
    .sgpr_count:     0
    .sgpr_spill_count: 0
    .symbol:         _ZN7rocprim17ROCPRIM_400000_NS6detail17trampoline_kernelINS0_14default_configENS1_25partition_config_selectorILNS1_17partition_subalgoE8EiNS0_10empty_typeEbEEZZNS1_14partition_implILS5_8ELb0ES3_jPKiPS6_PKS6_NS0_5tupleIJPiS6_EEENSE_IJSB_SB_EEENS0_18inequality_wrapperIN6hipcub16HIPCUB_304000_NS8EqualityEEEPlJS6_EEE10hipError_tPvRmT3_T4_T5_T6_T7_T9_mT8_P12ihipStream_tbDpT10_ENKUlT_T0_E_clISt17integral_constantIbLb0EES16_IbLb1EEEEDaS12_S13_EUlS12_E_NS1_11comp_targetILNS1_3genE5ELNS1_11target_archE942ELNS1_3gpuE9ELNS1_3repE0EEENS1_30default_config_static_selectorELNS0_4arch9wavefront6targetE0EEEvT1_.kd
    .uniform_work_group_size: 1
    .uses_dynamic_stack: false
    .vgpr_count:     0
    .vgpr_spill_count: 0
    .wavefront_size: 32
  - .args:
      - .offset:         0
        .size:           128
        .value_kind:     by_value
    .group_segment_fixed_size: 0
    .kernarg_segment_align: 8
    .kernarg_segment_size: 128
    .language:       OpenCL C
    .language_version:
      - 2
      - 0
    .max_flat_workgroup_size: 256
    .name:           _ZN7rocprim17ROCPRIM_400000_NS6detail17trampoline_kernelINS0_14default_configENS1_25partition_config_selectorILNS1_17partition_subalgoE8EiNS0_10empty_typeEbEEZZNS1_14partition_implILS5_8ELb0ES3_jPKiPS6_PKS6_NS0_5tupleIJPiS6_EEENSE_IJSB_SB_EEENS0_18inequality_wrapperIN6hipcub16HIPCUB_304000_NS8EqualityEEEPlJS6_EEE10hipError_tPvRmT3_T4_T5_T6_T7_T9_mT8_P12ihipStream_tbDpT10_ENKUlT_T0_E_clISt17integral_constantIbLb0EES16_IbLb1EEEEDaS12_S13_EUlS12_E_NS1_11comp_targetILNS1_3genE4ELNS1_11target_archE910ELNS1_3gpuE8ELNS1_3repE0EEENS1_30default_config_static_selectorELNS0_4arch9wavefront6targetE0EEEvT1_
    .private_segment_fixed_size: 0
    .sgpr_count:     0
    .sgpr_spill_count: 0
    .symbol:         _ZN7rocprim17ROCPRIM_400000_NS6detail17trampoline_kernelINS0_14default_configENS1_25partition_config_selectorILNS1_17partition_subalgoE8EiNS0_10empty_typeEbEEZZNS1_14partition_implILS5_8ELb0ES3_jPKiPS6_PKS6_NS0_5tupleIJPiS6_EEENSE_IJSB_SB_EEENS0_18inequality_wrapperIN6hipcub16HIPCUB_304000_NS8EqualityEEEPlJS6_EEE10hipError_tPvRmT3_T4_T5_T6_T7_T9_mT8_P12ihipStream_tbDpT10_ENKUlT_T0_E_clISt17integral_constantIbLb0EES16_IbLb1EEEEDaS12_S13_EUlS12_E_NS1_11comp_targetILNS1_3genE4ELNS1_11target_archE910ELNS1_3gpuE8ELNS1_3repE0EEENS1_30default_config_static_selectorELNS0_4arch9wavefront6targetE0EEEvT1_.kd
    .uniform_work_group_size: 1
    .uses_dynamic_stack: false
    .vgpr_count:     0
    .vgpr_spill_count: 0
    .wavefront_size: 32
  - .args:
      - .offset:         0
        .size:           128
        .value_kind:     by_value
    .group_segment_fixed_size: 0
    .kernarg_segment_align: 8
    .kernarg_segment_size: 128
    .language:       OpenCL C
    .language_version:
      - 2
      - 0
    .max_flat_workgroup_size: 512
    .name:           _ZN7rocprim17ROCPRIM_400000_NS6detail17trampoline_kernelINS0_14default_configENS1_25partition_config_selectorILNS1_17partition_subalgoE8EiNS0_10empty_typeEbEEZZNS1_14partition_implILS5_8ELb0ES3_jPKiPS6_PKS6_NS0_5tupleIJPiS6_EEENSE_IJSB_SB_EEENS0_18inequality_wrapperIN6hipcub16HIPCUB_304000_NS8EqualityEEEPlJS6_EEE10hipError_tPvRmT3_T4_T5_T6_T7_T9_mT8_P12ihipStream_tbDpT10_ENKUlT_T0_E_clISt17integral_constantIbLb0EES16_IbLb1EEEEDaS12_S13_EUlS12_E_NS1_11comp_targetILNS1_3genE3ELNS1_11target_archE908ELNS1_3gpuE7ELNS1_3repE0EEENS1_30default_config_static_selectorELNS0_4arch9wavefront6targetE0EEEvT1_
    .private_segment_fixed_size: 0
    .sgpr_count:     0
    .sgpr_spill_count: 0
    .symbol:         _ZN7rocprim17ROCPRIM_400000_NS6detail17trampoline_kernelINS0_14default_configENS1_25partition_config_selectorILNS1_17partition_subalgoE8EiNS0_10empty_typeEbEEZZNS1_14partition_implILS5_8ELb0ES3_jPKiPS6_PKS6_NS0_5tupleIJPiS6_EEENSE_IJSB_SB_EEENS0_18inequality_wrapperIN6hipcub16HIPCUB_304000_NS8EqualityEEEPlJS6_EEE10hipError_tPvRmT3_T4_T5_T6_T7_T9_mT8_P12ihipStream_tbDpT10_ENKUlT_T0_E_clISt17integral_constantIbLb0EES16_IbLb1EEEEDaS12_S13_EUlS12_E_NS1_11comp_targetILNS1_3genE3ELNS1_11target_archE908ELNS1_3gpuE7ELNS1_3repE0EEENS1_30default_config_static_selectorELNS0_4arch9wavefront6targetE0EEEvT1_.kd
    .uniform_work_group_size: 1
    .uses_dynamic_stack: false
    .vgpr_count:     0
    .vgpr_spill_count: 0
    .wavefront_size: 32
  - .args:
      - .offset:         0
        .size:           128
        .value_kind:     by_value
    .group_segment_fixed_size: 0
    .kernarg_segment_align: 8
    .kernarg_segment_size: 128
    .language:       OpenCL C
    .language_version:
      - 2
      - 0
    .max_flat_workgroup_size: 256
    .name:           _ZN7rocprim17ROCPRIM_400000_NS6detail17trampoline_kernelINS0_14default_configENS1_25partition_config_selectorILNS1_17partition_subalgoE8EiNS0_10empty_typeEbEEZZNS1_14partition_implILS5_8ELb0ES3_jPKiPS6_PKS6_NS0_5tupleIJPiS6_EEENSE_IJSB_SB_EEENS0_18inequality_wrapperIN6hipcub16HIPCUB_304000_NS8EqualityEEEPlJS6_EEE10hipError_tPvRmT3_T4_T5_T6_T7_T9_mT8_P12ihipStream_tbDpT10_ENKUlT_T0_E_clISt17integral_constantIbLb0EES16_IbLb1EEEEDaS12_S13_EUlS12_E_NS1_11comp_targetILNS1_3genE2ELNS1_11target_archE906ELNS1_3gpuE6ELNS1_3repE0EEENS1_30default_config_static_selectorELNS0_4arch9wavefront6targetE0EEEvT1_
    .private_segment_fixed_size: 0
    .sgpr_count:     0
    .sgpr_spill_count: 0
    .symbol:         _ZN7rocprim17ROCPRIM_400000_NS6detail17trampoline_kernelINS0_14default_configENS1_25partition_config_selectorILNS1_17partition_subalgoE8EiNS0_10empty_typeEbEEZZNS1_14partition_implILS5_8ELb0ES3_jPKiPS6_PKS6_NS0_5tupleIJPiS6_EEENSE_IJSB_SB_EEENS0_18inequality_wrapperIN6hipcub16HIPCUB_304000_NS8EqualityEEEPlJS6_EEE10hipError_tPvRmT3_T4_T5_T6_T7_T9_mT8_P12ihipStream_tbDpT10_ENKUlT_T0_E_clISt17integral_constantIbLb0EES16_IbLb1EEEEDaS12_S13_EUlS12_E_NS1_11comp_targetILNS1_3genE2ELNS1_11target_archE906ELNS1_3gpuE6ELNS1_3repE0EEENS1_30default_config_static_selectorELNS0_4arch9wavefront6targetE0EEEvT1_.kd
    .uniform_work_group_size: 1
    .uses_dynamic_stack: false
    .vgpr_count:     0
    .vgpr_spill_count: 0
    .wavefront_size: 32
  - .args:
      - .offset:         0
        .size:           128
        .value_kind:     by_value
    .group_segment_fixed_size: 0
    .kernarg_segment_align: 8
    .kernarg_segment_size: 128
    .language:       OpenCL C
    .language_version:
      - 2
      - 0
    .max_flat_workgroup_size: 384
    .name:           _ZN7rocprim17ROCPRIM_400000_NS6detail17trampoline_kernelINS0_14default_configENS1_25partition_config_selectorILNS1_17partition_subalgoE8EiNS0_10empty_typeEbEEZZNS1_14partition_implILS5_8ELb0ES3_jPKiPS6_PKS6_NS0_5tupleIJPiS6_EEENSE_IJSB_SB_EEENS0_18inequality_wrapperIN6hipcub16HIPCUB_304000_NS8EqualityEEEPlJS6_EEE10hipError_tPvRmT3_T4_T5_T6_T7_T9_mT8_P12ihipStream_tbDpT10_ENKUlT_T0_E_clISt17integral_constantIbLb0EES16_IbLb1EEEEDaS12_S13_EUlS12_E_NS1_11comp_targetILNS1_3genE10ELNS1_11target_archE1200ELNS1_3gpuE4ELNS1_3repE0EEENS1_30default_config_static_selectorELNS0_4arch9wavefront6targetE0EEEvT1_
    .private_segment_fixed_size: 0
    .sgpr_count:     0
    .sgpr_spill_count: 0
    .symbol:         _ZN7rocprim17ROCPRIM_400000_NS6detail17trampoline_kernelINS0_14default_configENS1_25partition_config_selectorILNS1_17partition_subalgoE8EiNS0_10empty_typeEbEEZZNS1_14partition_implILS5_8ELb0ES3_jPKiPS6_PKS6_NS0_5tupleIJPiS6_EEENSE_IJSB_SB_EEENS0_18inequality_wrapperIN6hipcub16HIPCUB_304000_NS8EqualityEEEPlJS6_EEE10hipError_tPvRmT3_T4_T5_T6_T7_T9_mT8_P12ihipStream_tbDpT10_ENKUlT_T0_E_clISt17integral_constantIbLb0EES16_IbLb1EEEEDaS12_S13_EUlS12_E_NS1_11comp_targetILNS1_3genE10ELNS1_11target_archE1200ELNS1_3gpuE4ELNS1_3repE0EEENS1_30default_config_static_selectorELNS0_4arch9wavefront6targetE0EEEvT1_.kd
    .uniform_work_group_size: 1
    .uses_dynamic_stack: false
    .vgpr_count:     0
    .vgpr_spill_count: 0
    .wavefront_size: 32
  - .args:
      - .offset:         0
        .size:           128
        .value_kind:     by_value
    .group_segment_fixed_size: 0
    .kernarg_segment_align: 8
    .kernarg_segment_size: 128
    .language:       OpenCL C
    .language_version:
      - 2
      - 0
    .max_flat_workgroup_size: 384
    .name:           _ZN7rocprim17ROCPRIM_400000_NS6detail17trampoline_kernelINS0_14default_configENS1_25partition_config_selectorILNS1_17partition_subalgoE8EiNS0_10empty_typeEbEEZZNS1_14partition_implILS5_8ELb0ES3_jPKiPS6_PKS6_NS0_5tupleIJPiS6_EEENSE_IJSB_SB_EEENS0_18inequality_wrapperIN6hipcub16HIPCUB_304000_NS8EqualityEEEPlJS6_EEE10hipError_tPvRmT3_T4_T5_T6_T7_T9_mT8_P12ihipStream_tbDpT10_ENKUlT_T0_E_clISt17integral_constantIbLb0EES16_IbLb1EEEEDaS12_S13_EUlS12_E_NS1_11comp_targetILNS1_3genE9ELNS1_11target_archE1100ELNS1_3gpuE3ELNS1_3repE0EEENS1_30default_config_static_selectorELNS0_4arch9wavefront6targetE0EEEvT1_
    .private_segment_fixed_size: 0
    .sgpr_count:     0
    .sgpr_spill_count: 0
    .symbol:         _ZN7rocprim17ROCPRIM_400000_NS6detail17trampoline_kernelINS0_14default_configENS1_25partition_config_selectorILNS1_17partition_subalgoE8EiNS0_10empty_typeEbEEZZNS1_14partition_implILS5_8ELb0ES3_jPKiPS6_PKS6_NS0_5tupleIJPiS6_EEENSE_IJSB_SB_EEENS0_18inequality_wrapperIN6hipcub16HIPCUB_304000_NS8EqualityEEEPlJS6_EEE10hipError_tPvRmT3_T4_T5_T6_T7_T9_mT8_P12ihipStream_tbDpT10_ENKUlT_T0_E_clISt17integral_constantIbLb0EES16_IbLb1EEEEDaS12_S13_EUlS12_E_NS1_11comp_targetILNS1_3genE9ELNS1_11target_archE1100ELNS1_3gpuE3ELNS1_3repE0EEENS1_30default_config_static_selectorELNS0_4arch9wavefront6targetE0EEEvT1_.kd
    .uniform_work_group_size: 1
    .uses_dynamic_stack: false
    .vgpr_count:     0
    .vgpr_spill_count: 0
    .wavefront_size: 32
  - .args:
      - .offset:         0
        .size:           128
        .value_kind:     by_value
    .group_segment_fixed_size: 0
    .kernarg_segment_align: 8
    .kernarg_segment_size: 128
    .language:       OpenCL C
    .language_version:
      - 2
      - 0
    .max_flat_workgroup_size: 512
    .name:           _ZN7rocprim17ROCPRIM_400000_NS6detail17trampoline_kernelINS0_14default_configENS1_25partition_config_selectorILNS1_17partition_subalgoE8EiNS0_10empty_typeEbEEZZNS1_14partition_implILS5_8ELb0ES3_jPKiPS6_PKS6_NS0_5tupleIJPiS6_EEENSE_IJSB_SB_EEENS0_18inequality_wrapperIN6hipcub16HIPCUB_304000_NS8EqualityEEEPlJS6_EEE10hipError_tPvRmT3_T4_T5_T6_T7_T9_mT8_P12ihipStream_tbDpT10_ENKUlT_T0_E_clISt17integral_constantIbLb0EES16_IbLb1EEEEDaS12_S13_EUlS12_E_NS1_11comp_targetILNS1_3genE8ELNS1_11target_archE1030ELNS1_3gpuE2ELNS1_3repE0EEENS1_30default_config_static_selectorELNS0_4arch9wavefront6targetE0EEEvT1_
    .private_segment_fixed_size: 0
    .sgpr_count:     0
    .sgpr_spill_count: 0
    .symbol:         _ZN7rocprim17ROCPRIM_400000_NS6detail17trampoline_kernelINS0_14default_configENS1_25partition_config_selectorILNS1_17partition_subalgoE8EiNS0_10empty_typeEbEEZZNS1_14partition_implILS5_8ELb0ES3_jPKiPS6_PKS6_NS0_5tupleIJPiS6_EEENSE_IJSB_SB_EEENS0_18inequality_wrapperIN6hipcub16HIPCUB_304000_NS8EqualityEEEPlJS6_EEE10hipError_tPvRmT3_T4_T5_T6_T7_T9_mT8_P12ihipStream_tbDpT10_ENKUlT_T0_E_clISt17integral_constantIbLb0EES16_IbLb1EEEEDaS12_S13_EUlS12_E_NS1_11comp_targetILNS1_3genE8ELNS1_11target_archE1030ELNS1_3gpuE2ELNS1_3repE0EEENS1_30default_config_static_selectorELNS0_4arch9wavefront6targetE0EEEvT1_.kd
    .uniform_work_group_size: 1
    .uses_dynamic_stack: false
    .vgpr_count:     0
    .vgpr_spill_count: 0
    .wavefront_size: 32
  - .args:
      - .address_space:  global
        .offset:         0
        .size:           8
        .value_kind:     global_buffer
      - .address_space:  global
        .offset:         8
        .size:           8
        .value_kind:     global_buffer
      - .offset:         16
        .size:           8
        .value_kind:     by_value
      - .offset:         24
        .size:           8
        .value_kind:     by_value
      - .offset:         32
        .size:           8
        .value_kind:     by_value
      - .offset:         40
        .size:           8
        .value_kind:     by_value
      - .offset:         48
        .size:           8
        .value_kind:     by_value
      - .offset:         56
        .size:           8
        .value_kind:     by_value
      - .address_space:  global
        .offset:         64
        .size:           8
        .value_kind:     global_buffer
      - .offset:         72
        .size:           4
        .value_kind:     hidden_block_count_x
      - .offset:         76
        .size:           4
        .value_kind:     hidden_block_count_y
      - .offset:         80
        .size:           4
        .value_kind:     hidden_block_count_z
      - .offset:         84
        .size:           2
        .value_kind:     hidden_group_size_x
      - .offset:         86
        .size:           2
        .value_kind:     hidden_group_size_y
      - .offset:         88
        .size:           2
        .value_kind:     hidden_group_size_z
      - .offset:         90
        .size:           2
        .value_kind:     hidden_remainder_x
      - .offset:         92
        .size:           2
        .value_kind:     hidden_remainder_y
      - .offset:         94
        .size:           2
        .value_kind:     hidden_remainder_z
      - .offset:         112
        .size:           8
        .value_kind:     hidden_global_offset_x
      - .offset:         120
        .size:           8
        .value_kind:     hidden_global_offset_y
      - .offset:         128
        .size:           8
        .value_kind:     hidden_global_offset_z
      - .offset:         136
        .size:           2
        .value_kind:     hidden_grid_dims
      - .offset:         192
        .size:           4
        .value_kind:     hidden_dynamic_lds_size
    .group_segment_fixed_size: 0
    .kernarg_segment_align: 8
    .kernarg_segment_size: 328
    .language:       OpenCL C
    .language_version:
      - 2
      - 0
    .max_flat_workgroup_size: 1024
    .name:           _ZN2at6native12_GLOBAL__N_113renorm_kernelIddKiEEvPT_PT1_T0_S8_llllPKl
    .private_segment_fixed_size: 0
    .sgpr_count:     34
    .sgpr_spill_count: 0
    .symbol:         _ZN2at6native12_GLOBAL__N_113renorm_kernelIddKiEEvPT_PT1_T0_S8_llllPKl.kd
    .uniform_work_group_size: 1
    .uses_dynamic_stack: false
    .vgpr_count:     36
    .vgpr_spill_count: 0
    .wavefront_size: 32
  - .args:
      - .address_space:  global
        .offset:         0
        .size:           8
        .value_kind:     global_buffer
      - .address_space:  global
        .offset:         8
        .size:           8
        .value_kind:     global_buffer
      - .offset:         16
        .size:           4
        .value_kind:     by_value
      - .offset:         20
        .size:           4
        .value_kind:     by_value
      - .offset:         24
        .size:           8
        .value_kind:     by_value
      - .offset:         32
        .size:           8
        .value_kind:     by_value
      - .offset:         40
        .size:           8
        .value_kind:     by_value
      - .offset:         48
        .size:           8
        .value_kind:     by_value
      - .address_space:  global
        .offset:         56
        .size:           8
        .value_kind:     global_buffer
      - .offset:         64
        .size:           4
        .value_kind:     hidden_block_count_x
      - .offset:         68
        .size:           4
        .value_kind:     hidden_block_count_y
      - .offset:         72
        .size:           4
        .value_kind:     hidden_block_count_z
      - .offset:         76
        .size:           2
        .value_kind:     hidden_group_size_x
      - .offset:         78
        .size:           2
        .value_kind:     hidden_group_size_y
      - .offset:         80
        .size:           2
        .value_kind:     hidden_group_size_z
      - .offset:         82
        .size:           2
        .value_kind:     hidden_remainder_x
      - .offset:         84
        .size:           2
        .value_kind:     hidden_remainder_y
      - .offset:         86
        .size:           2
        .value_kind:     hidden_remainder_z
      - .offset:         104
        .size:           8
        .value_kind:     hidden_global_offset_x
      - .offset:         112
        .size:           8
        .value_kind:     hidden_global_offset_y
      - .offset:         120
        .size:           8
        .value_kind:     hidden_global_offset_z
      - .offset:         128
        .size:           2
        .value_kind:     hidden_grid_dims
      - .offset:         184
        .size:           4
        .value_kind:     hidden_dynamic_lds_size
    .group_segment_fixed_size: 0
    .kernarg_segment_align: 8
    .kernarg_segment_size: 320
    .language:       OpenCL C
    .language_version:
      - 2
      - 0
    .max_flat_workgroup_size: 1024
    .name:           _ZN2at6native12_GLOBAL__N_113renorm_kernelIffKiEEvPT_PT1_T0_S8_llllPKl
    .private_segment_fixed_size: 0
    .sgpr_count:     29
    .sgpr_spill_count: 0
    .symbol:         _ZN2at6native12_GLOBAL__N_113renorm_kernelIffKiEEvPT_PT1_T0_S8_llllPKl.kd
    .uniform_work_group_size: 1
    .uses_dynamic_stack: false
    .vgpr_count:     24
    .vgpr_spill_count: 0
    .wavefront_size: 32
  - .args:
      - .address_space:  global
        .offset:         0
        .size:           8
        .value_kind:     global_buffer
      - .address_space:  global
        .offset:         8
        .size:           8
        .value_kind:     global_buffer
      - .offset:         16
        .size:           4
        .value_kind:     by_value
      - .offset:         20
        .size:           4
        .value_kind:     by_value
      - .offset:         24
        .size:           8
        .value_kind:     by_value
      - .offset:         32
        .size:           8
        .value_kind:     by_value
      - .offset:         40
        .size:           8
        .value_kind:     by_value
      - .offset:         48
        .size:           8
        .value_kind:     by_value
      - .address_space:  global
        .offset:         56
        .size:           8
        .value_kind:     global_buffer
      - .offset:         64
        .size:           4
        .value_kind:     hidden_block_count_x
      - .offset:         68
        .size:           4
        .value_kind:     hidden_block_count_y
      - .offset:         72
        .size:           4
        .value_kind:     hidden_block_count_z
      - .offset:         76
        .size:           2
        .value_kind:     hidden_group_size_x
      - .offset:         78
        .size:           2
        .value_kind:     hidden_group_size_y
      - .offset:         80
        .size:           2
        .value_kind:     hidden_group_size_z
      - .offset:         82
        .size:           2
        .value_kind:     hidden_remainder_x
      - .offset:         84
        .size:           2
        .value_kind:     hidden_remainder_y
      - .offset:         86
        .size:           2
        .value_kind:     hidden_remainder_z
      - .offset:         104
        .size:           8
        .value_kind:     hidden_global_offset_x
      - .offset:         112
        .size:           8
        .value_kind:     hidden_global_offset_y
      - .offset:         120
        .size:           8
        .value_kind:     hidden_global_offset_z
      - .offset:         128
        .size:           2
        .value_kind:     hidden_grid_dims
      - .offset:         184
        .size:           4
        .value_kind:     hidden_dynamic_lds_size
    .group_segment_fixed_size: 0
    .kernarg_segment_align: 8
    .kernarg_segment_size: 320
    .language:       OpenCL C
    .language_version:
      - 2
      - 0
    .max_flat_workgroup_size: 1024
    .name:           _ZN2at6native12_GLOBAL__N_113renorm_kernelIN3c104HalfEfKiEEvPT_PT1_T0_SA_llllPKl
    .private_segment_fixed_size: 0
    .sgpr_count:     29
    .sgpr_spill_count: 0
    .symbol:         _ZN2at6native12_GLOBAL__N_113renorm_kernelIN3c104HalfEfKiEEvPT_PT1_T0_SA_llllPKl.kd
    .uniform_work_group_size: 1
    .uses_dynamic_stack: false
    .vgpr_count:     24
    .vgpr_spill_count: 0
    .wavefront_size: 32
  - .args:
      - .address_space:  global
        .offset:         0
        .size:           8
        .value_kind:     global_buffer
      - .address_space:  global
        .offset:         8
        .size:           8
        .value_kind:     global_buffer
      - .offset:         16
        .size:           4
        .value_kind:     by_value
      - .offset:         20
        .size:           4
        .value_kind:     by_value
      - .offset:         24
        .size:           8
        .value_kind:     by_value
      - .offset:         32
        .size:           8
        .value_kind:     by_value
      - .offset:         40
        .size:           8
        .value_kind:     by_value
      - .offset:         48
        .size:           8
        .value_kind:     by_value
      - .address_space:  global
        .offset:         56
        .size:           8
        .value_kind:     global_buffer
      - .offset:         64
        .size:           4
        .value_kind:     hidden_block_count_x
      - .offset:         68
        .size:           4
        .value_kind:     hidden_block_count_y
      - .offset:         72
        .size:           4
        .value_kind:     hidden_block_count_z
      - .offset:         76
        .size:           2
        .value_kind:     hidden_group_size_x
      - .offset:         78
        .size:           2
        .value_kind:     hidden_group_size_y
      - .offset:         80
        .size:           2
        .value_kind:     hidden_group_size_z
      - .offset:         82
        .size:           2
        .value_kind:     hidden_remainder_x
      - .offset:         84
        .size:           2
        .value_kind:     hidden_remainder_y
      - .offset:         86
        .size:           2
        .value_kind:     hidden_remainder_z
      - .offset:         104
        .size:           8
        .value_kind:     hidden_global_offset_x
      - .offset:         112
        .size:           8
        .value_kind:     hidden_global_offset_y
      - .offset:         120
        .size:           8
        .value_kind:     hidden_global_offset_z
      - .offset:         128
        .size:           2
        .value_kind:     hidden_grid_dims
      - .offset:         184
        .size:           4
        .value_kind:     hidden_dynamic_lds_size
    .group_segment_fixed_size: 0
    .kernarg_segment_align: 8
    .kernarg_segment_size: 320
    .language:       OpenCL C
    .language_version:
      - 2
      - 0
    .max_flat_workgroup_size: 1024
    .name:           _ZN2at6native12_GLOBAL__N_113renorm_kernelIN3c108BFloat16EfKiEEvPT_PT1_T0_SA_llllPKl
    .private_segment_fixed_size: 0
    .sgpr_count:     29
    .sgpr_spill_count: 0
    .symbol:         _ZN2at6native12_GLOBAL__N_113renorm_kernelIN3c108BFloat16EfKiEEvPT_PT1_T0_SA_llllPKl.kd
    .uniform_work_group_size: 1
    .uses_dynamic_stack: false
    .vgpr_count:     24
    .vgpr_spill_count: 0
    .wavefront_size: 32
  - .args:
      - .address_space:  global
        .offset:         0
        .size:           8
        .value_kind:     global_buffer
      - .address_space:  global
        .offset:         8
        .size:           8
        .value_kind:     global_buffer
      - .offset:         16
        .size:           8
        .value_kind:     by_value
      - .offset:         24
        .size:           8
        .value_kind:     by_value
      - .offset:         32
        .size:           4
        .value_kind:     hidden_block_count_x
      - .offset:         36
        .size:           4
        .value_kind:     hidden_block_count_y
      - .offset:         40
        .size:           4
        .value_kind:     hidden_block_count_z
      - .offset:         44
        .size:           2
        .value_kind:     hidden_group_size_x
      - .offset:         46
        .size:           2
        .value_kind:     hidden_group_size_y
      - .offset:         48
        .size:           2
        .value_kind:     hidden_group_size_z
      - .offset:         50
        .size:           2
        .value_kind:     hidden_remainder_x
      - .offset:         52
        .size:           2
        .value_kind:     hidden_remainder_y
      - .offset:         54
        .size:           2
        .value_kind:     hidden_remainder_z
      - .offset:         72
        .size:           8
        .value_kind:     hidden_global_offset_x
      - .offset:         80
        .size:           8
        .value_kind:     hidden_global_offset_y
      - .offset:         88
        .size:           8
        .value_kind:     hidden_global_offset_z
      - .offset:         96
        .size:           2
        .value_kind:     hidden_grid_dims
    .group_segment_fixed_size: 0
    .kernarg_segment_align: 8
    .kernarg_segment_size: 288
    .language:       OpenCL C
    .language_version:
      - 2
      - 0
    .max_flat_workgroup_size: 1024
    .name:           _ZN2at6native12_GLOBAL__N_136embedding_renorm_wrap_indices_kernelIlEEvPKT_PS3_ll
    .private_segment_fixed_size: 0
    .sgpr_count:     15
    .sgpr_spill_count: 0
    .symbol:         _ZN2at6native12_GLOBAL__N_136embedding_renorm_wrap_indices_kernelIlEEvPKT_PS3_ll.kd
    .uniform_work_group_size: 1
    .uses_dynamic_stack: false
    .vgpr_count:     6
    .vgpr_spill_count: 0
    .wavefront_size: 32
  - .args:
      - .offset:         0
        .size:           112
        .value_kind:     by_value
    .group_segment_fixed_size: 28680
    .kernarg_segment_align: 8
    .kernarg_segment_size: 112
    .language:       OpenCL C
    .language_version:
      - 2
      - 0
    .max_flat_workgroup_size: 512
    .name:           _ZN7rocprim17ROCPRIM_400000_NS6detail17trampoline_kernelINS0_14default_configENS1_25partition_config_selectorILNS1_17partition_subalgoE8ElNS0_10empty_typeEbEEZZNS1_14partition_implILS5_8ELb0ES3_jPKlPS6_PKS6_NS0_5tupleIJPlS6_EEENSE_IJSB_SB_EEENS0_18inequality_wrapperIN6hipcub16HIPCUB_304000_NS8EqualityEEESF_JS6_EEE10hipError_tPvRmT3_T4_T5_T6_T7_T9_mT8_P12ihipStream_tbDpT10_ENKUlT_T0_E_clISt17integral_constantIbLb0EES16_EEDaS11_S12_EUlS11_E_NS1_11comp_targetILNS1_3genE0ELNS1_11target_archE4294967295ELNS1_3gpuE0ELNS1_3repE0EEENS1_30default_config_static_selectorELNS0_4arch9wavefront6targetE0EEEvT1_
    .private_segment_fixed_size: 0
    .sgpr_count:     26
    .sgpr_spill_count: 0
    .symbol:         _ZN7rocprim17ROCPRIM_400000_NS6detail17trampoline_kernelINS0_14default_configENS1_25partition_config_selectorILNS1_17partition_subalgoE8ElNS0_10empty_typeEbEEZZNS1_14partition_implILS5_8ELb0ES3_jPKlPS6_PKS6_NS0_5tupleIJPlS6_EEENSE_IJSB_SB_EEENS0_18inequality_wrapperIN6hipcub16HIPCUB_304000_NS8EqualityEEESF_JS6_EEE10hipError_tPvRmT3_T4_T5_T6_T7_T9_mT8_P12ihipStream_tbDpT10_ENKUlT_T0_E_clISt17integral_constantIbLb0EES16_EEDaS11_S12_EUlS11_E_NS1_11comp_targetILNS1_3genE0ELNS1_11target_archE4294967295ELNS1_3gpuE0ELNS1_3repE0EEENS1_30default_config_static_selectorELNS0_4arch9wavefront6targetE0EEEvT1_.kd
    .uniform_work_group_size: 1
    .uses_dynamic_stack: false
    .vgpr_count:     55
    .vgpr_spill_count: 0
    .wavefront_size: 32
  - .args:
      - .offset:         0
        .size:           112
        .value_kind:     by_value
    .group_segment_fixed_size: 0
    .kernarg_segment_align: 8
    .kernarg_segment_size: 112
    .language:       OpenCL C
    .language_version:
      - 2
      - 0
    .max_flat_workgroup_size: 512
    .name:           _ZN7rocprim17ROCPRIM_400000_NS6detail17trampoline_kernelINS0_14default_configENS1_25partition_config_selectorILNS1_17partition_subalgoE8ElNS0_10empty_typeEbEEZZNS1_14partition_implILS5_8ELb0ES3_jPKlPS6_PKS6_NS0_5tupleIJPlS6_EEENSE_IJSB_SB_EEENS0_18inequality_wrapperIN6hipcub16HIPCUB_304000_NS8EqualityEEESF_JS6_EEE10hipError_tPvRmT3_T4_T5_T6_T7_T9_mT8_P12ihipStream_tbDpT10_ENKUlT_T0_E_clISt17integral_constantIbLb0EES16_EEDaS11_S12_EUlS11_E_NS1_11comp_targetILNS1_3genE5ELNS1_11target_archE942ELNS1_3gpuE9ELNS1_3repE0EEENS1_30default_config_static_selectorELNS0_4arch9wavefront6targetE0EEEvT1_
    .private_segment_fixed_size: 0
    .sgpr_count:     0
    .sgpr_spill_count: 0
    .symbol:         _ZN7rocprim17ROCPRIM_400000_NS6detail17trampoline_kernelINS0_14default_configENS1_25partition_config_selectorILNS1_17partition_subalgoE8ElNS0_10empty_typeEbEEZZNS1_14partition_implILS5_8ELb0ES3_jPKlPS6_PKS6_NS0_5tupleIJPlS6_EEENSE_IJSB_SB_EEENS0_18inequality_wrapperIN6hipcub16HIPCUB_304000_NS8EqualityEEESF_JS6_EEE10hipError_tPvRmT3_T4_T5_T6_T7_T9_mT8_P12ihipStream_tbDpT10_ENKUlT_T0_E_clISt17integral_constantIbLb0EES16_EEDaS11_S12_EUlS11_E_NS1_11comp_targetILNS1_3genE5ELNS1_11target_archE942ELNS1_3gpuE9ELNS1_3repE0EEENS1_30default_config_static_selectorELNS0_4arch9wavefront6targetE0EEEvT1_.kd
    .uniform_work_group_size: 1
    .uses_dynamic_stack: false
    .vgpr_count:     0
    .vgpr_spill_count: 0
    .wavefront_size: 32
  - .args:
      - .offset:         0
        .size:           112
        .value_kind:     by_value
    .group_segment_fixed_size: 0
    .kernarg_segment_align: 8
    .kernarg_segment_size: 112
    .language:       OpenCL C
    .language_version:
      - 2
      - 0
    .max_flat_workgroup_size: 256
    .name:           _ZN7rocprim17ROCPRIM_400000_NS6detail17trampoline_kernelINS0_14default_configENS1_25partition_config_selectorILNS1_17partition_subalgoE8ElNS0_10empty_typeEbEEZZNS1_14partition_implILS5_8ELb0ES3_jPKlPS6_PKS6_NS0_5tupleIJPlS6_EEENSE_IJSB_SB_EEENS0_18inequality_wrapperIN6hipcub16HIPCUB_304000_NS8EqualityEEESF_JS6_EEE10hipError_tPvRmT3_T4_T5_T6_T7_T9_mT8_P12ihipStream_tbDpT10_ENKUlT_T0_E_clISt17integral_constantIbLb0EES16_EEDaS11_S12_EUlS11_E_NS1_11comp_targetILNS1_3genE4ELNS1_11target_archE910ELNS1_3gpuE8ELNS1_3repE0EEENS1_30default_config_static_selectorELNS0_4arch9wavefront6targetE0EEEvT1_
    .private_segment_fixed_size: 0
    .sgpr_count:     0
    .sgpr_spill_count: 0
    .symbol:         _ZN7rocprim17ROCPRIM_400000_NS6detail17trampoline_kernelINS0_14default_configENS1_25partition_config_selectorILNS1_17partition_subalgoE8ElNS0_10empty_typeEbEEZZNS1_14partition_implILS5_8ELb0ES3_jPKlPS6_PKS6_NS0_5tupleIJPlS6_EEENSE_IJSB_SB_EEENS0_18inequality_wrapperIN6hipcub16HIPCUB_304000_NS8EqualityEEESF_JS6_EEE10hipError_tPvRmT3_T4_T5_T6_T7_T9_mT8_P12ihipStream_tbDpT10_ENKUlT_T0_E_clISt17integral_constantIbLb0EES16_EEDaS11_S12_EUlS11_E_NS1_11comp_targetILNS1_3genE4ELNS1_11target_archE910ELNS1_3gpuE8ELNS1_3repE0EEENS1_30default_config_static_selectorELNS0_4arch9wavefront6targetE0EEEvT1_.kd
    .uniform_work_group_size: 1
    .uses_dynamic_stack: false
    .vgpr_count:     0
    .vgpr_spill_count: 0
    .wavefront_size: 32
  - .args:
      - .offset:         0
        .size:           112
        .value_kind:     by_value
    .group_segment_fixed_size: 0
    .kernarg_segment_align: 8
    .kernarg_segment_size: 112
    .language:       OpenCL C
    .language_version:
      - 2
      - 0
    .max_flat_workgroup_size: 512
    .name:           _ZN7rocprim17ROCPRIM_400000_NS6detail17trampoline_kernelINS0_14default_configENS1_25partition_config_selectorILNS1_17partition_subalgoE8ElNS0_10empty_typeEbEEZZNS1_14partition_implILS5_8ELb0ES3_jPKlPS6_PKS6_NS0_5tupleIJPlS6_EEENSE_IJSB_SB_EEENS0_18inequality_wrapperIN6hipcub16HIPCUB_304000_NS8EqualityEEESF_JS6_EEE10hipError_tPvRmT3_T4_T5_T6_T7_T9_mT8_P12ihipStream_tbDpT10_ENKUlT_T0_E_clISt17integral_constantIbLb0EES16_EEDaS11_S12_EUlS11_E_NS1_11comp_targetILNS1_3genE3ELNS1_11target_archE908ELNS1_3gpuE7ELNS1_3repE0EEENS1_30default_config_static_selectorELNS0_4arch9wavefront6targetE0EEEvT1_
    .private_segment_fixed_size: 0
    .sgpr_count:     0
    .sgpr_spill_count: 0
    .symbol:         _ZN7rocprim17ROCPRIM_400000_NS6detail17trampoline_kernelINS0_14default_configENS1_25partition_config_selectorILNS1_17partition_subalgoE8ElNS0_10empty_typeEbEEZZNS1_14partition_implILS5_8ELb0ES3_jPKlPS6_PKS6_NS0_5tupleIJPlS6_EEENSE_IJSB_SB_EEENS0_18inequality_wrapperIN6hipcub16HIPCUB_304000_NS8EqualityEEESF_JS6_EEE10hipError_tPvRmT3_T4_T5_T6_T7_T9_mT8_P12ihipStream_tbDpT10_ENKUlT_T0_E_clISt17integral_constantIbLb0EES16_EEDaS11_S12_EUlS11_E_NS1_11comp_targetILNS1_3genE3ELNS1_11target_archE908ELNS1_3gpuE7ELNS1_3repE0EEENS1_30default_config_static_selectorELNS0_4arch9wavefront6targetE0EEEvT1_.kd
    .uniform_work_group_size: 1
    .uses_dynamic_stack: false
    .vgpr_count:     0
    .vgpr_spill_count: 0
    .wavefront_size: 32
  - .args:
      - .offset:         0
        .size:           112
        .value_kind:     by_value
    .group_segment_fixed_size: 0
    .kernarg_segment_align: 8
    .kernarg_segment_size: 112
    .language:       OpenCL C
    .language_version:
      - 2
      - 0
    .max_flat_workgroup_size: 256
    .name:           _ZN7rocprim17ROCPRIM_400000_NS6detail17trampoline_kernelINS0_14default_configENS1_25partition_config_selectorILNS1_17partition_subalgoE8ElNS0_10empty_typeEbEEZZNS1_14partition_implILS5_8ELb0ES3_jPKlPS6_PKS6_NS0_5tupleIJPlS6_EEENSE_IJSB_SB_EEENS0_18inequality_wrapperIN6hipcub16HIPCUB_304000_NS8EqualityEEESF_JS6_EEE10hipError_tPvRmT3_T4_T5_T6_T7_T9_mT8_P12ihipStream_tbDpT10_ENKUlT_T0_E_clISt17integral_constantIbLb0EES16_EEDaS11_S12_EUlS11_E_NS1_11comp_targetILNS1_3genE2ELNS1_11target_archE906ELNS1_3gpuE6ELNS1_3repE0EEENS1_30default_config_static_selectorELNS0_4arch9wavefront6targetE0EEEvT1_
    .private_segment_fixed_size: 0
    .sgpr_count:     0
    .sgpr_spill_count: 0
    .symbol:         _ZN7rocprim17ROCPRIM_400000_NS6detail17trampoline_kernelINS0_14default_configENS1_25partition_config_selectorILNS1_17partition_subalgoE8ElNS0_10empty_typeEbEEZZNS1_14partition_implILS5_8ELb0ES3_jPKlPS6_PKS6_NS0_5tupleIJPlS6_EEENSE_IJSB_SB_EEENS0_18inequality_wrapperIN6hipcub16HIPCUB_304000_NS8EqualityEEESF_JS6_EEE10hipError_tPvRmT3_T4_T5_T6_T7_T9_mT8_P12ihipStream_tbDpT10_ENKUlT_T0_E_clISt17integral_constantIbLb0EES16_EEDaS11_S12_EUlS11_E_NS1_11comp_targetILNS1_3genE2ELNS1_11target_archE906ELNS1_3gpuE6ELNS1_3repE0EEENS1_30default_config_static_selectorELNS0_4arch9wavefront6targetE0EEEvT1_.kd
    .uniform_work_group_size: 1
    .uses_dynamic_stack: false
    .vgpr_count:     0
    .vgpr_spill_count: 0
    .wavefront_size: 32
  - .args:
      - .offset:         0
        .size:           112
        .value_kind:     by_value
    .group_segment_fixed_size: 0
    .kernarg_segment_align: 8
    .kernarg_segment_size: 112
    .language:       OpenCL C
    .language_version:
      - 2
      - 0
    .max_flat_workgroup_size: 384
    .name:           _ZN7rocprim17ROCPRIM_400000_NS6detail17trampoline_kernelINS0_14default_configENS1_25partition_config_selectorILNS1_17partition_subalgoE8ElNS0_10empty_typeEbEEZZNS1_14partition_implILS5_8ELb0ES3_jPKlPS6_PKS6_NS0_5tupleIJPlS6_EEENSE_IJSB_SB_EEENS0_18inequality_wrapperIN6hipcub16HIPCUB_304000_NS8EqualityEEESF_JS6_EEE10hipError_tPvRmT3_T4_T5_T6_T7_T9_mT8_P12ihipStream_tbDpT10_ENKUlT_T0_E_clISt17integral_constantIbLb0EES16_EEDaS11_S12_EUlS11_E_NS1_11comp_targetILNS1_3genE10ELNS1_11target_archE1200ELNS1_3gpuE4ELNS1_3repE0EEENS1_30default_config_static_selectorELNS0_4arch9wavefront6targetE0EEEvT1_
    .private_segment_fixed_size: 0
    .sgpr_count:     0
    .sgpr_spill_count: 0
    .symbol:         _ZN7rocprim17ROCPRIM_400000_NS6detail17trampoline_kernelINS0_14default_configENS1_25partition_config_selectorILNS1_17partition_subalgoE8ElNS0_10empty_typeEbEEZZNS1_14partition_implILS5_8ELb0ES3_jPKlPS6_PKS6_NS0_5tupleIJPlS6_EEENSE_IJSB_SB_EEENS0_18inequality_wrapperIN6hipcub16HIPCUB_304000_NS8EqualityEEESF_JS6_EEE10hipError_tPvRmT3_T4_T5_T6_T7_T9_mT8_P12ihipStream_tbDpT10_ENKUlT_T0_E_clISt17integral_constantIbLb0EES16_EEDaS11_S12_EUlS11_E_NS1_11comp_targetILNS1_3genE10ELNS1_11target_archE1200ELNS1_3gpuE4ELNS1_3repE0EEENS1_30default_config_static_selectorELNS0_4arch9wavefront6targetE0EEEvT1_.kd
    .uniform_work_group_size: 1
    .uses_dynamic_stack: false
    .vgpr_count:     0
    .vgpr_spill_count: 0
    .wavefront_size: 32
  - .args:
      - .offset:         0
        .size:           112
        .value_kind:     by_value
    .group_segment_fixed_size: 0
    .kernarg_segment_align: 8
    .kernarg_segment_size: 112
    .language:       OpenCL C
    .language_version:
      - 2
      - 0
    .max_flat_workgroup_size: 512
    .name:           _ZN7rocprim17ROCPRIM_400000_NS6detail17trampoline_kernelINS0_14default_configENS1_25partition_config_selectorILNS1_17partition_subalgoE8ElNS0_10empty_typeEbEEZZNS1_14partition_implILS5_8ELb0ES3_jPKlPS6_PKS6_NS0_5tupleIJPlS6_EEENSE_IJSB_SB_EEENS0_18inequality_wrapperIN6hipcub16HIPCUB_304000_NS8EqualityEEESF_JS6_EEE10hipError_tPvRmT3_T4_T5_T6_T7_T9_mT8_P12ihipStream_tbDpT10_ENKUlT_T0_E_clISt17integral_constantIbLb0EES16_EEDaS11_S12_EUlS11_E_NS1_11comp_targetILNS1_3genE9ELNS1_11target_archE1100ELNS1_3gpuE3ELNS1_3repE0EEENS1_30default_config_static_selectorELNS0_4arch9wavefront6targetE0EEEvT1_
    .private_segment_fixed_size: 0
    .sgpr_count:     0
    .sgpr_spill_count: 0
    .symbol:         _ZN7rocprim17ROCPRIM_400000_NS6detail17trampoline_kernelINS0_14default_configENS1_25partition_config_selectorILNS1_17partition_subalgoE8ElNS0_10empty_typeEbEEZZNS1_14partition_implILS5_8ELb0ES3_jPKlPS6_PKS6_NS0_5tupleIJPlS6_EEENSE_IJSB_SB_EEENS0_18inequality_wrapperIN6hipcub16HIPCUB_304000_NS8EqualityEEESF_JS6_EEE10hipError_tPvRmT3_T4_T5_T6_T7_T9_mT8_P12ihipStream_tbDpT10_ENKUlT_T0_E_clISt17integral_constantIbLb0EES16_EEDaS11_S12_EUlS11_E_NS1_11comp_targetILNS1_3genE9ELNS1_11target_archE1100ELNS1_3gpuE3ELNS1_3repE0EEENS1_30default_config_static_selectorELNS0_4arch9wavefront6targetE0EEEvT1_.kd
    .uniform_work_group_size: 1
    .uses_dynamic_stack: false
    .vgpr_count:     0
    .vgpr_spill_count: 0
    .wavefront_size: 32
  - .args:
      - .offset:         0
        .size:           112
        .value_kind:     by_value
    .group_segment_fixed_size: 0
    .kernarg_segment_align: 8
    .kernarg_segment_size: 112
    .language:       OpenCL C
    .language_version:
      - 2
      - 0
    .max_flat_workgroup_size: 512
    .name:           _ZN7rocprim17ROCPRIM_400000_NS6detail17trampoline_kernelINS0_14default_configENS1_25partition_config_selectorILNS1_17partition_subalgoE8ElNS0_10empty_typeEbEEZZNS1_14partition_implILS5_8ELb0ES3_jPKlPS6_PKS6_NS0_5tupleIJPlS6_EEENSE_IJSB_SB_EEENS0_18inequality_wrapperIN6hipcub16HIPCUB_304000_NS8EqualityEEESF_JS6_EEE10hipError_tPvRmT3_T4_T5_T6_T7_T9_mT8_P12ihipStream_tbDpT10_ENKUlT_T0_E_clISt17integral_constantIbLb0EES16_EEDaS11_S12_EUlS11_E_NS1_11comp_targetILNS1_3genE8ELNS1_11target_archE1030ELNS1_3gpuE2ELNS1_3repE0EEENS1_30default_config_static_selectorELNS0_4arch9wavefront6targetE0EEEvT1_
    .private_segment_fixed_size: 0
    .sgpr_count:     0
    .sgpr_spill_count: 0
    .symbol:         _ZN7rocprim17ROCPRIM_400000_NS6detail17trampoline_kernelINS0_14default_configENS1_25partition_config_selectorILNS1_17partition_subalgoE8ElNS0_10empty_typeEbEEZZNS1_14partition_implILS5_8ELb0ES3_jPKlPS6_PKS6_NS0_5tupleIJPlS6_EEENSE_IJSB_SB_EEENS0_18inequality_wrapperIN6hipcub16HIPCUB_304000_NS8EqualityEEESF_JS6_EEE10hipError_tPvRmT3_T4_T5_T6_T7_T9_mT8_P12ihipStream_tbDpT10_ENKUlT_T0_E_clISt17integral_constantIbLb0EES16_EEDaS11_S12_EUlS11_E_NS1_11comp_targetILNS1_3genE8ELNS1_11target_archE1030ELNS1_3gpuE2ELNS1_3repE0EEENS1_30default_config_static_selectorELNS0_4arch9wavefront6targetE0EEEvT1_.kd
    .uniform_work_group_size: 1
    .uses_dynamic_stack: false
    .vgpr_count:     0
    .vgpr_spill_count: 0
    .wavefront_size: 32
  - .args:
      - .offset:         0
        .size:           128
        .value_kind:     by_value
    .group_segment_fixed_size: 0
    .kernarg_segment_align: 8
    .kernarg_segment_size: 128
    .language:       OpenCL C
    .language_version:
      - 2
      - 0
    .max_flat_workgroup_size: 512
    .name:           _ZN7rocprim17ROCPRIM_400000_NS6detail17trampoline_kernelINS0_14default_configENS1_25partition_config_selectorILNS1_17partition_subalgoE8ElNS0_10empty_typeEbEEZZNS1_14partition_implILS5_8ELb0ES3_jPKlPS6_PKS6_NS0_5tupleIJPlS6_EEENSE_IJSB_SB_EEENS0_18inequality_wrapperIN6hipcub16HIPCUB_304000_NS8EqualityEEESF_JS6_EEE10hipError_tPvRmT3_T4_T5_T6_T7_T9_mT8_P12ihipStream_tbDpT10_ENKUlT_T0_E_clISt17integral_constantIbLb1EES16_EEDaS11_S12_EUlS11_E_NS1_11comp_targetILNS1_3genE0ELNS1_11target_archE4294967295ELNS1_3gpuE0ELNS1_3repE0EEENS1_30default_config_static_selectorELNS0_4arch9wavefront6targetE0EEEvT1_
    .private_segment_fixed_size: 0
    .sgpr_count:     0
    .sgpr_spill_count: 0
    .symbol:         _ZN7rocprim17ROCPRIM_400000_NS6detail17trampoline_kernelINS0_14default_configENS1_25partition_config_selectorILNS1_17partition_subalgoE8ElNS0_10empty_typeEbEEZZNS1_14partition_implILS5_8ELb0ES3_jPKlPS6_PKS6_NS0_5tupleIJPlS6_EEENSE_IJSB_SB_EEENS0_18inequality_wrapperIN6hipcub16HIPCUB_304000_NS8EqualityEEESF_JS6_EEE10hipError_tPvRmT3_T4_T5_T6_T7_T9_mT8_P12ihipStream_tbDpT10_ENKUlT_T0_E_clISt17integral_constantIbLb1EES16_EEDaS11_S12_EUlS11_E_NS1_11comp_targetILNS1_3genE0ELNS1_11target_archE4294967295ELNS1_3gpuE0ELNS1_3repE0EEENS1_30default_config_static_selectorELNS0_4arch9wavefront6targetE0EEEvT1_.kd
    .uniform_work_group_size: 1
    .uses_dynamic_stack: false
    .vgpr_count:     0
    .vgpr_spill_count: 0
    .wavefront_size: 32
  - .args:
      - .offset:         0
        .size:           128
        .value_kind:     by_value
    .group_segment_fixed_size: 0
    .kernarg_segment_align: 8
    .kernarg_segment_size: 128
    .language:       OpenCL C
    .language_version:
      - 2
      - 0
    .max_flat_workgroup_size: 512
    .name:           _ZN7rocprim17ROCPRIM_400000_NS6detail17trampoline_kernelINS0_14default_configENS1_25partition_config_selectorILNS1_17partition_subalgoE8ElNS0_10empty_typeEbEEZZNS1_14partition_implILS5_8ELb0ES3_jPKlPS6_PKS6_NS0_5tupleIJPlS6_EEENSE_IJSB_SB_EEENS0_18inequality_wrapperIN6hipcub16HIPCUB_304000_NS8EqualityEEESF_JS6_EEE10hipError_tPvRmT3_T4_T5_T6_T7_T9_mT8_P12ihipStream_tbDpT10_ENKUlT_T0_E_clISt17integral_constantIbLb1EES16_EEDaS11_S12_EUlS11_E_NS1_11comp_targetILNS1_3genE5ELNS1_11target_archE942ELNS1_3gpuE9ELNS1_3repE0EEENS1_30default_config_static_selectorELNS0_4arch9wavefront6targetE0EEEvT1_
    .private_segment_fixed_size: 0
    .sgpr_count:     0
    .sgpr_spill_count: 0
    .symbol:         _ZN7rocprim17ROCPRIM_400000_NS6detail17trampoline_kernelINS0_14default_configENS1_25partition_config_selectorILNS1_17partition_subalgoE8ElNS0_10empty_typeEbEEZZNS1_14partition_implILS5_8ELb0ES3_jPKlPS6_PKS6_NS0_5tupleIJPlS6_EEENSE_IJSB_SB_EEENS0_18inequality_wrapperIN6hipcub16HIPCUB_304000_NS8EqualityEEESF_JS6_EEE10hipError_tPvRmT3_T4_T5_T6_T7_T9_mT8_P12ihipStream_tbDpT10_ENKUlT_T0_E_clISt17integral_constantIbLb1EES16_EEDaS11_S12_EUlS11_E_NS1_11comp_targetILNS1_3genE5ELNS1_11target_archE942ELNS1_3gpuE9ELNS1_3repE0EEENS1_30default_config_static_selectorELNS0_4arch9wavefront6targetE0EEEvT1_.kd
    .uniform_work_group_size: 1
    .uses_dynamic_stack: false
    .vgpr_count:     0
    .vgpr_spill_count: 0
    .wavefront_size: 32
  - .args:
      - .offset:         0
        .size:           128
        .value_kind:     by_value
    .group_segment_fixed_size: 0
    .kernarg_segment_align: 8
    .kernarg_segment_size: 128
    .language:       OpenCL C
    .language_version:
      - 2
      - 0
    .max_flat_workgroup_size: 256
    .name:           _ZN7rocprim17ROCPRIM_400000_NS6detail17trampoline_kernelINS0_14default_configENS1_25partition_config_selectorILNS1_17partition_subalgoE8ElNS0_10empty_typeEbEEZZNS1_14partition_implILS5_8ELb0ES3_jPKlPS6_PKS6_NS0_5tupleIJPlS6_EEENSE_IJSB_SB_EEENS0_18inequality_wrapperIN6hipcub16HIPCUB_304000_NS8EqualityEEESF_JS6_EEE10hipError_tPvRmT3_T4_T5_T6_T7_T9_mT8_P12ihipStream_tbDpT10_ENKUlT_T0_E_clISt17integral_constantIbLb1EES16_EEDaS11_S12_EUlS11_E_NS1_11comp_targetILNS1_3genE4ELNS1_11target_archE910ELNS1_3gpuE8ELNS1_3repE0EEENS1_30default_config_static_selectorELNS0_4arch9wavefront6targetE0EEEvT1_
    .private_segment_fixed_size: 0
    .sgpr_count:     0
    .sgpr_spill_count: 0
    .symbol:         _ZN7rocprim17ROCPRIM_400000_NS6detail17trampoline_kernelINS0_14default_configENS1_25partition_config_selectorILNS1_17partition_subalgoE8ElNS0_10empty_typeEbEEZZNS1_14partition_implILS5_8ELb0ES3_jPKlPS6_PKS6_NS0_5tupleIJPlS6_EEENSE_IJSB_SB_EEENS0_18inequality_wrapperIN6hipcub16HIPCUB_304000_NS8EqualityEEESF_JS6_EEE10hipError_tPvRmT3_T4_T5_T6_T7_T9_mT8_P12ihipStream_tbDpT10_ENKUlT_T0_E_clISt17integral_constantIbLb1EES16_EEDaS11_S12_EUlS11_E_NS1_11comp_targetILNS1_3genE4ELNS1_11target_archE910ELNS1_3gpuE8ELNS1_3repE0EEENS1_30default_config_static_selectorELNS0_4arch9wavefront6targetE0EEEvT1_.kd
    .uniform_work_group_size: 1
    .uses_dynamic_stack: false
    .vgpr_count:     0
    .vgpr_spill_count: 0
    .wavefront_size: 32
  - .args:
      - .offset:         0
        .size:           128
        .value_kind:     by_value
    .group_segment_fixed_size: 0
    .kernarg_segment_align: 8
    .kernarg_segment_size: 128
    .language:       OpenCL C
    .language_version:
      - 2
      - 0
    .max_flat_workgroup_size: 512
    .name:           _ZN7rocprim17ROCPRIM_400000_NS6detail17trampoline_kernelINS0_14default_configENS1_25partition_config_selectorILNS1_17partition_subalgoE8ElNS0_10empty_typeEbEEZZNS1_14partition_implILS5_8ELb0ES3_jPKlPS6_PKS6_NS0_5tupleIJPlS6_EEENSE_IJSB_SB_EEENS0_18inequality_wrapperIN6hipcub16HIPCUB_304000_NS8EqualityEEESF_JS6_EEE10hipError_tPvRmT3_T4_T5_T6_T7_T9_mT8_P12ihipStream_tbDpT10_ENKUlT_T0_E_clISt17integral_constantIbLb1EES16_EEDaS11_S12_EUlS11_E_NS1_11comp_targetILNS1_3genE3ELNS1_11target_archE908ELNS1_3gpuE7ELNS1_3repE0EEENS1_30default_config_static_selectorELNS0_4arch9wavefront6targetE0EEEvT1_
    .private_segment_fixed_size: 0
    .sgpr_count:     0
    .sgpr_spill_count: 0
    .symbol:         _ZN7rocprim17ROCPRIM_400000_NS6detail17trampoline_kernelINS0_14default_configENS1_25partition_config_selectorILNS1_17partition_subalgoE8ElNS0_10empty_typeEbEEZZNS1_14partition_implILS5_8ELb0ES3_jPKlPS6_PKS6_NS0_5tupleIJPlS6_EEENSE_IJSB_SB_EEENS0_18inequality_wrapperIN6hipcub16HIPCUB_304000_NS8EqualityEEESF_JS6_EEE10hipError_tPvRmT3_T4_T5_T6_T7_T9_mT8_P12ihipStream_tbDpT10_ENKUlT_T0_E_clISt17integral_constantIbLb1EES16_EEDaS11_S12_EUlS11_E_NS1_11comp_targetILNS1_3genE3ELNS1_11target_archE908ELNS1_3gpuE7ELNS1_3repE0EEENS1_30default_config_static_selectorELNS0_4arch9wavefront6targetE0EEEvT1_.kd
    .uniform_work_group_size: 1
    .uses_dynamic_stack: false
    .vgpr_count:     0
    .vgpr_spill_count: 0
    .wavefront_size: 32
  - .args:
      - .offset:         0
        .size:           128
        .value_kind:     by_value
    .group_segment_fixed_size: 0
    .kernarg_segment_align: 8
    .kernarg_segment_size: 128
    .language:       OpenCL C
    .language_version:
      - 2
      - 0
    .max_flat_workgroup_size: 256
    .name:           _ZN7rocprim17ROCPRIM_400000_NS6detail17trampoline_kernelINS0_14default_configENS1_25partition_config_selectorILNS1_17partition_subalgoE8ElNS0_10empty_typeEbEEZZNS1_14partition_implILS5_8ELb0ES3_jPKlPS6_PKS6_NS0_5tupleIJPlS6_EEENSE_IJSB_SB_EEENS0_18inequality_wrapperIN6hipcub16HIPCUB_304000_NS8EqualityEEESF_JS6_EEE10hipError_tPvRmT3_T4_T5_T6_T7_T9_mT8_P12ihipStream_tbDpT10_ENKUlT_T0_E_clISt17integral_constantIbLb1EES16_EEDaS11_S12_EUlS11_E_NS1_11comp_targetILNS1_3genE2ELNS1_11target_archE906ELNS1_3gpuE6ELNS1_3repE0EEENS1_30default_config_static_selectorELNS0_4arch9wavefront6targetE0EEEvT1_
    .private_segment_fixed_size: 0
    .sgpr_count:     0
    .sgpr_spill_count: 0
    .symbol:         _ZN7rocprim17ROCPRIM_400000_NS6detail17trampoline_kernelINS0_14default_configENS1_25partition_config_selectorILNS1_17partition_subalgoE8ElNS0_10empty_typeEbEEZZNS1_14partition_implILS5_8ELb0ES3_jPKlPS6_PKS6_NS0_5tupleIJPlS6_EEENSE_IJSB_SB_EEENS0_18inequality_wrapperIN6hipcub16HIPCUB_304000_NS8EqualityEEESF_JS6_EEE10hipError_tPvRmT3_T4_T5_T6_T7_T9_mT8_P12ihipStream_tbDpT10_ENKUlT_T0_E_clISt17integral_constantIbLb1EES16_EEDaS11_S12_EUlS11_E_NS1_11comp_targetILNS1_3genE2ELNS1_11target_archE906ELNS1_3gpuE6ELNS1_3repE0EEENS1_30default_config_static_selectorELNS0_4arch9wavefront6targetE0EEEvT1_.kd
    .uniform_work_group_size: 1
    .uses_dynamic_stack: false
    .vgpr_count:     0
    .vgpr_spill_count: 0
    .wavefront_size: 32
  - .args:
      - .offset:         0
        .size:           128
        .value_kind:     by_value
    .group_segment_fixed_size: 0
    .kernarg_segment_align: 8
    .kernarg_segment_size: 128
    .language:       OpenCL C
    .language_version:
      - 2
      - 0
    .max_flat_workgroup_size: 384
    .name:           _ZN7rocprim17ROCPRIM_400000_NS6detail17trampoline_kernelINS0_14default_configENS1_25partition_config_selectorILNS1_17partition_subalgoE8ElNS0_10empty_typeEbEEZZNS1_14partition_implILS5_8ELb0ES3_jPKlPS6_PKS6_NS0_5tupleIJPlS6_EEENSE_IJSB_SB_EEENS0_18inequality_wrapperIN6hipcub16HIPCUB_304000_NS8EqualityEEESF_JS6_EEE10hipError_tPvRmT3_T4_T5_T6_T7_T9_mT8_P12ihipStream_tbDpT10_ENKUlT_T0_E_clISt17integral_constantIbLb1EES16_EEDaS11_S12_EUlS11_E_NS1_11comp_targetILNS1_3genE10ELNS1_11target_archE1200ELNS1_3gpuE4ELNS1_3repE0EEENS1_30default_config_static_selectorELNS0_4arch9wavefront6targetE0EEEvT1_
    .private_segment_fixed_size: 0
    .sgpr_count:     0
    .sgpr_spill_count: 0
    .symbol:         _ZN7rocprim17ROCPRIM_400000_NS6detail17trampoline_kernelINS0_14default_configENS1_25partition_config_selectorILNS1_17partition_subalgoE8ElNS0_10empty_typeEbEEZZNS1_14partition_implILS5_8ELb0ES3_jPKlPS6_PKS6_NS0_5tupleIJPlS6_EEENSE_IJSB_SB_EEENS0_18inequality_wrapperIN6hipcub16HIPCUB_304000_NS8EqualityEEESF_JS6_EEE10hipError_tPvRmT3_T4_T5_T6_T7_T9_mT8_P12ihipStream_tbDpT10_ENKUlT_T0_E_clISt17integral_constantIbLb1EES16_EEDaS11_S12_EUlS11_E_NS1_11comp_targetILNS1_3genE10ELNS1_11target_archE1200ELNS1_3gpuE4ELNS1_3repE0EEENS1_30default_config_static_selectorELNS0_4arch9wavefront6targetE0EEEvT1_.kd
    .uniform_work_group_size: 1
    .uses_dynamic_stack: false
    .vgpr_count:     0
    .vgpr_spill_count: 0
    .wavefront_size: 32
  - .args:
      - .offset:         0
        .size:           128
        .value_kind:     by_value
    .group_segment_fixed_size: 0
    .kernarg_segment_align: 8
    .kernarg_segment_size: 128
    .language:       OpenCL C
    .language_version:
      - 2
      - 0
    .max_flat_workgroup_size: 512
    .name:           _ZN7rocprim17ROCPRIM_400000_NS6detail17trampoline_kernelINS0_14default_configENS1_25partition_config_selectorILNS1_17partition_subalgoE8ElNS0_10empty_typeEbEEZZNS1_14partition_implILS5_8ELb0ES3_jPKlPS6_PKS6_NS0_5tupleIJPlS6_EEENSE_IJSB_SB_EEENS0_18inequality_wrapperIN6hipcub16HIPCUB_304000_NS8EqualityEEESF_JS6_EEE10hipError_tPvRmT3_T4_T5_T6_T7_T9_mT8_P12ihipStream_tbDpT10_ENKUlT_T0_E_clISt17integral_constantIbLb1EES16_EEDaS11_S12_EUlS11_E_NS1_11comp_targetILNS1_3genE9ELNS1_11target_archE1100ELNS1_3gpuE3ELNS1_3repE0EEENS1_30default_config_static_selectorELNS0_4arch9wavefront6targetE0EEEvT1_
    .private_segment_fixed_size: 0
    .sgpr_count:     0
    .sgpr_spill_count: 0
    .symbol:         _ZN7rocprim17ROCPRIM_400000_NS6detail17trampoline_kernelINS0_14default_configENS1_25partition_config_selectorILNS1_17partition_subalgoE8ElNS0_10empty_typeEbEEZZNS1_14partition_implILS5_8ELb0ES3_jPKlPS6_PKS6_NS0_5tupleIJPlS6_EEENSE_IJSB_SB_EEENS0_18inequality_wrapperIN6hipcub16HIPCUB_304000_NS8EqualityEEESF_JS6_EEE10hipError_tPvRmT3_T4_T5_T6_T7_T9_mT8_P12ihipStream_tbDpT10_ENKUlT_T0_E_clISt17integral_constantIbLb1EES16_EEDaS11_S12_EUlS11_E_NS1_11comp_targetILNS1_3genE9ELNS1_11target_archE1100ELNS1_3gpuE3ELNS1_3repE0EEENS1_30default_config_static_selectorELNS0_4arch9wavefront6targetE0EEEvT1_.kd
    .uniform_work_group_size: 1
    .uses_dynamic_stack: false
    .vgpr_count:     0
    .vgpr_spill_count: 0
    .wavefront_size: 32
  - .args:
      - .offset:         0
        .size:           128
        .value_kind:     by_value
    .group_segment_fixed_size: 0
    .kernarg_segment_align: 8
    .kernarg_segment_size: 128
    .language:       OpenCL C
    .language_version:
      - 2
      - 0
    .max_flat_workgroup_size: 512
    .name:           _ZN7rocprim17ROCPRIM_400000_NS6detail17trampoline_kernelINS0_14default_configENS1_25partition_config_selectorILNS1_17partition_subalgoE8ElNS0_10empty_typeEbEEZZNS1_14partition_implILS5_8ELb0ES3_jPKlPS6_PKS6_NS0_5tupleIJPlS6_EEENSE_IJSB_SB_EEENS0_18inequality_wrapperIN6hipcub16HIPCUB_304000_NS8EqualityEEESF_JS6_EEE10hipError_tPvRmT3_T4_T5_T6_T7_T9_mT8_P12ihipStream_tbDpT10_ENKUlT_T0_E_clISt17integral_constantIbLb1EES16_EEDaS11_S12_EUlS11_E_NS1_11comp_targetILNS1_3genE8ELNS1_11target_archE1030ELNS1_3gpuE2ELNS1_3repE0EEENS1_30default_config_static_selectorELNS0_4arch9wavefront6targetE0EEEvT1_
    .private_segment_fixed_size: 0
    .sgpr_count:     0
    .sgpr_spill_count: 0
    .symbol:         _ZN7rocprim17ROCPRIM_400000_NS6detail17trampoline_kernelINS0_14default_configENS1_25partition_config_selectorILNS1_17partition_subalgoE8ElNS0_10empty_typeEbEEZZNS1_14partition_implILS5_8ELb0ES3_jPKlPS6_PKS6_NS0_5tupleIJPlS6_EEENSE_IJSB_SB_EEENS0_18inequality_wrapperIN6hipcub16HIPCUB_304000_NS8EqualityEEESF_JS6_EEE10hipError_tPvRmT3_T4_T5_T6_T7_T9_mT8_P12ihipStream_tbDpT10_ENKUlT_T0_E_clISt17integral_constantIbLb1EES16_EEDaS11_S12_EUlS11_E_NS1_11comp_targetILNS1_3genE8ELNS1_11target_archE1030ELNS1_3gpuE2ELNS1_3repE0EEENS1_30default_config_static_selectorELNS0_4arch9wavefront6targetE0EEEvT1_.kd
    .uniform_work_group_size: 1
    .uses_dynamic_stack: false
    .vgpr_count:     0
    .vgpr_spill_count: 0
    .wavefront_size: 32
  - .args:
      - .offset:         0
        .size:           112
        .value_kind:     by_value
    .group_segment_fixed_size: 0
    .kernarg_segment_align: 8
    .kernarg_segment_size: 112
    .language:       OpenCL C
    .language_version:
      - 2
      - 0
    .max_flat_workgroup_size: 512
    .name:           _ZN7rocprim17ROCPRIM_400000_NS6detail17trampoline_kernelINS0_14default_configENS1_25partition_config_selectorILNS1_17partition_subalgoE8ElNS0_10empty_typeEbEEZZNS1_14partition_implILS5_8ELb0ES3_jPKlPS6_PKS6_NS0_5tupleIJPlS6_EEENSE_IJSB_SB_EEENS0_18inequality_wrapperIN6hipcub16HIPCUB_304000_NS8EqualityEEESF_JS6_EEE10hipError_tPvRmT3_T4_T5_T6_T7_T9_mT8_P12ihipStream_tbDpT10_ENKUlT_T0_E_clISt17integral_constantIbLb1EES15_IbLb0EEEEDaS11_S12_EUlS11_E_NS1_11comp_targetILNS1_3genE0ELNS1_11target_archE4294967295ELNS1_3gpuE0ELNS1_3repE0EEENS1_30default_config_static_selectorELNS0_4arch9wavefront6targetE0EEEvT1_
    .private_segment_fixed_size: 0
    .sgpr_count:     0
    .sgpr_spill_count: 0
    .symbol:         _ZN7rocprim17ROCPRIM_400000_NS6detail17trampoline_kernelINS0_14default_configENS1_25partition_config_selectorILNS1_17partition_subalgoE8ElNS0_10empty_typeEbEEZZNS1_14partition_implILS5_8ELb0ES3_jPKlPS6_PKS6_NS0_5tupleIJPlS6_EEENSE_IJSB_SB_EEENS0_18inequality_wrapperIN6hipcub16HIPCUB_304000_NS8EqualityEEESF_JS6_EEE10hipError_tPvRmT3_T4_T5_T6_T7_T9_mT8_P12ihipStream_tbDpT10_ENKUlT_T0_E_clISt17integral_constantIbLb1EES15_IbLb0EEEEDaS11_S12_EUlS11_E_NS1_11comp_targetILNS1_3genE0ELNS1_11target_archE4294967295ELNS1_3gpuE0ELNS1_3repE0EEENS1_30default_config_static_selectorELNS0_4arch9wavefront6targetE0EEEvT1_.kd
    .uniform_work_group_size: 1
    .uses_dynamic_stack: false
    .vgpr_count:     0
    .vgpr_spill_count: 0
    .wavefront_size: 32
  - .args:
      - .offset:         0
        .size:           112
        .value_kind:     by_value
    .group_segment_fixed_size: 0
    .kernarg_segment_align: 8
    .kernarg_segment_size: 112
    .language:       OpenCL C
    .language_version:
      - 2
      - 0
    .max_flat_workgroup_size: 512
    .name:           _ZN7rocprim17ROCPRIM_400000_NS6detail17trampoline_kernelINS0_14default_configENS1_25partition_config_selectorILNS1_17partition_subalgoE8ElNS0_10empty_typeEbEEZZNS1_14partition_implILS5_8ELb0ES3_jPKlPS6_PKS6_NS0_5tupleIJPlS6_EEENSE_IJSB_SB_EEENS0_18inequality_wrapperIN6hipcub16HIPCUB_304000_NS8EqualityEEESF_JS6_EEE10hipError_tPvRmT3_T4_T5_T6_T7_T9_mT8_P12ihipStream_tbDpT10_ENKUlT_T0_E_clISt17integral_constantIbLb1EES15_IbLb0EEEEDaS11_S12_EUlS11_E_NS1_11comp_targetILNS1_3genE5ELNS1_11target_archE942ELNS1_3gpuE9ELNS1_3repE0EEENS1_30default_config_static_selectorELNS0_4arch9wavefront6targetE0EEEvT1_
    .private_segment_fixed_size: 0
    .sgpr_count:     0
    .sgpr_spill_count: 0
    .symbol:         _ZN7rocprim17ROCPRIM_400000_NS6detail17trampoline_kernelINS0_14default_configENS1_25partition_config_selectorILNS1_17partition_subalgoE8ElNS0_10empty_typeEbEEZZNS1_14partition_implILS5_8ELb0ES3_jPKlPS6_PKS6_NS0_5tupleIJPlS6_EEENSE_IJSB_SB_EEENS0_18inequality_wrapperIN6hipcub16HIPCUB_304000_NS8EqualityEEESF_JS6_EEE10hipError_tPvRmT3_T4_T5_T6_T7_T9_mT8_P12ihipStream_tbDpT10_ENKUlT_T0_E_clISt17integral_constantIbLb1EES15_IbLb0EEEEDaS11_S12_EUlS11_E_NS1_11comp_targetILNS1_3genE5ELNS1_11target_archE942ELNS1_3gpuE9ELNS1_3repE0EEENS1_30default_config_static_selectorELNS0_4arch9wavefront6targetE0EEEvT1_.kd
    .uniform_work_group_size: 1
    .uses_dynamic_stack: false
    .vgpr_count:     0
    .vgpr_spill_count: 0
    .wavefront_size: 32
  - .args:
      - .offset:         0
        .size:           112
        .value_kind:     by_value
    .group_segment_fixed_size: 0
    .kernarg_segment_align: 8
    .kernarg_segment_size: 112
    .language:       OpenCL C
    .language_version:
      - 2
      - 0
    .max_flat_workgroup_size: 256
    .name:           _ZN7rocprim17ROCPRIM_400000_NS6detail17trampoline_kernelINS0_14default_configENS1_25partition_config_selectorILNS1_17partition_subalgoE8ElNS0_10empty_typeEbEEZZNS1_14partition_implILS5_8ELb0ES3_jPKlPS6_PKS6_NS0_5tupleIJPlS6_EEENSE_IJSB_SB_EEENS0_18inequality_wrapperIN6hipcub16HIPCUB_304000_NS8EqualityEEESF_JS6_EEE10hipError_tPvRmT3_T4_T5_T6_T7_T9_mT8_P12ihipStream_tbDpT10_ENKUlT_T0_E_clISt17integral_constantIbLb1EES15_IbLb0EEEEDaS11_S12_EUlS11_E_NS1_11comp_targetILNS1_3genE4ELNS1_11target_archE910ELNS1_3gpuE8ELNS1_3repE0EEENS1_30default_config_static_selectorELNS0_4arch9wavefront6targetE0EEEvT1_
    .private_segment_fixed_size: 0
    .sgpr_count:     0
    .sgpr_spill_count: 0
    .symbol:         _ZN7rocprim17ROCPRIM_400000_NS6detail17trampoline_kernelINS0_14default_configENS1_25partition_config_selectorILNS1_17partition_subalgoE8ElNS0_10empty_typeEbEEZZNS1_14partition_implILS5_8ELb0ES3_jPKlPS6_PKS6_NS0_5tupleIJPlS6_EEENSE_IJSB_SB_EEENS0_18inequality_wrapperIN6hipcub16HIPCUB_304000_NS8EqualityEEESF_JS6_EEE10hipError_tPvRmT3_T4_T5_T6_T7_T9_mT8_P12ihipStream_tbDpT10_ENKUlT_T0_E_clISt17integral_constantIbLb1EES15_IbLb0EEEEDaS11_S12_EUlS11_E_NS1_11comp_targetILNS1_3genE4ELNS1_11target_archE910ELNS1_3gpuE8ELNS1_3repE0EEENS1_30default_config_static_selectorELNS0_4arch9wavefront6targetE0EEEvT1_.kd
    .uniform_work_group_size: 1
    .uses_dynamic_stack: false
    .vgpr_count:     0
    .vgpr_spill_count: 0
    .wavefront_size: 32
  - .args:
      - .offset:         0
        .size:           112
        .value_kind:     by_value
    .group_segment_fixed_size: 0
    .kernarg_segment_align: 8
    .kernarg_segment_size: 112
    .language:       OpenCL C
    .language_version:
      - 2
      - 0
    .max_flat_workgroup_size: 512
    .name:           _ZN7rocprim17ROCPRIM_400000_NS6detail17trampoline_kernelINS0_14default_configENS1_25partition_config_selectorILNS1_17partition_subalgoE8ElNS0_10empty_typeEbEEZZNS1_14partition_implILS5_8ELb0ES3_jPKlPS6_PKS6_NS0_5tupleIJPlS6_EEENSE_IJSB_SB_EEENS0_18inequality_wrapperIN6hipcub16HIPCUB_304000_NS8EqualityEEESF_JS6_EEE10hipError_tPvRmT3_T4_T5_T6_T7_T9_mT8_P12ihipStream_tbDpT10_ENKUlT_T0_E_clISt17integral_constantIbLb1EES15_IbLb0EEEEDaS11_S12_EUlS11_E_NS1_11comp_targetILNS1_3genE3ELNS1_11target_archE908ELNS1_3gpuE7ELNS1_3repE0EEENS1_30default_config_static_selectorELNS0_4arch9wavefront6targetE0EEEvT1_
    .private_segment_fixed_size: 0
    .sgpr_count:     0
    .sgpr_spill_count: 0
    .symbol:         _ZN7rocprim17ROCPRIM_400000_NS6detail17trampoline_kernelINS0_14default_configENS1_25partition_config_selectorILNS1_17partition_subalgoE8ElNS0_10empty_typeEbEEZZNS1_14partition_implILS5_8ELb0ES3_jPKlPS6_PKS6_NS0_5tupleIJPlS6_EEENSE_IJSB_SB_EEENS0_18inequality_wrapperIN6hipcub16HIPCUB_304000_NS8EqualityEEESF_JS6_EEE10hipError_tPvRmT3_T4_T5_T6_T7_T9_mT8_P12ihipStream_tbDpT10_ENKUlT_T0_E_clISt17integral_constantIbLb1EES15_IbLb0EEEEDaS11_S12_EUlS11_E_NS1_11comp_targetILNS1_3genE3ELNS1_11target_archE908ELNS1_3gpuE7ELNS1_3repE0EEENS1_30default_config_static_selectorELNS0_4arch9wavefront6targetE0EEEvT1_.kd
    .uniform_work_group_size: 1
    .uses_dynamic_stack: false
    .vgpr_count:     0
    .vgpr_spill_count: 0
    .wavefront_size: 32
  - .args:
      - .offset:         0
        .size:           112
        .value_kind:     by_value
    .group_segment_fixed_size: 0
    .kernarg_segment_align: 8
    .kernarg_segment_size: 112
    .language:       OpenCL C
    .language_version:
      - 2
      - 0
    .max_flat_workgroup_size: 256
    .name:           _ZN7rocprim17ROCPRIM_400000_NS6detail17trampoline_kernelINS0_14default_configENS1_25partition_config_selectorILNS1_17partition_subalgoE8ElNS0_10empty_typeEbEEZZNS1_14partition_implILS5_8ELb0ES3_jPKlPS6_PKS6_NS0_5tupleIJPlS6_EEENSE_IJSB_SB_EEENS0_18inequality_wrapperIN6hipcub16HIPCUB_304000_NS8EqualityEEESF_JS6_EEE10hipError_tPvRmT3_T4_T5_T6_T7_T9_mT8_P12ihipStream_tbDpT10_ENKUlT_T0_E_clISt17integral_constantIbLb1EES15_IbLb0EEEEDaS11_S12_EUlS11_E_NS1_11comp_targetILNS1_3genE2ELNS1_11target_archE906ELNS1_3gpuE6ELNS1_3repE0EEENS1_30default_config_static_selectorELNS0_4arch9wavefront6targetE0EEEvT1_
    .private_segment_fixed_size: 0
    .sgpr_count:     0
    .sgpr_spill_count: 0
    .symbol:         _ZN7rocprim17ROCPRIM_400000_NS6detail17trampoline_kernelINS0_14default_configENS1_25partition_config_selectorILNS1_17partition_subalgoE8ElNS0_10empty_typeEbEEZZNS1_14partition_implILS5_8ELb0ES3_jPKlPS6_PKS6_NS0_5tupleIJPlS6_EEENSE_IJSB_SB_EEENS0_18inequality_wrapperIN6hipcub16HIPCUB_304000_NS8EqualityEEESF_JS6_EEE10hipError_tPvRmT3_T4_T5_T6_T7_T9_mT8_P12ihipStream_tbDpT10_ENKUlT_T0_E_clISt17integral_constantIbLb1EES15_IbLb0EEEEDaS11_S12_EUlS11_E_NS1_11comp_targetILNS1_3genE2ELNS1_11target_archE906ELNS1_3gpuE6ELNS1_3repE0EEENS1_30default_config_static_selectorELNS0_4arch9wavefront6targetE0EEEvT1_.kd
    .uniform_work_group_size: 1
    .uses_dynamic_stack: false
    .vgpr_count:     0
    .vgpr_spill_count: 0
    .wavefront_size: 32
  - .args:
      - .offset:         0
        .size:           112
        .value_kind:     by_value
    .group_segment_fixed_size: 0
    .kernarg_segment_align: 8
    .kernarg_segment_size: 112
    .language:       OpenCL C
    .language_version:
      - 2
      - 0
    .max_flat_workgroup_size: 384
    .name:           _ZN7rocprim17ROCPRIM_400000_NS6detail17trampoline_kernelINS0_14default_configENS1_25partition_config_selectorILNS1_17partition_subalgoE8ElNS0_10empty_typeEbEEZZNS1_14partition_implILS5_8ELb0ES3_jPKlPS6_PKS6_NS0_5tupleIJPlS6_EEENSE_IJSB_SB_EEENS0_18inequality_wrapperIN6hipcub16HIPCUB_304000_NS8EqualityEEESF_JS6_EEE10hipError_tPvRmT3_T4_T5_T6_T7_T9_mT8_P12ihipStream_tbDpT10_ENKUlT_T0_E_clISt17integral_constantIbLb1EES15_IbLb0EEEEDaS11_S12_EUlS11_E_NS1_11comp_targetILNS1_3genE10ELNS1_11target_archE1200ELNS1_3gpuE4ELNS1_3repE0EEENS1_30default_config_static_selectorELNS0_4arch9wavefront6targetE0EEEvT1_
    .private_segment_fixed_size: 0
    .sgpr_count:     0
    .sgpr_spill_count: 0
    .symbol:         _ZN7rocprim17ROCPRIM_400000_NS6detail17trampoline_kernelINS0_14default_configENS1_25partition_config_selectorILNS1_17partition_subalgoE8ElNS0_10empty_typeEbEEZZNS1_14partition_implILS5_8ELb0ES3_jPKlPS6_PKS6_NS0_5tupleIJPlS6_EEENSE_IJSB_SB_EEENS0_18inequality_wrapperIN6hipcub16HIPCUB_304000_NS8EqualityEEESF_JS6_EEE10hipError_tPvRmT3_T4_T5_T6_T7_T9_mT8_P12ihipStream_tbDpT10_ENKUlT_T0_E_clISt17integral_constantIbLb1EES15_IbLb0EEEEDaS11_S12_EUlS11_E_NS1_11comp_targetILNS1_3genE10ELNS1_11target_archE1200ELNS1_3gpuE4ELNS1_3repE0EEENS1_30default_config_static_selectorELNS0_4arch9wavefront6targetE0EEEvT1_.kd
    .uniform_work_group_size: 1
    .uses_dynamic_stack: false
    .vgpr_count:     0
    .vgpr_spill_count: 0
    .wavefront_size: 32
  - .args:
      - .offset:         0
        .size:           112
        .value_kind:     by_value
    .group_segment_fixed_size: 0
    .kernarg_segment_align: 8
    .kernarg_segment_size: 112
    .language:       OpenCL C
    .language_version:
      - 2
      - 0
    .max_flat_workgroup_size: 512
    .name:           _ZN7rocprim17ROCPRIM_400000_NS6detail17trampoline_kernelINS0_14default_configENS1_25partition_config_selectorILNS1_17partition_subalgoE8ElNS0_10empty_typeEbEEZZNS1_14partition_implILS5_8ELb0ES3_jPKlPS6_PKS6_NS0_5tupleIJPlS6_EEENSE_IJSB_SB_EEENS0_18inequality_wrapperIN6hipcub16HIPCUB_304000_NS8EqualityEEESF_JS6_EEE10hipError_tPvRmT3_T4_T5_T6_T7_T9_mT8_P12ihipStream_tbDpT10_ENKUlT_T0_E_clISt17integral_constantIbLb1EES15_IbLb0EEEEDaS11_S12_EUlS11_E_NS1_11comp_targetILNS1_3genE9ELNS1_11target_archE1100ELNS1_3gpuE3ELNS1_3repE0EEENS1_30default_config_static_selectorELNS0_4arch9wavefront6targetE0EEEvT1_
    .private_segment_fixed_size: 0
    .sgpr_count:     0
    .sgpr_spill_count: 0
    .symbol:         _ZN7rocprim17ROCPRIM_400000_NS6detail17trampoline_kernelINS0_14default_configENS1_25partition_config_selectorILNS1_17partition_subalgoE8ElNS0_10empty_typeEbEEZZNS1_14partition_implILS5_8ELb0ES3_jPKlPS6_PKS6_NS0_5tupleIJPlS6_EEENSE_IJSB_SB_EEENS0_18inequality_wrapperIN6hipcub16HIPCUB_304000_NS8EqualityEEESF_JS6_EEE10hipError_tPvRmT3_T4_T5_T6_T7_T9_mT8_P12ihipStream_tbDpT10_ENKUlT_T0_E_clISt17integral_constantIbLb1EES15_IbLb0EEEEDaS11_S12_EUlS11_E_NS1_11comp_targetILNS1_3genE9ELNS1_11target_archE1100ELNS1_3gpuE3ELNS1_3repE0EEENS1_30default_config_static_selectorELNS0_4arch9wavefront6targetE0EEEvT1_.kd
    .uniform_work_group_size: 1
    .uses_dynamic_stack: false
    .vgpr_count:     0
    .vgpr_spill_count: 0
    .wavefront_size: 32
  - .args:
      - .offset:         0
        .size:           112
        .value_kind:     by_value
    .group_segment_fixed_size: 0
    .kernarg_segment_align: 8
    .kernarg_segment_size: 112
    .language:       OpenCL C
    .language_version:
      - 2
      - 0
    .max_flat_workgroup_size: 512
    .name:           _ZN7rocprim17ROCPRIM_400000_NS6detail17trampoline_kernelINS0_14default_configENS1_25partition_config_selectorILNS1_17partition_subalgoE8ElNS0_10empty_typeEbEEZZNS1_14partition_implILS5_8ELb0ES3_jPKlPS6_PKS6_NS0_5tupleIJPlS6_EEENSE_IJSB_SB_EEENS0_18inequality_wrapperIN6hipcub16HIPCUB_304000_NS8EqualityEEESF_JS6_EEE10hipError_tPvRmT3_T4_T5_T6_T7_T9_mT8_P12ihipStream_tbDpT10_ENKUlT_T0_E_clISt17integral_constantIbLb1EES15_IbLb0EEEEDaS11_S12_EUlS11_E_NS1_11comp_targetILNS1_3genE8ELNS1_11target_archE1030ELNS1_3gpuE2ELNS1_3repE0EEENS1_30default_config_static_selectorELNS0_4arch9wavefront6targetE0EEEvT1_
    .private_segment_fixed_size: 0
    .sgpr_count:     0
    .sgpr_spill_count: 0
    .symbol:         _ZN7rocprim17ROCPRIM_400000_NS6detail17trampoline_kernelINS0_14default_configENS1_25partition_config_selectorILNS1_17partition_subalgoE8ElNS0_10empty_typeEbEEZZNS1_14partition_implILS5_8ELb0ES3_jPKlPS6_PKS6_NS0_5tupleIJPlS6_EEENSE_IJSB_SB_EEENS0_18inequality_wrapperIN6hipcub16HIPCUB_304000_NS8EqualityEEESF_JS6_EEE10hipError_tPvRmT3_T4_T5_T6_T7_T9_mT8_P12ihipStream_tbDpT10_ENKUlT_T0_E_clISt17integral_constantIbLb1EES15_IbLb0EEEEDaS11_S12_EUlS11_E_NS1_11comp_targetILNS1_3genE8ELNS1_11target_archE1030ELNS1_3gpuE2ELNS1_3repE0EEENS1_30default_config_static_selectorELNS0_4arch9wavefront6targetE0EEEvT1_.kd
    .uniform_work_group_size: 1
    .uses_dynamic_stack: false
    .vgpr_count:     0
    .vgpr_spill_count: 0
    .wavefront_size: 32
  - .args:
      - .offset:         0
        .size:           128
        .value_kind:     by_value
    .group_segment_fixed_size: 28680
    .kernarg_segment_align: 8
    .kernarg_segment_size: 128
    .language:       OpenCL C
    .language_version:
      - 2
      - 0
    .max_flat_workgroup_size: 512
    .name:           _ZN7rocprim17ROCPRIM_400000_NS6detail17trampoline_kernelINS0_14default_configENS1_25partition_config_selectorILNS1_17partition_subalgoE8ElNS0_10empty_typeEbEEZZNS1_14partition_implILS5_8ELb0ES3_jPKlPS6_PKS6_NS0_5tupleIJPlS6_EEENSE_IJSB_SB_EEENS0_18inequality_wrapperIN6hipcub16HIPCUB_304000_NS8EqualityEEESF_JS6_EEE10hipError_tPvRmT3_T4_T5_T6_T7_T9_mT8_P12ihipStream_tbDpT10_ENKUlT_T0_E_clISt17integral_constantIbLb0EES15_IbLb1EEEEDaS11_S12_EUlS11_E_NS1_11comp_targetILNS1_3genE0ELNS1_11target_archE4294967295ELNS1_3gpuE0ELNS1_3repE0EEENS1_30default_config_static_selectorELNS0_4arch9wavefront6targetE0EEEvT1_
    .private_segment_fixed_size: 0
    .sgpr_count:     25
    .sgpr_spill_count: 0
    .symbol:         _ZN7rocprim17ROCPRIM_400000_NS6detail17trampoline_kernelINS0_14default_configENS1_25partition_config_selectorILNS1_17partition_subalgoE8ElNS0_10empty_typeEbEEZZNS1_14partition_implILS5_8ELb0ES3_jPKlPS6_PKS6_NS0_5tupleIJPlS6_EEENSE_IJSB_SB_EEENS0_18inequality_wrapperIN6hipcub16HIPCUB_304000_NS8EqualityEEESF_JS6_EEE10hipError_tPvRmT3_T4_T5_T6_T7_T9_mT8_P12ihipStream_tbDpT10_ENKUlT_T0_E_clISt17integral_constantIbLb0EES15_IbLb1EEEEDaS11_S12_EUlS11_E_NS1_11comp_targetILNS1_3genE0ELNS1_11target_archE4294967295ELNS1_3gpuE0ELNS1_3repE0EEENS1_30default_config_static_selectorELNS0_4arch9wavefront6targetE0EEEvT1_.kd
    .uniform_work_group_size: 1
    .uses_dynamic_stack: false
    .vgpr_count:     54
    .vgpr_spill_count: 0
    .wavefront_size: 32
  - .args:
      - .offset:         0
        .size:           128
        .value_kind:     by_value
    .group_segment_fixed_size: 0
    .kernarg_segment_align: 8
    .kernarg_segment_size: 128
    .language:       OpenCL C
    .language_version:
      - 2
      - 0
    .max_flat_workgroup_size: 512
    .name:           _ZN7rocprim17ROCPRIM_400000_NS6detail17trampoline_kernelINS0_14default_configENS1_25partition_config_selectorILNS1_17partition_subalgoE8ElNS0_10empty_typeEbEEZZNS1_14partition_implILS5_8ELb0ES3_jPKlPS6_PKS6_NS0_5tupleIJPlS6_EEENSE_IJSB_SB_EEENS0_18inequality_wrapperIN6hipcub16HIPCUB_304000_NS8EqualityEEESF_JS6_EEE10hipError_tPvRmT3_T4_T5_T6_T7_T9_mT8_P12ihipStream_tbDpT10_ENKUlT_T0_E_clISt17integral_constantIbLb0EES15_IbLb1EEEEDaS11_S12_EUlS11_E_NS1_11comp_targetILNS1_3genE5ELNS1_11target_archE942ELNS1_3gpuE9ELNS1_3repE0EEENS1_30default_config_static_selectorELNS0_4arch9wavefront6targetE0EEEvT1_
    .private_segment_fixed_size: 0
    .sgpr_count:     0
    .sgpr_spill_count: 0
    .symbol:         _ZN7rocprim17ROCPRIM_400000_NS6detail17trampoline_kernelINS0_14default_configENS1_25partition_config_selectorILNS1_17partition_subalgoE8ElNS0_10empty_typeEbEEZZNS1_14partition_implILS5_8ELb0ES3_jPKlPS6_PKS6_NS0_5tupleIJPlS6_EEENSE_IJSB_SB_EEENS0_18inequality_wrapperIN6hipcub16HIPCUB_304000_NS8EqualityEEESF_JS6_EEE10hipError_tPvRmT3_T4_T5_T6_T7_T9_mT8_P12ihipStream_tbDpT10_ENKUlT_T0_E_clISt17integral_constantIbLb0EES15_IbLb1EEEEDaS11_S12_EUlS11_E_NS1_11comp_targetILNS1_3genE5ELNS1_11target_archE942ELNS1_3gpuE9ELNS1_3repE0EEENS1_30default_config_static_selectorELNS0_4arch9wavefront6targetE0EEEvT1_.kd
    .uniform_work_group_size: 1
    .uses_dynamic_stack: false
    .vgpr_count:     0
    .vgpr_spill_count: 0
    .wavefront_size: 32
  - .args:
      - .offset:         0
        .size:           128
        .value_kind:     by_value
    .group_segment_fixed_size: 0
    .kernarg_segment_align: 8
    .kernarg_segment_size: 128
    .language:       OpenCL C
    .language_version:
      - 2
      - 0
    .max_flat_workgroup_size: 256
    .name:           _ZN7rocprim17ROCPRIM_400000_NS6detail17trampoline_kernelINS0_14default_configENS1_25partition_config_selectorILNS1_17partition_subalgoE8ElNS0_10empty_typeEbEEZZNS1_14partition_implILS5_8ELb0ES3_jPKlPS6_PKS6_NS0_5tupleIJPlS6_EEENSE_IJSB_SB_EEENS0_18inequality_wrapperIN6hipcub16HIPCUB_304000_NS8EqualityEEESF_JS6_EEE10hipError_tPvRmT3_T4_T5_T6_T7_T9_mT8_P12ihipStream_tbDpT10_ENKUlT_T0_E_clISt17integral_constantIbLb0EES15_IbLb1EEEEDaS11_S12_EUlS11_E_NS1_11comp_targetILNS1_3genE4ELNS1_11target_archE910ELNS1_3gpuE8ELNS1_3repE0EEENS1_30default_config_static_selectorELNS0_4arch9wavefront6targetE0EEEvT1_
    .private_segment_fixed_size: 0
    .sgpr_count:     0
    .sgpr_spill_count: 0
    .symbol:         _ZN7rocprim17ROCPRIM_400000_NS6detail17trampoline_kernelINS0_14default_configENS1_25partition_config_selectorILNS1_17partition_subalgoE8ElNS0_10empty_typeEbEEZZNS1_14partition_implILS5_8ELb0ES3_jPKlPS6_PKS6_NS0_5tupleIJPlS6_EEENSE_IJSB_SB_EEENS0_18inequality_wrapperIN6hipcub16HIPCUB_304000_NS8EqualityEEESF_JS6_EEE10hipError_tPvRmT3_T4_T5_T6_T7_T9_mT8_P12ihipStream_tbDpT10_ENKUlT_T0_E_clISt17integral_constantIbLb0EES15_IbLb1EEEEDaS11_S12_EUlS11_E_NS1_11comp_targetILNS1_3genE4ELNS1_11target_archE910ELNS1_3gpuE8ELNS1_3repE0EEENS1_30default_config_static_selectorELNS0_4arch9wavefront6targetE0EEEvT1_.kd
    .uniform_work_group_size: 1
    .uses_dynamic_stack: false
    .vgpr_count:     0
    .vgpr_spill_count: 0
    .wavefront_size: 32
  - .args:
      - .offset:         0
        .size:           128
        .value_kind:     by_value
    .group_segment_fixed_size: 0
    .kernarg_segment_align: 8
    .kernarg_segment_size: 128
    .language:       OpenCL C
    .language_version:
      - 2
      - 0
    .max_flat_workgroup_size: 512
    .name:           _ZN7rocprim17ROCPRIM_400000_NS6detail17trampoline_kernelINS0_14default_configENS1_25partition_config_selectorILNS1_17partition_subalgoE8ElNS0_10empty_typeEbEEZZNS1_14partition_implILS5_8ELb0ES3_jPKlPS6_PKS6_NS0_5tupleIJPlS6_EEENSE_IJSB_SB_EEENS0_18inequality_wrapperIN6hipcub16HIPCUB_304000_NS8EqualityEEESF_JS6_EEE10hipError_tPvRmT3_T4_T5_T6_T7_T9_mT8_P12ihipStream_tbDpT10_ENKUlT_T0_E_clISt17integral_constantIbLb0EES15_IbLb1EEEEDaS11_S12_EUlS11_E_NS1_11comp_targetILNS1_3genE3ELNS1_11target_archE908ELNS1_3gpuE7ELNS1_3repE0EEENS1_30default_config_static_selectorELNS0_4arch9wavefront6targetE0EEEvT1_
    .private_segment_fixed_size: 0
    .sgpr_count:     0
    .sgpr_spill_count: 0
    .symbol:         _ZN7rocprim17ROCPRIM_400000_NS6detail17trampoline_kernelINS0_14default_configENS1_25partition_config_selectorILNS1_17partition_subalgoE8ElNS0_10empty_typeEbEEZZNS1_14partition_implILS5_8ELb0ES3_jPKlPS6_PKS6_NS0_5tupleIJPlS6_EEENSE_IJSB_SB_EEENS0_18inequality_wrapperIN6hipcub16HIPCUB_304000_NS8EqualityEEESF_JS6_EEE10hipError_tPvRmT3_T4_T5_T6_T7_T9_mT8_P12ihipStream_tbDpT10_ENKUlT_T0_E_clISt17integral_constantIbLb0EES15_IbLb1EEEEDaS11_S12_EUlS11_E_NS1_11comp_targetILNS1_3genE3ELNS1_11target_archE908ELNS1_3gpuE7ELNS1_3repE0EEENS1_30default_config_static_selectorELNS0_4arch9wavefront6targetE0EEEvT1_.kd
    .uniform_work_group_size: 1
    .uses_dynamic_stack: false
    .vgpr_count:     0
    .vgpr_spill_count: 0
    .wavefront_size: 32
  - .args:
      - .offset:         0
        .size:           128
        .value_kind:     by_value
    .group_segment_fixed_size: 0
    .kernarg_segment_align: 8
    .kernarg_segment_size: 128
    .language:       OpenCL C
    .language_version:
      - 2
      - 0
    .max_flat_workgroup_size: 256
    .name:           _ZN7rocprim17ROCPRIM_400000_NS6detail17trampoline_kernelINS0_14default_configENS1_25partition_config_selectorILNS1_17partition_subalgoE8ElNS0_10empty_typeEbEEZZNS1_14partition_implILS5_8ELb0ES3_jPKlPS6_PKS6_NS0_5tupleIJPlS6_EEENSE_IJSB_SB_EEENS0_18inequality_wrapperIN6hipcub16HIPCUB_304000_NS8EqualityEEESF_JS6_EEE10hipError_tPvRmT3_T4_T5_T6_T7_T9_mT8_P12ihipStream_tbDpT10_ENKUlT_T0_E_clISt17integral_constantIbLb0EES15_IbLb1EEEEDaS11_S12_EUlS11_E_NS1_11comp_targetILNS1_3genE2ELNS1_11target_archE906ELNS1_3gpuE6ELNS1_3repE0EEENS1_30default_config_static_selectorELNS0_4arch9wavefront6targetE0EEEvT1_
    .private_segment_fixed_size: 0
    .sgpr_count:     0
    .sgpr_spill_count: 0
    .symbol:         _ZN7rocprim17ROCPRIM_400000_NS6detail17trampoline_kernelINS0_14default_configENS1_25partition_config_selectorILNS1_17partition_subalgoE8ElNS0_10empty_typeEbEEZZNS1_14partition_implILS5_8ELb0ES3_jPKlPS6_PKS6_NS0_5tupleIJPlS6_EEENSE_IJSB_SB_EEENS0_18inequality_wrapperIN6hipcub16HIPCUB_304000_NS8EqualityEEESF_JS6_EEE10hipError_tPvRmT3_T4_T5_T6_T7_T9_mT8_P12ihipStream_tbDpT10_ENKUlT_T0_E_clISt17integral_constantIbLb0EES15_IbLb1EEEEDaS11_S12_EUlS11_E_NS1_11comp_targetILNS1_3genE2ELNS1_11target_archE906ELNS1_3gpuE6ELNS1_3repE0EEENS1_30default_config_static_selectorELNS0_4arch9wavefront6targetE0EEEvT1_.kd
    .uniform_work_group_size: 1
    .uses_dynamic_stack: false
    .vgpr_count:     0
    .vgpr_spill_count: 0
    .wavefront_size: 32
  - .args:
      - .offset:         0
        .size:           128
        .value_kind:     by_value
    .group_segment_fixed_size: 0
    .kernarg_segment_align: 8
    .kernarg_segment_size: 128
    .language:       OpenCL C
    .language_version:
      - 2
      - 0
    .max_flat_workgroup_size: 384
    .name:           _ZN7rocprim17ROCPRIM_400000_NS6detail17trampoline_kernelINS0_14default_configENS1_25partition_config_selectorILNS1_17partition_subalgoE8ElNS0_10empty_typeEbEEZZNS1_14partition_implILS5_8ELb0ES3_jPKlPS6_PKS6_NS0_5tupleIJPlS6_EEENSE_IJSB_SB_EEENS0_18inequality_wrapperIN6hipcub16HIPCUB_304000_NS8EqualityEEESF_JS6_EEE10hipError_tPvRmT3_T4_T5_T6_T7_T9_mT8_P12ihipStream_tbDpT10_ENKUlT_T0_E_clISt17integral_constantIbLb0EES15_IbLb1EEEEDaS11_S12_EUlS11_E_NS1_11comp_targetILNS1_3genE10ELNS1_11target_archE1200ELNS1_3gpuE4ELNS1_3repE0EEENS1_30default_config_static_selectorELNS0_4arch9wavefront6targetE0EEEvT1_
    .private_segment_fixed_size: 0
    .sgpr_count:     0
    .sgpr_spill_count: 0
    .symbol:         _ZN7rocprim17ROCPRIM_400000_NS6detail17trampoline_kernelINS0_14default_configENS1_25partition_config_selectorILNS1_17partition_subalgoE8ElNS0_10empty_typeEbEEZZNS1_14partition_implILS5_8ELb0ES3_jPKlPS6_PKS6_NS0_5tupleIJPlS6_EEENSE_IJSB_SB_EEENS0_18inequality_wrapperIN6hipcub16HIPCUB_304000_NS8EqualityEEESF_JS6_EEE10hipError_tPvRmT3_T4_T5_T6_T7_T9_mT8_P12ihipStream_tbDpT10_ENKUlT_T0_E_clISt17integral_constantIbLb0EES15_IbLb1EEEEDaS11_S12_EUlS11_E_NS1_11comp_targetILNS1_3genE10ELNS1_11target_archE1200ELNS1_3gpuE4ELNS1_3repE0EEENS1_30default_config_static_selectorELNS0_4arch9wavefront6targetE0EEEvT1_.kd
    .uniform_work_group_size: 1
    .uses_dynamic_stack: false
    .vgpr_count:     0
    .vgpr_spill_count: 0
    .wavefront_size: 32
  - .args:
      - .offset:         0
        .size:           128
        .value_kind:     by_value
    .group_segment_fixed_size: 0
    .kernarg_segment_align: 8
    .kernarg_segment_size: 128
    .language:       OpenCL C
    .language_version:
      - 2
      - 0
    .max_flat_workgroup_size: 512
    .name:           _ZN7rocprim17ROCPRIM_400000_NS6detail17trampoline_kernelINS0_14default_configENS1_25partition_config_selectorILNS1_17partition_subalgoE8ElNS0_10empty_typeEbEEZZNS1_14partition_implILS5_8ELb0ES3_jPKlPS6_PKS6_NS0_5tupleIJPlS6_EEENSE_IJSB_SB_EEENS0_18inequality_wrapperIN6hipcub16HIPCUB_304000_NS8EqualityEEESF_JS6_EEE10hipError_tPvRmT3_T4_T5_T6_T7_T9_mT8_P12ihipStream_tbDpT10_ENKUlT_T0_E_clISt17integral_constantIbLb0EES15_IbLb1EEEEDaS11_S12_EUlS11_E_NS1_11comp_targetILNS1_3genE9ELNS1_11target_archE1100ELNS1_3gpuE3ELNS1_3repE0EEENS1_30default_config_static_selectorELNS0_4arch9wavefront6targetE0EEEvT1_
    .private_segment_fixed_size: 0
    .sgpr_count:     0
    .sgpr_spill_count: 0
    .symbol:         _ZN7rocprim17ROCPRIM_400000_NS6detail17trampoline_kernelINS0_14default_configENS1_25partition_config_selectorILNS1_17partition_subalgoE8ElNS0_10empty_typeEbEEZZNS1_14partition_implILS5_8ELb0ES3_jPKlPS6_PKS6_NS0_5tupleIJPlS6_EEENSE_IJSB_SB_EEENS0_18inequality_wrapperIN6hipcub16HIPCUB_304000_NS8EqualityEEESF_JS6_EEE10hipError_tPvRmT3_T4_T5_T6_T7_T9_mT8_P12ihipStream_tbDpT10_ENKUlT_T0_E_clISt17integral_constantIbLb0EES15_IbLb1EEEEDaS11_S12_EUlS11_E_NS1_11comp_targetILNS1_3genE9ELNS1_11target_archE1100ELNS1_3gpuE3ELNS1_3repE0EEENS1_30default_config_static_selectorELNS0_4arch9wavefront6targetE0EEEvT1_.kd
    .uniform_work_group_size: 1
    .uses_dynamic_stack: false
    .vgpr_count:     0
    .vgpr_spill_count: 0
    .wavefront_size: 32
  - .args:
      - .offset:         0
        .size:           128
        .value_kind:     by_value
    .group_segment_fixed_size: 0
    .kernarg_segment_align: 8
    .kernarg_segment_size: 128
    .language:       OpenCL C
    .language_version:
      - 2
      - 0
    .max_flat_workgroup_size: 512
    .name:           _ZN7rocprim17ROCPRIM_400000_NS6detail17trampoline_kernelINS0_14default_configENS1_25partition_config_selectorILNS1_17partition_subalgoE8ElNS0_10empty_typeEbEEZZNS1_14partition_implILS5_8ELb0ES3_jPKlPS6_PKS6_NS0_5tupleIJPlS6_EEENSE_IJSB_SB_EEENS0_18inequality_wrapperIN6hipcub16HIPCUB_304000_NS8EqualityEEESF_JS6_EEE10hipError_tPvRmT3_T4_T5_T6_T7_T9_mT8_P12ihipStream_tbDpT10_ENKUlT_T0_E_clISt17integral_constantIbLb0EES15_IbLb1EEEEDaS11_S12_EUlS11_E_NS1_11comp_targetILNS1_3genE8ELNS1_11target_archE1030ELNS1_3gpuE2ELNS1_3repE0EEENS1_30default_config_static_selectorELNS0_4arch9wavefront6targetE0EEEvT1_
    .private_segment_fixed_size: 0
    .sgpr_count:     0
    .sgpr_spill_count: 0
    .symbol:         _ZN7rocprim17ROCPRIM_400000_NS6detail17trampoline_kernelINS0_14default_configENS1_25partition_config_selectorILNS1_17partition_subalgoE8ElNS0_10empty_typeEbEEZZNS1_14partition_implILS5_8ELb0ES3_jPKlPS6_PKS6_NS0_5tupleIJPlS6_EEENSE_IJSB_SB_EEENS0_18inequality_wrapperIN6hipcub16HIPCUB_304000_NS8EqualityEEESF_JS6_EEE10hipError_tPvRmT3_T4_T5_T6_T7_T9_mT8_P12ihipStream_tbDpT10_ENKUlT_T0_E_clISt17integral_constantIbLb0EES15_IbLb1EEEEDaS11_S12_EUlS11_E_NS1_11comp_targetILNS1_3genE8ELNS1_11target_archE1030ELNS1_3gpuE2ELNS1_3repE0EEENS1_30default_config_static_selectorELNS0_4arch9wavefront6targetE0EEEvT1_.kd
    .uniform_work_group_size: 1
    .uses_dynamic_stack: false
    .vgpr_count:     0
    .vgpr_spill_count: 0
    .wavefront_size: 32
  - .args:
      - .address_space:  global
        .offset:         0
        .size:           8
        .value_kind:     global_buffer
      - .address_space:  global
        .offset:         8
        .size:           8
        .value_kind:     global_buffer
      - .offset:         16
        .size:           8
        .value_kind:     by_value
      - .offset:         24
        .size:           8
        .value_kind:     by_value
      - .offset:         32
        .size:           8
        .value_kind:     by_value
      - .offset:         40
        .size:           8
        .value_kind:     by_value
      - .offset:         48
        .size:           8
        .value_kind:     by_value
      - .offset:         56
        .size:           8
        .value_kind:     by_value
      - .address_space:  global
        .offset:         64
        .size:           8
        .value_kind:     global_buffer
      - .offset:         72
        .size:           4
        .value_kind:     hidden_block_count_x
      - .offset:         76
        .size:           4
        .value_kind:     hidden_block_count_y
      - .offset:         80
        .size:           4
        .value_kind:     hidden_block_count_z
      - .offset:         84
        .size:           2
        .value_kind:     hidden_group_size_x
      - .offset:         86
        .size:           2
        .value_kind:     hidden_group_size_y
      - .offset:         88
        .size:           2
        .value_kind:     hidden_group_size_z
      - .offset:         90
        .size:           2
        .value_kind:     hidden_remainder_x
      - .offset:         92
        .size:           2
        .value_kind:     hidden_remainder_y
      - .offset:         94
        .size:           2
        .value_kind:     hidden_remainder_z
      - .offset:         112
        .size:           8
        .value_kind:     hidden_global_offset_x
      - .offset:         120
        .size:           8
        .value_kind:     hidden_global_offset_y
      - .offset:         128
        .size:           8
        .value_kind:     hidden_global_offset_z
      - .offset:         136
        .size:           2
        .value_kind:     hidden_grid_dims
      - .offset:         192
        .size:           4
        .value_kind:     hidden_dynamic_lds_size
    .group_segment_fixed_size: 0
    .kernarg_segment_align: 8
    .kernarg_segment_size: 328
    .language:       OpenCL C
    .language_version:
      - 2
      - 0
    .max_flat_workgroup_size: 1024
    .name:           _ZN2at6native12_GLOBAL__N_113renorm_kernelIddKlEEvPT_PT1_T0_S8_llllPS3_
    .private_segment_fixed_size: 0
    .sgpr_count:     34
    .sgpr_spill_count: 0
    .symbol:         _ZN2at6native12_GLOBAL__N_113renorm_kernelIddKlEEvPT_PT1_T0_S8_llllPS3_.kd
    .uniform_work_group_size: 1
    .uses_dynamic_stack: false
    .vgpr_count:     36
    .vgpr_spill_count: 0
    .wavefront_size: 32
  - .args:
      - .address_space:  global
        .offset:         0
        .size:           8
        .value_kind:     global_buffer
      - .address_space:  global
        .offset:         8
        .size:           8
        .value_kind:     global_buffer
      - .offset:         16
        .size:           4
        .value_kind:     by_value
      - .offset:         20
        .size:           4
        .value_kind:     by_value
      - .offset:         24
        .size:           8
        .value_kind:     by_value
      - .offset:         32
        .size:           8
        .value_kind:     by_value
      - .offset:         40
        .size:           8
        .value_kind:     by_value
      - .offset:         48
        .size:           8
        .value_kind:     by_value
      - .address_space:  global
        .offset:         56
        .size:           8
        .value_kind:     global_buffer
      - .offset:         64
        .size:           4
        .value_kind:     hidden_block_count_x
      - .offset:         68
        .size:           4
        .value_kind:     hidden_block_count_y
      - .offset:         72
        .size:           4
        .value_kind:     hidden_block_count_z
      - .offset:         76
        .size:           2
        .value_kind:     hidden_group_size_x
      - .offset:         78
        .size:           2
        .value_kind:     hidden_group_size_y
      - .offset:         80
        .size:           2
        .value_kind:     hidden_group_size_z
      - .offset:         82
        .size:           2
        .value_kind:     hidden_remainder_x
      - .offset:         84
        .size:           2
        .value_kind:     hidden_remainder_y
      - .offset:         86
        .size:           2
        .value_kind:     hidden_remainder_z
      - .offset:         104
        .size:           8
        .value_kind:     hidden_global_offset_x
      - .offset:         112
        .size:           8
        .value_kind:     hidden_global_offset_y
      - .offset:         120
        .size:           8
        .value_kind:     hidden_global_offset_z
      - .offset:         128
        .size:           2
        .value_kind:     hidden_grid_dims
      - .offset:         184
        .size:           4
        .value_kind:     hidden_dynamic_lds_size
    .group_segment_fixed_size: 0
    .kernarg_segment_align: 8
    .kernarg_segment_size: 320
    .language:       OpenCL C
    .language_version:
      - 2
      - 0
    .max_flat_workgroup_size: 1024
    .name:           _ZN2at6native12_GLOBAL__N_113renorm_kernelIffKlEEvPT_PT1_T0_S8_llllPS3_
    .private_segment_fixed_size: 0
    .sgpr_count:     29
    .sgpr_spill_count: 0
    .symbol:         _ZN2at6native12_GLOBAL__N_113renorm_kernelIffKlEEvPT_PT1_T0_S8_llllPS3_.kd
    .uniform_work_group_size: 1
    .uses_dynamic_stack: false
    .vgpr_count:     24
    .vgpr_spill_count: 0
    .wavefront_size: 32
  - .args:
      - .address_space:  global
        .offset:         0
        .size:           8
        .value_kind:     global_buffer
      - .address_space:  global
        .offset:         8
        .size:           8
        .value_kind:     global_buffer
      - .offset:         16
        .size:           4
        .value_kind:     by_value
      - .offset:         20
        .size:           4
        .value_kind:     by_value
      - .offset:         24
        .size:           8
        .value_kind:     by_value
      - .offset:         32
        .size:           8
        .value_kind:     by_value
      - .offset:         40
        .size:           8
        .value_kind:     by_value
      - .offset:         48
        .size:           8
        .value_kind:     by_value
      - .address_space:  global
        .offset:         56
        .size:           8
        .value_kind:     global_buffer
      - .offset:         64
        .size:           4
        .value_kind:     hidden_block_count_x
      - .offset:         68
        .size:           4
        .value_kind:     hidden_block_count_y
      - .offset:         72
        .size:           4
        .value_kind:     hidden_block_count_z
      - .offset:         76
        .size:           2
        .value_kind:     hidden_group_size_x
      - .offset:         78
        .size:           2
        .value_kind:     hidden_group_size_y
      - .offset:         80
        .size:           2
        .value_kind:     hidden_group_size_z
      - .offset:         82
        .size:           2
        .value_kind:     hidden_remainder_x
      - .offset:         84
        .size:           2
        .value_kind:     hidden_remainder_y
      - .offset:         86
        .size:           2
        .value_kind:     hidden_remainder_z
      - .offset:         104
        .size:           8
        .value_kind:     hidden_global_offset_x
      - .offset:         112
        .size:           8
        .value_kind:     hidden_global_offset_y
      - .offset:         120
        .size:           8
        .value_kind:     hidden_global_offset_z
      - .offset:         128
        .size:           2
        .value_kind:     hidden_grid_dims
      - .offset:         184
        .size:           4
        .value_kind:     hidden_dynamic_lds_size
    .group_segment_fixed_size: 0
    .kernarg_segment_align: 8
    .kernarg_segment_size: 320
    .language:       OpenCL C
    .language_version:
      - 2
      - 0
    .max_flat_workgroup_size: 1024
    .name:           _ZN2at6native12_GLOBAL__N_113renorm_kernelIN3c104HalfEfKlEEvPT_PT1_T0_SA_llllPS5_
    .private_segment_fixed_size: 0
    .sgpr_count:     29
    .sgpr_spill_count: 0
    .symbol:         _ZN2at6native12_GLOBAL__N_113renorm_kernelIN3c104HalfEfKlEEvPT_PT1_T0_SA_llllPS5_.kd
    .uniform_work_group_size: 1
    .uses_dynamic_stack: false
    .vgpr_count:     24
    .vgpr_spill_count: 0
    .wavefront_size: 32
  - .args:
      - .address_space:  global
        .offset:         0
        .size:           8
        .value_kind:     global_buffer
      - .address_space:  global
        .offset:         8
        .size:           8
        .value_kind:     global_buffer
      - .offset:         16
        .size:           4
        .value_kind:     by_value
      - .offset:         20
        .size:           4
        .value_kind:     by_value
      - .offset:         24
        .size:           8
        .value_kind:     by_value
      - .offset:         32
        .size:           8
        .value_kind:     by_value
      - .offset:         40
        .size:           8
        .value_kind:     by_value
      - .offset:         48
        .size:           8
        .value_kind:     by_value
      - .address_space:  global
        .offset:         56
        .size:           8
        .value_kind:     global_buffer
      - .offset:         64
        .size:           4
        .value_kind:     hidden_block_count_x
      - .offset:         68
        .size:           4
        .value_kind:     hidden_block_count_y
      - .offset:         72
        .size:           4
        .value_kind:     hidden_block_count_z
      - .offset:         76
        .size:           2
        .value_kind:     hidden_group_size_x
      - .offset:         78
        .size:           2
        .value_kind:     hidden_group_size_y
      - .offset:         80
        .size:           2
        .value_kind:     hidden_group_size_z
      - .offset:         82
        .size:           2
        .value_kind:     hidden_remainder_x
      - .offset:         84
        .size:           2
        .value_kind:     hidden_remainder_y
      - .offset:         86
        .size:           2
        .value_kind:     hidden_remainder_z
      - .offset:         104
        .size:           8
        .value_kind:     hidden_global_offset_x
      - .offset:         112
        .size:           8
        .value_kind:     hidden_global_offset_y
      - .offset:         120
        .size:           8
        .value_kind:     hidden_global_offset_z
      - .offset:         128
        .size:           2
        .value_kind:     hidden_grid_dims
      - .offset:         184
        .size:           4
        .value_kind:     hidden_dynamic_lds_size
    .group_segment_fixed_size: 0
    .kernarg_segment_align: 8
    .kernarg_segment_size: 320
    .language:       OpenCL C
    .language_version:
      - 2
      - 0
    .max_flat_workgroup_size: 1024
    .name:           _ZN2at6native12_GLOBAL__N_113renorm_kernelIN3c108BFloat16EfKlEEvPT_PT1_T0_SA_llllPS5_
    .private_segment_fixed_size: 0
    .sgpr_count:     29
    .sgpr_spill_count: 0
    .symbol:         _ZN2at6native12_GLOBAL__N_113renorm_kernelIN3c108BFloat16EfKlEEvPT_PT1_T0_SA_llllPS5_.kd
    .uniform_work_group_size: 1
    .uses_dynamic_stack: false
    .vgpr_count:     24
    .vgpr_spill_count: 0
    .wavefront_size: 32
amdhsa.target:   amdgcn-amd-amdhsa--gfx1250
amdhsa.version:
  - 1
  - 2
...

	.end_amdgpu_metadata
